;; amdgpu-corpus repo=ggml-org/llama.cpp kind=compiled arch=gfx1100 opt=O3
	.text
	.amdgcn_target "amdgcn-amd-amdhsa--gfx1100"
	.amdhsa_code_object_version 6
	.section	.text._ZL15flash_attn_tileILi40ELi40ELi8ELi8ELb0EEvPKcS1_S1_S1_S1_PKiPfP15HIP_vector_typeIfLj2EEffffjfiS5_IjLj3EEiiiiiiiiiiiliiliiiiil,"axG",@progbits,_ZL15flash_attn_tileILi40ELi40ELi8ELi8ELb0EEvPKcS1_S1_S1_S1_PKiPfP15HIP_vector_typeIfLj2EEffffjfiS5_IjLj3EEiiiiiiiiiiiliiliiiiil,comdat
	.globl	_ZL15flash_attn_tileILi40ELi40ELi8ELi8ELb0EEvPKcS1_S1_S1_S1_PKiPfP15HIP_vector_typeIfLj2EEffffjfiS5_IjLj3EEiiiiiiiiiiiliiliiiiil ; -- Begin function _ZL15flash_attn_tileILi40ELi40ELi8ELi8ELb0EEvPKcS1_S1_S1_S1_PKiPfP15HIP_vector_typeIfLj2EEffffjfiS5_IjLj3EEiiiiiiiiiiiliiliiiiil
	.p2align	8
	.type	_ZL15flash_attn_tileILi40ELi40ELi8ELi8ELb0EEvPKcS1_S1_S1_S1_PKiPfP15HIP_vector_typeIfLj2EEffffjfiS5_IjLj3EEiiiiiiiiiiiliiliiiiil,@function
_ZL15flash_attn_tileILi40ELi40ELi8ELi8ELb0EEvPKcS1_S1_S1_S1_PKiPfP15HIP_vector_typeIfLj2EEffffjfiS5_IjLj3EEiiiiiiiiiiiliiliiiiil: ; @_ZL15flash_attn_tileILi40ELi40ELi8ELi8ELb0EEvPKcS1_S1_S1_S1_PKiPfP15HIP_vector_typeIfLj2EEffffjfiS5_IjLj3EEiiiiiiiiiiiliiliiiiil
; %bb.0:
	s_clause 0x1
	s_load_b128 s[36:39], s[0:1], 0x5c
	s_load_b64 s[34:35], s[0:1], 0x80
	s_mov_b64 s[40:41], 0
	s_waitcnt lgkmcnt(0)
	s_ashr_i32 s2, s39, 31
	s_delay_alu instid0(SALU_CYCLE_1) | instskip(NEXT) | instid1(SALU_CYCLE_1)
	s_lshr_b32 s2, s2, 29
	s_add_i32 s2, s39, s2
	s_delay_alu instid0(SALU_CYCLE_1) | instskip(NEXT) | instid1(SALU_CYCLE_1)
	s_ashr_i32 s2, s2, 3
	v_cvt_f32_u32_e32 v1, s2
	s_sub_i32 s4, 0, s2
	s_delay_alu instid0(VALU_DEP_1) | instskip(SKIP_2) | instid1(VALU_DEP_1)
	v_rcp_iflag_f32_e32 v1, v1
	s_waitcnt_depctr 0xfff
	v_mul_f32_e32 v1, 0x4f7ffffe, v1
	v_cvt_u32_f32_e32 v1, v1
	s_delay_alu instid0(VALU_DEP_1) | instskip(NEXT) | instid1(VALU_DEP_1)
	v_readfirstlane_b32 s3, v1
	s_mul_i32 s4, s4, s3
	s_delay_alu instid0(SALU_CYCLE_1) | instskip(NEXT) | instid1(SALU_CYCLE_1)
	s_mul_hi_u32 s4, s3, s4
	s_add_i32 s3, s3, s4
	s_delay_alu instid0(SALU_CYCLE_1) | instskip(NEXT) | instid1(SALU_CYCLE_1)
	s_mul_hi_u32 s3, s15, s3
	s_mul_i32 s4, s3, s2
	s_add_i32 s5, s3, 1
	s_sub_i32 s4, s15, s4
	s_delay_alu instid0(SALU_CYCLE_1)
	s_sub_i32 s6, s4, s2
	s_cmp_ge_u32 s4, s2
	s_cselect_b32 s3, s5, s3
	s_cselect_b32 s4, s6, s4
	s_add_i32 s5, s3, 1
	s_cmp_ge_u32 s4, s2
	s_cselect_b32 s33, s5, s3
	s_abs_i32 s2, s35
	s_abs_i32 s5, s39
	v_cvt_f32_u32_e32 v1, s2
	s_sub_i32 s4, 0, s2
	s_xor_b32 s6, s39, s35
	s_delay_alu instid0(SALU_CYCLE_1) | instskip(NEXT) | instid1(VALU_DEP_1)
	s_ashr_i32 s6, s6, 31
	v_rcp_iflag_f32_e32 v1, v1
	s_waitcnt_depctr 0xfff
	v_mul_f32_e32 v1, 0x4f7ffffe, v1
	s_delay_alu instid0(VALU_DEP_1) | instskip(NEXT) | instid1(VALU_DEP_1)
	v_cvt_u32_f32_e32 v1, v1
	v_readfirstlane_b32 s3, v1
	s_delay_alu instid0(VALU_DEP_1) | instskip(NEXT) | instid1(SALU_CYCLE_1)
	s_mul_i32 s4, s4, s3
	s_mul_hi_u32 s4, s3, s4
	s_delay_alu instid0(SALU_CYCLE_1) | instskip(SKIP_2) | instid1(SALU_CYCLE_1)
	s_add_i32 s3, s3, s4
	s_lshl_b32 s4, s15, 3
	s_mul_hi_u32 s3, s5, s3
	s_mul_i32 s7, s3, s2
	s_delay_alu instid0(SALU_CYCLE_1)
	s_sub_i32 s5, s5, s7
	s_add_i32 s7, s3, 1
	s_sub_i32 s8, s5, s2
	s_cmp_ge_u32 s5, s2
	s_cselect_b32 s3, s7, s3
	s_cselect_b32 s5, s8, s5
	s_add_i32 s7, s3, 1
	s_cmp_ge_u32 s5, s2
	s_mul_i32 s5, s33, s39
	s_cselect_b32 s2, s7, s3
	s_delay_alu instid0(SALU_CYCLE_1) | instskip(NEXT) | instid1(SALU_CYCLE_1)
	s_xor_b32 s2, s2, s6
	s_sub_i32 s9, s2, s6
	s_clause 0x1
	s_load_b512 s[16:31], s[0:1], 0x0
	s_load_b64 s[2:3], s[0:1], 0xb8
	s_abs_i32 s8, s9
	s_delay_alu instid0(SALU_CYCLE_1) | instskip(NEXT) | instid1(VALU_DEP_1)
	v_cvt_f32_u32_e32 v1, s8
	v_rcp_iflag_f32_e32 v1, v1
	s_waitcnt_depctr 0xfff
	v_mul_f32_e32 v1, 0x4f7ffffe, v1
	s_waitcnt lgkmcnt(0)
	s_cmp_eq_u64 s[22:23], 0
	s_delay_alu instid0(VALU_DEP_1) | instskip(NEXT) | instid1(VALU_DEP_1)
	v_cvt_u32_f32_e32 v1, v1
	v_readfirstlane_b32 s10, v1
	s_cbranch_scc1 .LBB0_2
; %bb.1:
	s_abs_i32 s2, s2
	s_abs_i32 s11, s33
	v_cvt_f32_u32_e32 v1, s2
	s_sub_i32 s7, 0, s2
	s_delay_alu instid0(VALU_DEP_1) | instskip(SKIP_2) | instid1(VALU_DEP_1)
	v_rcp_iflag_f32_e32 v1, v1
	s_waitcnt_depctr 0xfff
	v_mul_f32_e32 v1, 0x4f7ffffe, v1
	v_cvt_u32_f32_e32 v1, v1
	s_delay_alu instid0(VALU_DEP_1) | instskip(NEXT) | instid1(VALU_DEP_1)
	v_readfirstlane_b32 s6, v1
	s_mul_i32 s7, s7, s6
	s_delay_alu instid0(SALU_CYCLE_1) | instskip(NEXT) | instid1(SALU_CYCLE_1)
	s_mul_hi_u32 s7, s6, s7
	s_add_i32 s12, s6, s7
	s_load_b64 s[6:7], s[0:1], 0xc8
	s_mul_hi_u32 s12, s11, s12
	s_delay_alu instid0(SALU_CYCLE_1) | instskip(NEXT) | instid1(SALU_CYCLE_1)
	s_mul_i32 s12, s12, s2
	s_sub_i32 s11, s11, s12
	s_ashr_i32 s12, s33, 31
	s_sub_i32 s15, s11, s2
	s_cmp_ge_u32 s11, s2
	s_cselect_b32 s11, s15, s11
	s_delay_alu instid0(SALU_CYCLE_1) | instskip(SKIP_2) | instid1(SALU_CYCLE_1)
	s_sub_i32 s15, s11, s2
	s_cmp_ge_u32 s11, s2
	s_cselect_b32 s2, s15, s11
	s_xor_b32 s2, s2, s12
	s_delay_alu instid0(SALU_CYCLE_1)
	s_sub_i32 s2, s2, s12
	s_waitcnt lgkmcnt(0)
	s_mul_i32 s7, s2, s7
	s_mul_hi_u32 s11, s2, s6
	s_ashr_i32 s12, s2, 31
	s_add_i32 s7, s11, s7
	s_mul_i32 s12, s12, s6
	s_mul_i32 s2, s2, s6
	s_add_i32 s7, s7, s12
	s_add_u32 s40, s22, s2
	s_addc_u32 s41, s23, s7
.LBB0_2:
	v_bfe_u32 v10, v0, 10, 10
	v_and_b32_e32 v25, 0x3ff, v0
	s_sub_i32 s22, s4, s5
	s_delay_alu instid0(VALU_DEP_2) | instskip(NEXT) | instid1(VALU_DEP_2)
	v_lshl_add_u32 v26, s13, 3, v10
	v_cmp_gt_u32_e64 s2, 20, v25
	v_lshlrev_b32_e32 v24, 1, v25
	s_delay_alu instid0(VALU_DEP_3) | instskip(NEXT) | instid1(VALU_DEP_1)
	v_mul_hi_u32 v1, s36, v26
	v_add_nc_u32_e32 v1, v26, v1
	s_delay_alu instid0(VALU_DEP_1) | instskip(NEXT) | instid1(VALU_DEP_1)
	v_lshrrev_b32_e32 v1, s37, v1
	v_mul_lo_u32 v1, v1, s38
	s_delay_alu instid0(VALU_DEP_1)
	v_sub_nc_u32_e32 v11, v26, v1
	s_and_saveexec_b32 s11, s2
	s_cbranch_execz .LBB0_4
; %bb.3:
	s_load_b128 s[4:7], s[0:1], 0x70
	s_waitcnt lgkmcnt(0)
	s_mul_i32 s6, s33, s6
	s_mul_i32 s7, s22, s5
	s_ashr_i32 s12, s6, 31
	s_add_u32 s6, s16, s6
	s_addc_u32 s12, s17, s12
	s_ashr_i32 s15, s7, 31
	s_add_u32 s23, s6, s7
	s_addc_u32 s12, s12, s15
	s_ashr_i32 s6, s4, 31
	s_ashr_i32 s7, s5, 31
	v_alignbit_b32 v2, s6, s4, 2
	s_lshr_b32 s4, s6, 2
	v_alignbit_b32 v16, s7, s5, 2
	s_mov_b32 s6, s5
	s_delay_alu instid0(VALU_DEP_2) | instskip(SKIP_3) | instid1(VALU_DEP_1)
	v_mad_u64_u32 v[0:1], null, v2, v11, 0
	s_lshr_b64 s[16:17], s[6:7], 2
	s_lshr_b32 s6, s7, 2
	s_lshl_b64 s[16:17], s[16:17], 3
	v_mad_u64_u32 v[2:3], null, s4, v11, v[1:2]
	s_and_b32 s4, s5, -4
	s_and_b32 s5, s7, 0x3fffffff
	s_delay_alu instid0(SALU_CYCLE_1) | instskip(NEXT) | instid1(VALU_DEP_1)
	s_lshl_b64 s[36:37], s[4:5], 2
	v_dual_mov_b32 v1, v2 :: v_dual_lshlrev_b32 v2, 2, v24
	s_delay_alu instid0(VALU_DEP_1) | instskip(NEXT) | instid1(VALU_DEP_1)
	v_lshlrev_b64 v[0:1], 2, v[0:1]
	v_add_co_u32 v0, vcc_lo, s23, v0
	s_delay_alu instid0(VALU_DEP_2) | instskip(NEXT) | instid1(VALU_DEP_2)
	v_add_co_ci_u32_e32 v1, vcc_lo, s12, v1, vcc_lo
	v_add_co_u32 v0, vcc_lo, v0, v2
	s_delay_alu instid0(VALU_DEP_2) | instskip(NEXT) | instid1(VALU_DEP_2)
	v_add_co_ci_u32_e32 v1, vcc_lo, 0, v1, vcc_lo
	v_add_co_u32 v2, vcc_lo, v0, s4
	s_delay_alu instid0(VALU_DEP_2)
	v_mad_u64_u32 v[6:7], null, v16, 12, v[0:1]
	v_mad_u64_u32 v[8:9], null, v16, 20, v[0:1]
	v_add_co_ci_u32_e32 v3, vcc_lo, s7, v1, vcc_lo
	v_mad_u64_u32 v[12:13], null, v16, 24, v[0:1]
	v_mad_u64_u32 v[14:15], null, v16, 28, v[0:1]
	v_add_co_u32 v4, vcc_lo, v0, s16
	v_mad_u64_u32 v[18:19], null, s6, 12, v[7:8]
	v_add_co_ci_u32_e32 v5, vcc_lo, s17, v1, vcc_lo
	v_add_co_u32 v16, vcc_lo, v0, s36
	v_mad_u64_u32 v[19:20], null, s6, 20, v[9:10]
	v_mad_u64_u32 v[20:21], null, s6, 24, v[13:14]
	s_delay_alu instid0(VALU_DEP_3)
	v_mad_u64_u32 v[21:22], null, s6, 28, v[15:16]
	v_mov_b32_e32 v7, v18
	v_mul_u32_u24_e32 v18, 0xa0, v10
	v_add_co_ci_u32_e32 v17, vcc_lo, s37, v1, vcc_lo
	s_clause 0x3
	global_load_b64 v[0:1], v[0:1], off
	global_load_b64 v[2:3], v[2:3], off
	;; [unrolled: 1-line block ×4, first 2 shown]
	v_mov_b32_e32 v9, v19
	v_or_b32_e32 v18, v18, v25
	v_mov_b32_e32 v13, v20
	v_mov_b32_e32 v15, v21
	s_load_b32 s4, s[0:1], 0x40
	s_delay_alu instid0(VALU_DEP_3)
	v_lshlrev_b32_e32 v18, 2, v18
	s_clause 0x3
	global_load_b64 v[6:7], v[6:7], off
	global_load_b64 v[8:9], v[8:9], off
	;; [unrolled: 1-line block ×4, first 2 shown]
	s_waitcnt vmcnt(7) lgkmcnt(0)
	v_fma_mixlo_f16 v0, v0, s4, 0
	s_waitcnt vmcnt(6)
	v_fma_mixlo_f16 v2, v2, s4, 0
	s_waitcnt vmcnt(5)
	v_fma_mixlo_f16 v4, v4, s4, 0
	v_fma_mixhi_f16 v0, v1, s4, 0
	s_delay_alu instid0(VALU_DEP_3)
	v_fma_mixhi_f16 v2, v3, s4, 0
	s_waitcnt vmcnt(4)
	v_fma_mixlo_f16 v1, v16, s4, 0
	s_waitcnt vmcnt(3)
	v_fma_mixlo_f16 v3, v6, s4, 0
	v_fma_mixhi_f16 v4, v5, s4, 0
	s_waitcnt vmcnt(2)
	v_fma_mixlo_f16 v5, v8, s4, 0
	s_waitcnt vmcnt(1)
	v_fma_mixlo_f16 v6, v12, s4, 0
	;; [unrolled: 2-line block ×3, first 2 shown]
	v_fma_mixhi_f16 v3, v7, s4, 0
	v_fma_mixhi_f16 v1, v17, s4, 0
	;; [unrolled: 1-line block ×5, first 2 shown]
	ds_store_2addr_b32 v18, v0, v2 offset1:20
	ds_store_2addr_b32 v18, v4, v3 offset0:40 offset1:60
	ds_store_2addr_b32 v18, v1, v5 offset0:80 offset1:100
	;; [unrolled: 1-line block ×3, first 2 shown]
.LBB0_4:
	s_or_b32 exec_lo, exec_lo, s11
	s_cmp_eq_u64 s[26:27], 0
	s_waitcnt lgkmcnt(0)
	s_barrier
	buffer_gl0_inv
	s_cbranch_scc1 .LBB0_6
; %bb.5:
	s_load_b32 s4, s[0:1], 0xd0
	s_mov_b32 s5, 0
	s_waitcnt lgkmcnt(0)
	s_mul_i32 s4, s4, s33
	s_delay_alu instid0(SALU_CYCLE_1) | instskip(NEXT) | instid1(SALU_CYCLE_1)
	s_add_i32 s4, s4, s13
	s_lshl_b64 s[4:5], s[4:5], 2
	s_delay_alu instid0(SALU_CYCLE_1)
	s_add_u32 s4, s26, s4
	s_addc_u32 s5, s27, s5
	s_load_b32 s34, s[4:5], 0x0
.LBB0_6:
	v_mbcnt_lo_u32_b32 v19, -1, 0
	s_lshl_b32 s23, s14, 5
	s_waitcnt lgkmcnt(0)
	s_cmp_lt_i32 s23, s34
	s_cbranch_scc1 .LBB0_8
; %bb.7:
	v_mbcnt_lo_u32_b32 v8, -1, 0
	v_mov_b32_e32 v17, 32
	s_mov_b32 s4, 0
	s_mov_b32 s5, 0xfeffffff
	s_delay_alu instid0(VALU_DEP_2)
	v_xor_b32_e32 v23, 16, v8
	v_xor_b32_e32 v22, 8, v8
	;; [unrolled: 1-line block ×5, first 2 shown]
	s_branch .LBB0_9
.LBB0_8:
	s_mov_b32 s4, -1
                                        ; implicit-def: $sgpr5
                                        ; implicit-def: $vgpr8
                                        ; implicit-def: $vgpr17
                                        ; implicit-def: $vgpr23
                                        ; implicit-def: $vgpr22
                                        ; implicit-def: $vgpr21
                                        ; implicit-def: $vgpr20
                                        ; implicit-def: $vgpr18
.LBB0_9:
	s_delay_alu instid0(SALU_CYCLE_1) | instskip(SKIP_2) | instid1(VALU_DEP_3)
	v_cndmask_b32_e64 v0, 0, 1, s4
	v_dual_mov_b32 v7, s5 :: v_dual_mov_b32 v6, s5
	v_dual_mov_b32 v61, s4 :: v_dual_mov_b32 v4, s5
	v_cmp_ne_u32_e32 vcc_lo, 1, v0
	v_dual_mov_b32 v27, s4 :: v_dual_mov_b32 v2, s5
	v_dual_mov_b32 v5, s5 :: v_dual_mov_b32 v0, s5
	;; [unrolled: 1-line block ×10, first 2 shown]
	s_cbranch_vccnz .LBB0_22
; %bb.10:
	s_clause 0x1
	s_load_b128 s[4:7], s[0:1], 0x98
	s_load_b64 s[12:13], s[0:1], 0x8c
	s_sub_i32 s11, 0, s8
	s_abs_i32 s15, s22
	s_mul_i32 s11, s11, s10
	s_ashr_i32 s26, s22, 31
	s_mul_hi_u32 s11, s10, s11
	s_ashr_i32 s9, s9, 31
	s_add_i32 s10, s10, s11
	s_ashr_i32 s11, s3, 1
	s_mul_hi_u32 s3, s15, s10
	s_ashr_i32 s10, s33, 31
	s_load_b64 s[16:17], s[0:1], 0xa8
	s_mul_i32 s27, s3, s8
	v_lshrrev_b32_e32 v0, 2, v25
	v_dual_mov_b32 v53, 0xfeffffff :: v_dual_lshlrev_b32 v12, 2, v25
	v_lshl_add_u32 v5, v10, 5, v25
	v_mov_b32_e32 v17, 32
	s_delay_alu instid0(VALU_DEP_4)
	v_lshl_add_u32 v7, v10, 3, v0
	s_waitcnt lgkmcnt(0)
	s_ashr_i32 s35, s6, 2
	s_mul_i32 s5, s33, s5
	s_mul_hi_u32 s6, s33, s4
	s_ashr_i32 s42, s12, 2
	s_mul_i32 s12, s10, s4
	s_add_i32 s5, s6, s5
	s_mul_i32 s4, s33, s4
	s_add_i32 s5, s5, s12
	s_add_u32 s4, s18, s4
	s_addc_u32 s5, s19, s5
	s_xor_b32 s6, s26, s9
	s_sub_i32 s9, s15, s27
	s_add_i32 s12, s3, 1
	s_sub_i32 s15, s9, s8
	s_cmp_ge_u32 s9, s8
	s_mul_i32 s10, s10, s16
	s_cselect_b32 s3, s12, s3
	s_cselect_b32 s9, s15, s9
	s_add_i32 s12, s3, 1
	s_cmp_ge_u32 s9, s8
	s_mul_i32 s8, s33, s17
	s_cselect_b32 s3, s12, s3
	s_mul_hi_u32 s9, s33, s16
	s_xor_b32 s3, s3, s6
	v_and_b32_e32 v18, 12, v12
	s_sub_i32 s3, s3, s6
	s_mul_i32 s12, s33, s16
	s_mul_i32 s6, s3, s13
	;; [unrolled: 1-line block ×3, first 2 shown]
	s_ashr_i32 s13, s6, 31
	s_add_u32 s43, s4, s6
	s_addc_u32 s44, s5, s13
	s_add_i32 s4, s9, s8
	v_mul_lo_u32 v0, s42, v7
	s_add_i32 s4, s4, s10
	v_mul_lo_u32 v2, s42, v5
	v_mul_lo_u32 v4, s35, v5
	;; [unrolled: 1-line block ×3, first 2 shown]
	s_add_u32 s5, s20, s12
	s_addc_u32 s4, s21, s4
	s_ashr_i32 s6, s3, 31
	s_add_u32 s45, s5, s3
	v_mul_u32_u24_e32 v1, 0x60, v7
	v_dual_mov_b32 v28, 0 :: v_dual_lshlrev_b32 v13, 2, v18
	v_cmp_gt_u32_e64 s3, 32, v7
	v_mul_u32_u24_e32 v7, 0x50, v7
	s_movk_i32 s5, 0x2440
	v_cmp_gt_u32_e32 vcc_lo, 32, v5
	v_mad_u32_u24 v38, 0x60, v5, s5
	s_movk_i32 s5, 0x50
	v_add3_u32 v37, v1, v13, 0x2400
	v_ashrrev_i32_e32 v1, 31, v0
	v_ashrrev_i32_e32 v3, 31, v2
	v_lshl_add_u32 v39, v10, 9, 0x1400
	v_dual_mov_b32 v29, 0 :: v_dual_lshlrev_b32 v14, 4, v25
	v_mad_u32_u24 v40, v5, s5, 0x2440
	v_ashrrev_i32_e32 v5, 31, v4
	v_add3_u32 v41, v7, v13, 0x2400
	v_ashrrev_i32_e32 v7, 31, v6
	v_mad_u64_u32 v[8:9], null, v11, s11, v[25:26]
	v_mul_u32_u24_e32 v36, 0x280, v10
	v_dual_mov_b32 v31, 0 :: v_dual_add_nc_u32 v42, 0x2400, v12
	v_lshlrev_b64 v[9:10], 2, v[2:3]
	v_lshlrev_b64 v[11:12], 2, v[0:1]
	v_dual_mov_b32 v30, 0 :: v_dual_add_nc_u32 v43, v39, v14
	v_lshlrev_b64 v[13:14], 2, v[4:5]
	v_lshlrev_b64 v[15:16], 2, v[6:7]
	v_mul_u32_u24_e32 v35, 0x60, v25
	v_dual_mov_b32 v33, 0 :: v_dual_lshlrev_b32 v44, 2, v18
	v_xor_b32_e32 v23, 16, v19
	v_xor_b32_e32 v22, 8, v19
	v_xor_b32_e32 v21, 4, v19
	v_xor_b32_e32 v20, 2, v19
	v_xor_b32_e32 v18, 1, v19
	v_dual_mov_b32 v32, 0 :: v_dual_mov_b32 v27, 0
	v_dual_mov_b32 v34, 0 :: v_dual_mov_b32 v55, 0xfeffffff
	;; [unrolled: 1-line block ×8, first 2 shown]
	v_mov_b32_e32 v48, 0
	v_mov_b32_e32 v46, 0
	s_addc_u32 s46, s4, s6
	s_add_u32 s26, s0, 0xd0
	s_addc_u32 s27, s1, 0
.LBB0_11:                               ; =>This Inner Loop Header: Depth=1
	s_mul_hi_i32 s5, s23, s42
	s_mul_i32 s4, s23, s42
	s_delay_alu instid0(SALU_CYCLE_1) | instskip(NEXT) | instid1(SALU_CYCLE_1)
	s_lshl_b64 s[6:7], s[4:5], 2
	s_add_u32 s5, s43, s6
	s_addc_u32 s6, s44, s7
	s_and_saveexec_b32 s7, vcc_lo
	s_cbranch_execz .LBB0_13
; %bb.12:                               ;   in Loop: Header=BB0_11 Depth=1
	v_add_co_u32 v0, s4, s5, v9
	s_delay_alu instid0(VALU_DEP_1)
	v_add_co_ci_u32_e64 v1, s4, s6, v10, s4
	global_load_b128 v[0:3], v[0:1], off offset:64
	s_waitcnt vmcnt(0)
	ds_store_b128 v38, v[0:3]
.LBB0_13:                               ;   in Loop: Header=BB0_11 Depth=1
	s_or_b32 exec_lo, exec_lo, s7
	s_and_saveexec_b32 s7, s3
	s_cbranch_execz .LBB0_15
; %bb.14:                               ;   in Loop: Header=BB0_11 Depth=1
	v_add_co_u32 v0, s4, s5, v11
	s_delay_alu instid0(VALU_DEP_1) | instskip(NEXT) | instid1(VALU_DEP_2)
	v_add_co_ci_u32_e64 v1, s4, s6, v12, s4
	v_add_co_u32 v0, s4, v0, v44
	s_delay_alu instid0(VALU_DEP_1)
	v_add_co_ci_u32_e64 v1, s4, 0, v1, s4
	global_load_b128 v[0:3], v[0:1], off
	s_waitcnt vmcnt(0)
	ds_store_b128 v37, v[0:3]
.LBB0_15:                               ;   in Loop: Header=BB0_11 Depth=1
	s_or_b32 exec_lo, exec_lo, s7
	s_waitcnt lgkmcnt(0)
	s_barrier
	buffer_gl0_inv
	ds_load_b128 v[61:64], v35 offset:9216
	ds_load_b128 v[65:68], v36
	ds_load_b128 v[69:72], v36 offset:80
	ds_load_b128 v[73:76], v36 offset:160
	;; [unrolled: 1-line block ×7, first 2 shown]
	v_dual_mov_b32 v0, 0 :: v_dual_mov_b32 v1, 0
	v_dual_mov_b32 v2, 0 :: v_dual_mov_b32 v3, 0
	;; [unrolled: 1-line block ×4, first 2 shown]
	s_mul_hi_i32 s37, s23, s35
	s_waitcnt lgkmcnt(7)
	;;#ASMSTART
	v_dot2_f32_f16 v0, v61, v65, v0
	;;#ASMEND
	;;#ASMSTART
	v_dot2_f32_f16 v0, v62, v66, v0
	;;#ASMEND
	;;#ASMSTART
	v_dot2_f32_f16 v0, v63, v67, v0
	;;#ASMEND
	;;#ASMSTART
	v_dot2_f32_f16 v0, v64, v68, v0
	;;#ASMEND
	s_waitcnt lgkmcnt(6)
	;;#ASMSTART
	v_dot2_f32_f16 v1, v61, v69, v1
	;;#ASMEND
	;;#ASMSTART
	v_dot2_f32_f16 v1, v62, v70, v1
	;;#ASMEND
	;;#ASMSTART
	v_dot2_f32_f16 v1, v63, v71, v1
	;;#ASMEND
	;;#ASMSTART
	v_dot2_f32_f16 v1, v64, v72, v1
	;;#ASMEND
	;; [unrolled: 13-line block ×8, first 2 shown]
	ds_load_b128 v[61:64], v35 offset:9232
	ds_load_b128 v[65:68], v36 offset:16
	;; [unrolled: 1-line block ×9, first 2 shown]
	s_mul_i32 s36, s23, s35
	s_waitcnt lgkmcnt(7)
	;;#ASMSTART
	v_dot2_f32_f16 v0, v61, v65, v0
	;;#ASMEND
	;;#ASMSTART
	v_dot2_f32_f16 v0, v62, v66, v0
	;;#ASMEND
	;;#ASMSTART
	v_dot2_f32_f16 v0, v63, v67, v0
	;;#ASMEND
	;;#ASMSTART
	v_dot2_f32_f16 v0, v64, v68, v0
	;;#ASMEND
	s_waitcnt lgkmcnt(6)
	;;#ASMSTART
	v_dot2_f32_f16 v1, v61, v69, v1
	;;#ASMEND
	;;#ASMSTART
	v_dot2_f32_f16 v1, v62, v70, v1
	;;#ASMEND
	;;#ASMSTART
	v_dot2_f32_f16 v1, v63, v71, v1
	;;#ASMEND
	;;#ASMSTART
	v_dot2_f32_f16 v1, v64, v72, v1
	;;#ASMEND
	;; [unrolled: 13-line block ×8, first 2 shown]
	ds_load_b128 v[61:64], v35 offset:9248
	ds_load_b128 v[65:68], v36 offset:32
	;; [unrolled: 1-line block ×9, first 2 shown]
	s_waitcnt lgkmcnt(7)
	;;#ASMSTART
	v_dot2_f32_f16 v0, v61, v65, v0
	;;#ASMEND
	;;#ASMSTART
	v_dot2_f32_f16 v0, v62, v66, v0
	;;#ASMEND
	;;#ASMSTART
	v_dot2_f32_f16 v0, v63, v67, v0
	;;#ASMEND
	;;#ASMSTART
	v_dot2_f32_f16 v0, v64, v68, v0
	;;#ASMEND
	s_waitcnt lgkmcnt(6)
	;;#ASMSTART
	v_dot2_f32_f16 v1, v61, v69, v1
	;;#ASMEND
	;;#ASMSTART
	v_dot2_f32_f16 v1, v62, v70, v1
	;;#ASMEND
	;;#ASMSTART
	v_dot2_f32_f16 v1, v63, v71, v1
	;;#ASMEND
	;;#ASMSTART
	v_dot2_f32_f16 v1, v64, v72, v1
	;;#ASMEND
	;; [unrolled: 13-line block ×8, first 2 shown]
	ds_load_b128 v[61:64], v35 offset:9264
	ds_load_b128 v[65:68], v36 offset:48
	;; [unrolled: 1-line block ×9, first 2 shown]
	s_waitcnt lgkmcnt(7)
	;;#ASMSTART
	v_dot2_f32_f16 v0, v61, v65, v0
	;;#ASMEND
	;;#ASMSTART
	v_dot2_f32_f16 v0, v62, v66, v0
	;;#ASMEND
	;;#ASMSTART
	v_dot2_f32_f16 v0, v63, v67, v0
	;;#ASMEND
	;;#ASMSTART
	v_dot2_f32_f16 v0, v64, v68, v0
	;;#ASMEND
	s_waitcnt lgkmcnt(6)
	;;#ASMSTART
	v_dot2_f32_f16 v1, v61, v69, v1
	;;#ASMEND
	;;#ASMSTART
	v_dot2_f32_f16 v1, v62, v70, v1
	;;#ASMEND
	;;#ASMSTART
	v_dot2_f32_f16 v1, v63, v71, v1
	;;#ASMEND
	;;#ASMSTART
	v_dot2_f32_f16 v1, v64, v72, v1
	;;#ASMEND
	;; [unrolled: 13-line block ×8, first 2 shown]
	ds_load_b128 v[61:64], v35 offset:9280
	ds_load_b128 v[65:68], v36 offset:64
	;; [unrolled: 1-line block ×3, first 2 shown]
	v_add_nc_u32_e32 v81, s23, v8
	ds_load_b128 v[73:76], v36 offset:224
	ds_load_b128 v[77:80], v36 offset:304
	s_lshl_b64 s[36:37], s[36:37], 2
	v_ashrrev_i32_e32 v82, 31, v81
	s_add_u32 s36, s45, s36
	s_addc_u32 s37, s46, s37
	s_delay_alu instid0(VALU_DEP_1)
	v_lshlrev_b64 v[97:98], 1, v[81:82]
	ds_load_b128 v[81:84], v36 offset:384
	ds_load_b128 v[85:88], v36 offset:464
	ds_load_b128 v[89:92], v36 offset:544
	ds_load_b128 v[93:96], v36 offset:624
	s_waitcnt lgkmcnt(7)
	;;#ASMSTART
	v_dot2_f32_f16 v0, v61, v65, v0
	;;#ASMEND
	;;#ASMSTART
	v_dot2_f32_f16 v0, v62, v66, v0
	;;#ASMEND
	;;#ASMSTART
	v_dot2_f32_f16 v0, v63, v67, v0
	;;#ASMEND
	;;#ASMSTART
	v_dot2_f32_f16 v0, v64, v68, v0
	;;#ASMEND
	s_waitcnt lgkmcnt(6)
	;;#ASMSTART
	v_dot2_f32_f16 v1, v61, v69, v1
	;;#ASMEND
	;;#ASMSTART
	v_dot2_f32_f16 v1, v62, v70, v1
	;;#ASMEND
	;;#ASMSTART
	v_dot2_f32_f16 v1, v63, v71, v1
	;;#ASMEND
	;;#ASMSTART
	v_dot2_f32_f16 v1, v64, v72, v1
	;;#ASMEND
	;; [unrolled: 13-line block ×5, first 2 shown]
	s_waitcnt lgkmcnt(2)
	;;#ASMSTART
	v_dot2_f32_f16 v5, v61, v85, v5
	;;#ASMEND
	;;#ASMSTART
	v_dot2_f32_f16 v5, v62, v86, v5
	;;#ASMEND
	;; [unrolled: 3-line block ×3, first 2 shown]
	v_add_co_u32 v65, s4, s40, v97
	;;#ASMSTART
	v_dot2_f32_f16 v5, v64, v88, v5
	;;#ASMEND
	s_waitcnt lgkmcnt(1)
	;;#ASMSTART
	v_dot2_f32_f16 v6, v61, v89, v6
	;;#ASMEND
	;;#ASMSTART
	v_dot2_f32_f16 v6, v62, v90, v6
	;;#ASMEND
	v_add_co_ci_u32_e64 v66, s4, s41, v98, s4
	;;#ASMSTART
	v_dot2_f32_f16 v6, v63, v91, v6
	;;#ASMEND
	;;#ASMSTART
	v_dot2_f32_f16 v6, v64, v92, v6
	;;#ASMEND
	s_waitcnt lgkmcnt(0)
	;;#ASMSTART
	v_dot2_f32_f16 v7, v61, v93, v7
	;;#ASMEND
	;;#ASMSTART
	v_dot2_f32_f16 v7, v62, v94, v7
	;;#ASMEND
	;; [unrolled: 3-line block ×4, first 2 shown]
	flat_load_u16 v61, v[65:66]
	v_cmp_gt_i32_e64 s4, 32, v23
	v_dual_max_f32 v64, v53, v53 :: v_dual_max_f32 v65, v55, v55
	v_max_f32_e32 v66, v58, v58
	v_dual_max_f32 v63, v54, v54 :: v_dual_max_f32 v68, v59, v59
	s_delay_alu instid0(VALU_DEP_4) | instskip(SKIP_3) | instid1(VALU_DEP_4)
	v_cndmask_b32_e64 v62, v19, v23, s4
	v_max_f32_e32 v67, v56, v56
	v_dual_max_f32 v69, v57, v57 :: v_dual_max_f32 v70, v60, v60
	v_cmp_gt_i32_e64 s4, 32, v22
	v_lshlrev_b32_e32 v62, 2, v62
	s_waitcnt vmcnt(0) lgkmcnt(0)
	s_barrier
	buffer_gl0_inv
	v_cvt_f32_f16_e32 v61, v61
	s_delay_alu instid0(VALU_DEP_1) | instskip(SKIP_2) | instid1(VALU_DEP_3)
	v_add_f32_e32 v72, v0, v61
	v_add_f32_e32 v71, v1, v61
	;; [unrolled: 1-line block ×3, first 2 shown]
	v_dual_add_f32 v75, v5, v61 :: v_dual_add_f32 v0, 0x40051340, v72
	s_delay_alu instid0(VALU_DEP_2) | instskip(NEXT) | instid1(VALU_DEP_2)
	v_dual_add_f32 v77, v7, v61 :: v_dual_add_f32 v4, 0x40051340, v76
	v_dual_add_f32 v74, v2, v61 :: v_dual_add_f32 v5, 0x40051340, v75
	s_delay_alu instid0(VALU_DEP_3) | instskip(NEXT) | instid1(VALU_DEP_3)
	v_dual_max_f32 v0, v64, v0 :: v_dual_add_f32 v73, v3, v61
	v_dual_add_f32 v61, v6, v61 :: v_dual_max_f32 v4, v68, v4
	v_add_f32_e32 v1, 0x40051340, v71
	ds_bpermute_b32 v64, v62, v0
	v_add_f32_e32 v7, 0x40051340, v77
	v_add_f32_e32 v6, 0x40051340, v61
	v_dual_add_f32 v2, 0x40051340, v74 :: v_dual_add_f32 v3, 0x40051340, v73
	v_max_f32_e32 v5, v67, v5
	s_delay_alu instid0(VALU_DEP_3) | instskip(SKIP_1) | instid1(VALU_DEP_4)
	v_dual_max_f32 v7, v69, v7 :: v_dual_max_f32 v6, v70, v6
	v_cndmask_b32_e64 v70, v19, v22, s4
	v_dual_max_f32 v1, v63, v1 :: v_dual_max_f32 v2, v66, v2
	v_max_f32_e32 v3, v65, v3
	ds_bpermute_b32 v68, v62, v4
	v_lshlrev_b32_e32 v70, 2, v70
	ds_bpermute_b32 v63, v62, v1
	ds_bpermute_b32 v66, v62, v2
	ds_bpermute_b32 v65, v62, v3
	ds_bpermute_b32 v69, v62, v7
	v_cmp_gt_i32_e64 s4, 32, v21
	s_waitcnt lgkmcnt(5)
	v_max_f32_e32 v64, v64, v64
	ds_bpermute_b32 v67, v62, v5
	ds_bpermute_b32 v62, v62, v6
	v_max_f32_e32 v0, v0, v64
	s_waitcnt lgkmcnt(5)
	v_dual_max_f32 v68, v68, v68 :: v_dual_max_f32 v63, v63, v63
	s_waitcnt lgkmcnt(3)
	v_dual_max_f32 v66, v66, v66 :: v_dual_max_f32 v65, v65, v65
	s_waitcnt lgkmcnt(2)
	s_delay_alu instid0(VALU_DEP_2) | instskip(NEXT) | instid1(VALU_DEP_2)
	v_dual_max_f32 v69, v69, v69 :: v_dual_max_f32 v4, v4, v68
	v_dual_max_f32 v1, v1, v63 :: v_dual_max_f32 v2, v2, v66
	s_waitcnt lgkmcnt(0)
	v_dual_max_f32 v67, v67, v67 :: v_dual_max_f32 v62, v62, v62
	v_max_f32_e32 v3, v3, v65
	ds_bpermute_b32 v63, v70, v0
	v_max_f32_e32 v7, v7, v69
	v_dual_max_f32 v5, v5, v67 :: v_dual_max_f32 v6, v6, v62
	ds_bpermute_b32 v62, v70, v1
	ds_bpermute_b32 v64, v70, v3
	;; [unrolled: 1-line block ×7, first 2 shown]
	v_cndmask_b32_e64 v70, v19, v21, s4
	v_cmp_gt_i32_e64 s4, 32, v20
	s_waitcnt lgkmcnt(7)
	s_delay_alu instid0(VALU_DEP_2)
	v_dual_max_f32 v63, v63, v63 :: v_dual_lshlrev_b32 v70, 2, v70
	s_waitcnt lgkmcnt(6)
	v_max_f32_e32 v62, v62, v62
	s_waitcnt lgkmcnt(4)
	v_dual_max_f32 v64, v64, v64 :: v_dual_max_f32 v67, v67, v67
	s_waitcnt lgkmcnt(3)
	v_max_f32_e32 v66, v66, v66
	v_dual_max_f32 v0, v0, v63 :: v_dual_max_f32 v1, v1, v62
	s_waitcnt lgkmcnt(2)
	v_max_f32_e32 v65, v65, v65
	v_max_f32_e32 v3, v3, v64
	v_dual_max_f32 v5, v5, v66 :: v_dual_max_f32 v4, v4, v67
	ds_bpermute_b32 v63, v70, v0
	s_waitcnt lgkmcnt(1)
	v_dual_max_f32 v68, v68, v68 :: v_dual_max_f32 v69, v69, v69
	v_max_f32_e32 v2, v2, v65
	ds_bpermute_b32 v64, v70, v3
	ds_bpermute_b32 v67, v70, v4
	v_dual_max_f32 v7, v7, v68 :: v_dual_max_f32 v6, v6, v69
	ds_bpermute_b32 v62, v70, v1
	ds_bpermute_b32 v65, v70, v2
	;; [unrolled: 1-line block ×5, first 2 shown]
	v_cndmask_b32_e64 v70, v19, v20, s4
	v_cmp_gt_i32_e64 s4, 32, v18
	s_waitcnt lgkmcnt(7)
	s_delay_alu instid0(VALU_DEP_2) | instskip(SKIP_2) | instid1(VALU_DEP_2)
	v_dual_max_f32 v63, v63, v63 :: v_dual_lshlrev_b32 v70, 2, v70
	s_waitcnt lgkmcnt(5)
	v_dual_max_f32 v64, v64, v64 :: v_dual_max_f32 v67, v67, v67
	v_max_f32_e32 v0, v0, v63
	s_waitcnt lgkmcnt(3)
	v_dual_max_f32 v62, v62, v62 :: v_dual_max_f32 v65, v65, v65
	s_delay_alu instid0(VALU_DEP_3) | instskip(SKIP_4) | instid1(VALU_DEP_2)
	v_max_f32_e32 v3, v3, v64
	ds_bpermute_b32 v63, v70, v0
	s_waitcnt lgkmcnt(1)
	v_dual_max_f32 v66, v66, v66 :: v_dual_max_f32 v69, v69, v69
	v_dual_max_f32 v68, v68, v68 :: v_dual_max_f32 v1, v1, v62
	;; [unrolled: 1-line block ×3, first 2 shown]
	s_delay_alu instid0(VALU_DEP_2) | instskip(NEXT) | instid1(VALU_DEP_4)
	v_dual_max_f32 v4, v4, v67 :: v_dual_max_f32 v7, v7, v68
	v_max_f32_e32 v6, v6, v69
	ds_bpermute_b32 v62, v70, v1
	ds_bpermute_b32 v64, v70, v3
	;; [unrolled: 1-line block ×6, first 2 shown]
	s_waitcnt lgkmcnt(6)
	v_max_f32_e32 v63, v63, v63
	ds_bpermute_b32 v69, v70, v6
	v_cndmask_b32_e64 v70, v19, v18, s4
	s_delay_alu instid0(VALU_DEP_1)
	v_lshlrev_b32_e32 v70, 2, v70
	s_waitcnt lgkmcnt(6)
	v_max_f32_e32 v62, v62, v62
	s_waitcnt lgkmcnt(4)
	v_dual_max_f32 v64, v64, v64 :: v_dual_max_f32 v65, v65, v65
	s_waitcnt lgkmcnt(1)
	v_dual_max_f32 v67, v67, v67 :: v_dual_max_f32 v68, v68, v68
	s_delay_alu instid0(VALU_DEP_2) | instskip(NEXT) | instid1(VALU_DEP_2)
	v_dual_max_f32 v1, v1, v62 :: v_dual_max_f32 v2, v2, v65
	v_max_f32_e32 v7, v7, v68
	s_waitcnt lgkmcnt(0)
	v_dual_max_f32 v69, v69, v69 :: v_dual_max_f32 v66, v66, v66
	v_dual_max_f32 v3, v3, v64 :: v_dual_max_f32 v0, v0, v63
	ds_bpermute_b32 v65, v70, v2
	v_dual_max_f32 v4, v4, v67 :: v_dual_max_f32 v5, v5, v66
	ds_bpermute_b32 v62, v70, v1
	ds_bpermute_b32 v63, v70, v0
	v_max_f32_e32 v6, v6, v69
	ds_bpermute_b32 v64, v70, v3
	ds_bpermute_b32 v66, v70, v5
	;; [unrolled: 1-line block ×3, first 2 shown]
	s_waitcnt lgkmcnt(5)
	v_max_f32_e32 v65, v65, v65
	ds_bpermute_b32 v67, v70, v4
	s_waitcnt lgkmcnt(4)
	v_dual_max_f32 v62, v62, v62 :: v_dual_max_f32 v63, v63, v63
	ds_bpermute_b32 v69, v70, v6
	s_waitcnt lgkmcnt(1)
	v_dual_max_f32 v64, v64, v64 :: v_dual_max_f32 v67, v67, v67
	v_dual_max_f32 v68, v68, v68 :: v_dual_max_f32 v1, v1, v62
	v_max_f32_e32 v2, v2, v65
	s_waitcnt lgkmcnt(0)
	v_dual_max_f32 v69, v69, v69 :: v_dual_max_f32 v66, v66, v66
	v_dual_max_f32 v3, v3, v64 :: v_dual_max_f32 v0, v0, v63
	v_dual_max_f32 v4, v4, v67 :: v_dual_sub_f32 v63, v71, v1
	s_delay_alu instid0(VALU_DEP_3) | instskip(NEXT) | instid1(VALU_DEP_4)
	v_max_f32_e32 v5, v5, v66
	v_dual_max_f32 v7, v7, v68 :: v_dual_max_f32 v6, v6, v69
	s_delay_alu instid0(VALU_DEP_4) | instskip(SKIP_2) | instid1(VALU_DEP_4)
	v_dual_sub_f32 v69, v55, v3 :: v_dual_sub_f32 v70, v53, v0
	v_dual_sub_f32 v71, v58, v2 :: v_dual_sub_f32 v62, v72, v0
	v_sub_f32_e32 v72, v54, v1
	v_dual_sub_f32 v66, v73, v3 :: v_dual_sub_f32 v53, v60, v6
	v_sub_f32_e32 v58, v59, v4
	v_dual_sub_f32 v73, v75, v5 :: v_dual_sub_f32 v54, v57, v7
	s_delay_alu instid0(VALU_DEP_3)
	v_mul_f32_e32 v65, 0x3fb8aa3b, v66
	v_dual_mul_f32 v57, 0x3fb8aa3b, v63 :: v_dual_sub_f32 v64, v74, v2
	v_sub_f32_e32 v55, v56, v5
	v_dual_sub_f32 v59, v76, v4 :: v_dual_sub_f32 v56, v61, v6
	v_dual_sub_f32 v60, v77, v7 :: v_dual_mul_f32 v61, 0x3fb8aa3b, v62
	v_mul_f32_e32 v68, 0x3fb8aa3b, v73
	v_fma_f32 v77, 0x3fb8aa3b, v63, -v57
	v_rndne_f32_e32 v78, v57
	s_delay_alu instid0(VALU_DEP_4) | instskip(SKIP_2) | instid1(VALU_DEP_4)
	v_dual_mul_f32 v75, 0x3fb8aa3b, v60 :: v_dual_mul_f32 v74, 0x3fb8aa3b, v59
	v_fma_f32 v79, 0x3fb8aa3b, v62, -v61
	v_rndne_f32_e32 v80, v61
	v_sub_f32_e32 v57, v57, v78
	v_fma_f32 v85, 0x3fb8aa3b, v73, -v68
	v_rndne_f32_e32 v86, v68
	v_fmac_f32_e32 v77, 0x32a5705f, v63
	v_mul_f32_e32 v67, 0x3fb8aa3b, v64
	v_fma_f32 v81, 0x3fb8aa3b, v66, -v65
	v_rndne_f32_e32 v82, v65
	v_sub_f32_e32 v68, v68, v86
	v_mul_f32_e32 v76, 0x3fb8aa3b, v56
	v_rndne_f32_e32 v88, v74
	v_fmac_f32_e32 v79, 0x32a5705f, v62
	v_fmac_f32_e32 v85, 0x32a5705f, v73
	v_sub_f32_e32 v61, v61, v80
	v_add_f32_e32 v57, v57, v77
	v_fma_f32 v83, 0x3fb8aa3b, v64, -v67
	v_rndne_f32_e32 v84, v67
	v_add_f32_e32 v68, v68, v85
	v_fma_f32 v87, 0x3fb8aa3b, v59, -v74
	v_fma_f32 v89, 0x3fb8aa3b, v60, -v75
	v_rndne_f32_e32 v90, v75
	v_sub_f32_e32 v65, v65, v82
	v_fma_f32 v91, 0x3fb8aa3b, v56, -v76
	v_rndne_f32_e32 v92, v76
	v_dual_fmac_f32 v81, 0x32a5705f, v66 :: v_dual_sub_f32 v74, v74, v88
	v_add_f32_e32 v61, v61, v79
	v_exp_f32_e32 v57, v57
	s_delay_alu instid0(VALU_DEP_3)
	v_sub_f32_e32 v76, v76, v92
	v_cvt_i32_f32_e32 v78, v78
	v_fmac_f32_e32 v87, 0x32a5705f, v59
	v_fmac_f32_e32 v83, 0x32a5705f, v64
	;; [unrolled: 1-line block ×3, first 2 shown]
	v_sub_f32_e32 v75, v75, v90
	s_delay_alu instid0(VALU_DEP_4) | instskip(SKIP_3) | instid1(VALU_DEP_3)
	v_dual_fmac_f32 v91, 0x32a5705f, v56 :: v_dual_add_f32 v74, v74, v87
	v_sub_f32_e32 v67, v67, v84
	v_add_f32_e32 v65, v65, v81
	v_exp_f32_e32 v61, v61
	v_add_f32_e32 v76, v76, v91
	v_cvt_i32_f32_e32 v80, v80
	v_add_f32_e32 v67, v67, v83
	v_add_f32_e32 v75, v75, v89
	v_exp_f32_e32 v65, v65
	v_ldexp_f32 v57, v57, v78
	v_cmp_ngt_f32_e64 s20, 0xc2ce8ed0, v63
	v_cvt_i32_f32_e32 v82, v82
	v_exp_f32_e32 v67, v67
	v_exp_f32_e32 v75, v75
	v_ldexp_f32 v61, v61, v80
	v_cndmask_b32_e64 v57, 0, v57, s20
	v_cmp_ngt_f32_e64 s20, 0xc2ce8ed0, v62
	v_cvt_i32_f32_e32 v84, v84
	v_exp_f32_e32 v68, v68
	v_cvt_i32_f32_e32 v77, v90
	v_ldexp_f32 v65, v65, v82
	v_cndmask_b32_e64 v61, 0, v61, s20
	v_cmp_ngt_f32_e64 s20, 0xc2ce8ed0, v66
	v_cvt_i32_f32_e32 v86, v86
	v_exp_f32_e32 v74, v74
	v_ldexp_f32 v67, v67, v84
	v_ldexp_f32 v75, v75, v77
	v_cndmask_b32_e64 v77, 0, v65, s20
	v_cmp_ngt_f32_e64 s20, 0xc2ce8ed0, v64
	v_cvt_i32_f32_e32 v88, v88
	v_ldexp_f32 v68, v68, v86
	v_exp_f32_e32 v76, v76
	v_cvt_i32_f32_e32 v79, v92
	v_cndmask_b32_e64 v67, 0, v67, s20
	v_cmp_ngt_f32_e64 s20, 0xc2ce8ed0, v73
	v_ldexp_f32 v74, v74, v88
	v_cmp_ngt_f32_e64 s16, 0xc2ce8ed0, v70
	v_cmp_nlt_f32_e64 s13, 0x42b17218, v70
	v_cmp_ngt_f32_e64 s18, 0xc2ce8ed0, v72
	v_cndmask_b32_e64 v78, 0, v68, s20
	v_cmp_ngt_f32_e64 s20, 0xc2ce8ed0, v59
	v_ldexp_f32 v76, v76, v79
	v_cmp_nlt_f32_e64 s15, 0x42b17218, v72
	v_cmp_ngt_f32_e64 s19, 0xc2ce8ed0, v71
	v_cmp_nlt_f32_e64 s17, 0x42b17218, v71
	v_cndmask_b32_e64 v74, 0, v74, s20
	v_cmp_ngt_f32_e64 s20, 0xc2ce8ed0, v60
	v_cmp_ngt_f32_e64 s7, 0xc2ce8ed0, v69
	v_cmp_nlt_f32_e64 s4, 0x42b17218, v69
	v_cmp_ngt_f32_e64 s10, 0xc2ce8ed0, v58
	v_cmp_nlt_f32_e64 s6, 0x42b17218, v58
	v_cndmask_b32_e64 v75, 0, v75, s20
	v_cmp_ngt_f32_e64 s20, 0xc2ce8ed0, v56
	v_cmp_ngt_f32_e64 s12, 0xc2ce8ed0, v55
	v_cmp_nlt_f32_e64 s8, 0x42b17218, v55
	v_cmp_ngt_f32_e64 s9, 0xc2ce8ed0, v53
	v_cmp_nlt_f32_e64 s5, 0x42b17218, v53
	v_cndmask_b32_e64 v76, 0, v76, s20
	v_cmp_nlt_f32_e64 s20, 0x42b17218, v63
	v_cmp_ngt_f32_e64 s11, 0xc2ce8ed0, v54
	s_delay_alu instid0(VALU_DEP_2) | instskip(SKIP_1) | instid1(VALU_DEP_1)
	v_cndmask_b32_e64 v65, 0x7f800000, v57, s20
	v_cmp_nlt_f32_e64 s20, 0x42b17218, v62
	v_cndmask_b32_e64 v68, 0x7f800000, v61, s20
	v_cmp_nlt_f32_e64 s20, 0x42b17218, v66
	s_delay_alu instid0(VALU_DEP_1) | instskip(SKIP_1) | instid1(VALU_DEP_2)
	v_cndmask_b32_e64 v63, 0x7f800000, v77, s20
	v_cmp_nlt_f32_e64 s20, 0x42b17218, v64
	v_cvt_f16_f32_e32 v57, v63
	s_delay_alu instid0(VALU_DEP_2) | instskip(SKIP_1) | instid1(VALU_DEP_2)
	v_cndmask_b32_e64 v67, 0x7f800000, v67, s20
	v_cmp_nlt_f32_e64 s20, 0x42b17218, v73
	v_cvt_f16_f32_e32 v77, v67
	s_delay_alu instid0(VALU_DEP_2) | instskip(SKIP_2) | instid1(VALU_DEP_3)
	v_cndmask_b32_e64 v62, 0x7f800000, v78, s20
	v_cmp_nlt_f32_e64 s20, 0x42b17218, v59
	v_cvt_f16_f32_e32 v78, v68
	v_cvt_f16_f32_e32 v59, v62
	s_delay_alu instid0(VALU_DEP_3) | instskip(SKIP_1) | instid1(VALU_DEP_2)
	v_cndmask_b32_e64 v66, 0x7f800000, v74, s20
	v_cmp_nlt_f32_e64 s20, 0x42b17218, v60
	v_cvt_f16_f32_e32 v74, v66
	s_delay_alu instid0(VALU_DEP_2) | instskip(SKIP_2) | instid1(VALU_DEP_4)
	v_cndmask_b32_e64 v61, 0x7f800000, v75, s20
	v_cmp_nlt_f32_e64 s20, 0x42b17218, v56
	v_cvt_f16_f32_e32 v56, v65
	v_pack_b32_f16 v75, v74, v59
	s_delay_alu instid0(VALU_DEP_4) | instskip(NEXT) | instid1(VALU_DEP_4)
	v_cvt_f16_f32_e32 v60, v61
	v_cndmask_b32_e64 v64, 0x7f800000, v76, s20
	v_cmp_nlt_f32_e64 s20, 0x42b17218, v54
	v_pack_b32_f16 v74, v77, v57
	s_delay_alu instid0(VALU_DEP_3) | instskip(NEXT) | instid1(VALU_DEP_1)
	v_cvt_f16_f32_e32 v73, v64
	v_pack_b32_f16 v76, v73, v60
	v_pack_b32_f16 v73, v78, v56
	ds_store_b128 v43, v[73:76]
	s_and_saveexec_b32 s47, vcc_lo
	s_cbranch_execz .LBB0_17
; %bb.16:                               ;   in Loop: Header=BB0_11 Depth=1
	v_add_co_u32 v56, s21, s36, v13
	s_delay_alu instid0(VALU_DEP_1)
	v_add_co_ci_u32_e64 v57, s21, s37, v14, s21
	global_load_b128 v[73:76], v[56:57], off offset:64
	s_waitcnt vmcnt(0)
	ds_store_b128 v40, v[73:76]
.LBB0_17:                               ;   in Loop: Header=BB0_11 Depth=1
	s_or_b32 exec_lo, exec_lo, s47
	s_and_saveexec_b32 s47, s3
	s_cbranch_execz .LBB0_19
; %bb.18:                               ;   in Loop: Header=BB0_11 Depth=1
	v_add_co_u32 v56, s21, s36, v15
	s_delay_alu instid0(VALU_DEP_1) | instskip(NEXT) | instid1(VALU_DEP_2)
	v_add_co_ci_u32_e64 v57, s21, s37, v16, s21
	v_add_co_u32 v56, s21, v56, v44
	s_delay_alu instid0(VALU_DEP_1)
	v_add_co_ci_u32_e64 v57, s21, 0, v57, s21
	global_load_b128 v[73:76], v[56:57], off
	s_waitcnt vmcnt(0)
	ds_store_b128 v41, v[73:76]
.LBB0_19:                               ;   in Loop: Header=BB0_11 Depth=1
	s_or_b32 exec_lo, exec_lo, s47
	v_dual_mul_f32 v56, 0x3fb8aa3b, v70 :: v_dual_mul_f32 v57, 0x3fb8aa3b, v72
	s_waitcnt lgkmcnt(0)
	s_barrier
	buffer_gl0_inv
	v_fma_f32 v60, 0x3fb8aa3b, v70, -v56
	v_rndne_f32_e32 v73, v56
	v_mul_f32_e32 v59, 0x3fb8aa3b, v71
	v_fma_f32 v74, 0x3fb8aa3b, v72, -v57
	v_rndne_f32_e32 v75, v57
	v_fmac_f32_e32 v60, 0x32a5705f, v70
	v_sub_f32_e32 v56, v56, v73
	v_fma_f32 v76, 0x3fb8aa3b, v71, -v59
	v_rndne_f32_e32 v77, v59
	v_dual_sub_f32 v57, v57, v75 :: v_dual_fmac_f32 v74, 0x32a5705f, v72
	s_delay_alu instid0(VALU_DEP_4) | instskip(SKIP_1) | instid1(VALU_DEP_4)
	v_add_f32_e32 v56, v56, v60
	v_cvt_i32_f32_e32 v72, v75
	v_dual_sub_f32 v59, v59, v77 :: v_dual_fmac_f32 v76, 0x32a5705f, v71
	s_delay_alu instid0(VALU_DEP_4) | instskip(SKIP_2) | instid1(VALU_DEP_4)
	v_dual_add_f32 v57, v57, v74 :: v_dual_mul_f32 v60, 0x3fb8aa3b, v69
	v_cvt_i32_f32_e32 v71, v73
	v_cvt_i32_f32_e32 v73, v77
	v_add_f32_e32 v59, v59, v76
	s_delay_alu instid0(VALU_DEP_4) | instskip(SKIP_2) | instid1(VALU_DEP_3)
	v_exp_f32_e32 v57, v57
	v_fma_f32 v75, 0x3fb8aa3b, v69, -v60
	v_mul_f32_e32 v74, 0x3fb8aa3b, v55
	v_exp_f32_e32 v59, v59
	s_delay_alu instid0(VALU_DEP_2) | instskip(SKIP_2) | instid1(TRANS32_DEP_3)
	v_fmac_f32_e32 v75, 0x32a5705f, v69
	v_mul_f32_e32 v69, 0x3fb8aa3b, v54
	v_exp_f32_e32 v56, v56
	v_ldexp_f32 v57, v57, v72
	s_waitcnt_depctr 0xfff
	v_ldexp_f32 v59, v59, v73
	v_cndmask_b32_e64 v57, 0, v57, s18
	v_ldexp_f32 v56, v56, v71
	s_delay_alu instid0(VALU_DEP_3) | instskip(NEXT) | instid1(VALU_DEP_3)
	v_cndmask_b32_e64 v59, 0, v59, s19
	v_cndmask_b32_e64 v57, 0x7f800000, v57, s15
	v_mul_f32_e32 v70, 0x3fb8aa3b, v58
	v_rndne_f32_e32 v71, v60
	v_cndmask_b32_e64 v56, 0, v56, s16
	v_cndmask_b32_e64 v59, 0x7f800000, v59, s17
	v_fmac_f32_e32 v65, v51, v57
	v_fma_f32 v72, 0x3fb8aa3b, v58, -v70
	v_rndne_f32_e32 v73, v70
	v_cndmask_b32_e64 v56, 0x7f800000, v56, s13
	v_fmac_f32_e32 v67, v52, v59
	v_fma_f32 v52, 0x3fb8aa3b, v55, -v74
	v_fmac_f32_e32 v72, 0x32a5705f, v58
	v_rndne_f32_e32 v58, v74
	v_sub_f32_e32 v60, v60, v71
	s_delay_alu instid0(VALU_DEP_2) | instskip(NEXT) | instid1(VALU_DEP_2)
	v_dual_fmac_f32 v52, 0x32a5705f, v55 :: v_dual_sub_f32 v55, v74, v58
	v_dual_fmac_f32 v68, v50, v56 :: v_dual_add_f32 v51, v60, v75
	v_mul_f32_e32 v60, 0x3fb8aa3b, v53
	v_sub_f32_e32 v50, v70, v73
	s_delay_alu instid0(VALU_DEP_4)
	v_add_f32_e32 v52, v55, v52
	v_cvt_i32_f32_e32 v55, v71
	v_exp_f32_e32 v51, v51
	v_fma_f32 v70, 0x3fb8aa3b, v53, -v60
	v_fma_f32 v74, 0x3fb8aa3b, v54, -v69
	v_rndne_f32_e32 v75, v69
	v_exp_f32_e32 v52, v52
	v_cvt_i32_f32_e32 v58, v58
	v_fmac_f32_e32 v70, 0x32a5705f, v53
	v_fmac_f32_e32 v74, 0x32a5705f, v54
	v_sub_f32_e32 v54, v69, v75
	s_delay_alu instid0(TRANS32_DEP_2) | instskip(NEXT) | instid1(VALU_DEP_2)
	v_ldexp_f32 v51, v51, v55
	v_add_f32_e32 v54, v54, v74
	s_delay_alu instid0(TRANS32_DEP_1) | instskip(NEXT) | instid1(VALU_DEP_3)
	v_ldexp_f32 v52, v52, v58
	v_cndmask_b32_e64 v51, 0, v51, s7
	v_cvt_i32_f32_e32 v58, v75
	s_delay_alu instid0(VALU_DEP_4) | instskip(NEXT) | instid1(VALU_DEP_3)
	v_exp_f32_e32 v54, v54
	v_cndmask_b32_e64 v52, 0, v52, s12
	s_delay_alu instid0(VALU_DEP_3) | instskip(SKIP_2) | instid1(VALU_DEP_3)
	v_cndmask_b32_e64 v51, 0x7f800000, v51, s4
	v_add_f32_e32 v50, v50, v72
	v_rndne_f32_e32 v72, v60
	v_fmac_f32_e32 v63, v47, v51
	s_delay_alu instid0(VALU_DEP_3) | instskip(NEXT) | instid1(VALU_DEP_2)
	v_exp_f32_e32 v50, v50
	v_sub_f32_e32 v53, v60, v72
	v_cvt_i32_f32_e32 v60, v73
	v_cvt_i32_f32_e32 v55, v72
	v_ldexp_f32 v54, v54, v58
	s_delay_alu instid0(VALU_DEP_4)
	v_add_f32_e32 v53, v53, v70
	s_waitcnt_depctr 0xfff
	v_ldexp_f32 v50, v50, v60
	v_exp_f32_e32 v53, v53
	v_cndmask_b32_e64 v60, 0x7f800000, v52, s8
	v_cndmask_b32_e64 v52, 0, v54, s11
	v_cvt_f16_f32_e32 v54, v59
	v_cndmask_b32_e64 v50, 0, v50, s10
	s_delay_alu instid0(VALU_DEP_4) | instskip(NEXT) | instid1(VALU_DEP_4)
	v_fmac_f32_e32 v62, v49, v60
	v_cndmask_b32_e64 v70, 0x7f800000, v52, s20
	v_cvt_f16_f32_e32 v52, v56
	s_delay_alu instid0(VALU_DEP_4) | instskip(NEXT) | instid1(TRANS32_DEP_1)
	v_cndmask_b32_e64 v58, 0x7f800000, v50, s6
	v_ldexp_f32 v53, v53, v55
	v_pk_mul_f16 v59, v54, v33 op_sel_hi:[0,1]
	v_fmac_f32_e32 v61, v46, v70
	s_delay_alu instid0(VALU_DEP_4) | instskip(NEXT) | instid1(VALU_DEP_4)
	v_fmac_f32_e32 v66, v48, v58
	v_cndmask_b32_e64 v50, 0, v53, s9
	v_cvt_f16_f32_e32 v53, v57
	v_cvt_f16_f32_e32 v33, v58
	;; [unrolled: 1-line block ×3, first 2 shown]
	s_delay_alu instid0(VALU_DEP_4)
	v_cndmask_b32_e64 v69, 0x7f800000, v50, s5
	ds_load_2addr_b32 v[55:56], v42 offset1:20
	ds_load_b128 v[47:50], v39
	v_pk_mul_f16 v46, v53, v34 op_sel_hi:[0,1]
	v_cvt_f16_f32_e32 v34, v60
	v_pk_mul_f16 v72, v58, v28 op_sel_hi:[0,1]
	v_fmac_f32_e32 v64, v45, v69
	v_pk_mul_f16 v45, v52, v27 op_sel_hi:[0,1]
	v_cvt_f16_f32_e32 v27, v51
	ds_load_b128 v[51:54], v39 offset:16
	v_cvt_f16_f32_e32 v57, v69
	v_pk_mul_f16 v69, v33, v31 op_sel_hi:[0,1]
	v_pk_mul_f16 v70, v34, v30 op_sel_hi:[0,1]
	;; [unrolled: 1-line block ×3, first 2 shown]
	s_delay_alu instid0(VALU_DEP_4)
	v_pk_mul_f16 v71, v57, v29 op_sel_hi:[0,1]
	ds_load_2addr_b32 v[57:58], v42 offset0:40 offset1:60
	ds_load_b128 v[27:30], v39 offset:32
	ds_load_b128 v[31:34], v39 offset:48
	s_waitcnt lgkmcnt(4)
	v_pk_fma_f16 v45, v55, v47, v45 op_sel_hi:[1,0,1]
	v_pk_fma_f16 v46, v55, v47, v46 op_sel:[0,1,0]
	v_pk_fma_f16 v47, v55, v48, v59 op_sel_hi:[1,0,1]
	v_pk_fma_f16 v48, v55, v48, v60 op_sel:[0,1,0]
	;; [unrolled: 2-line block ×4, first 2 shown]
	s_waitcnt lgkmcnt(3)
	v_pk_fma_f16 v55, v56, v51, v45 op_sel_hi:[1,0,1]
	v_pk_fma_f16 v51, v56, v51, v46 op_sel:[0,1,0]
	v_pk_fma_f16 v69, v56, v52, v47 op_sel_hi:[1,0,1]
	v_pk_fma_f16 v52, v56, v52, v48 op_sel:[0,1,0]
	v_pk_fma_f16 v59, v56, v53, v59 op_sel_hi:[1,0,1]
	v_pk_fma_f16 v53, v56, v53, v49 op_sel:[0,1,0]
	v_pk_fma_f16 v60, v56, v54, v60 op_sel_hi:[1,0,1]
	v_pk_fma_f16 v54, v56, v54, v50 op_sel:[0,1,0]
	ds_load_2addr_b32 v[49:50], v42 offset0:80 offset1:100
	ds_load_b128 v[45:48], v39 offset:64
	s_waitcnt lgkmcnt(3)
	v_pk_fma_f16 v55, v57, v27, v55 op_sel_hi:[1,0,1]
	v_pk_fma_f16 v51, v57, v27, v51 op_sel:[0,1,0]
	v_pk_fma_f16 v56, v57, v28, v69 op_sel_hi:[1,0,1]
	v_pk_fma_f16 v52, v57, v28, v52 op_sel:[0,1,0]
	v_pk_fma_f16 v59, v57, v29, v59 op_sel_hi:[1,0,1]
	v_pk_fma_f16 v53, v57, v29, v53 op_sel:[0,1,0]
	v_pk_fma_f16 v60, v57, v30, v60 op_sel_hi:[1,0,1]
	v_pk_fma_f16 v54, v57, v30, v54 op_sel:[0,1,0]
	ds_load_b128 v[27:30], v39 offset:80
	s_waitcnt lgkmcnt(3)
	v_pk_fma_f16 v55, v58, v31, v55 op_sel_hi:[1,0,1]
	v_pk_fma_f16 v51, v58, v31, v51 op_sel:[0,1,0]
	v_pk_fma_f16 v56, v58, v32, v56 op_sel_hi:[1,0,1]
	v_pk_fma_f16 v57, v58, v32, v52 op_sel:[0,1,0]
	v_pk_fma_f16 v59, v58, v33, v59 op_sel_hi:[1,0,1]
	v_pk_fma_f16 v69, v58, v33, v53 op_sel:[0,1,0]
	v_pk_fma_f16 v60, v58, v34, v60 op_sel_hi:[1,0,1]
	v_pk_fma_f16 v54, v58, v34, v54 op_sel:[0,1,0]
	ds_load_2addr_b32 v[52:53], v42 offset0:120 offset1:140
	ds_load_b128 v[31:34], v39 offset:96
	s_waitcnt lgkmcnt(3)
	v_pk_fma_f16 v55, v49, v45, v55 op_sel_hi:[1,0,1]
	v_pk_fma_f16 v51, v49, v45, v51 op_sel:[0,1,0]
	v_pk_fma_f16 v56, v49, v46, v56 op_sel_hi:[1,0,1]
	v_pk_fma_f16 v57, v49, v46, v57 op_sel:[0,1,0]
	v_pk_fma_f16 v58, v49, v47, v59 op_sel_hi:[1,0,1]
	v_pk_fma_f16 v59, v49, v47, v69 op_sel:[0,1,0]
	v_pk_fma_f16 v60, v49, v48, v60 op_sel_hi:[1,0,1]
	v_pk_fma_f16 v49, v49, v48, v54 op_sel:[0,1,0]
	ds_load_b128 v[45:48], v39 offset:112
	;; [unrolled: 21-line block ×3, first 2 shown]
	s_waitcnt lgkmcnt(3)
	v_pk_fma_f16 v70, v53, v45, v50 op_sel_hi:[1,0,1]
	v_pk_fma_f16 v45, v53, v45, v51 op_sel:[0,1,0]
	v_pk_fma_f16 v71, v53, v46, v56 op_sel_hi:[1,0,1]
	v_pk_fma_f16 v46, v53, v46, v57 op_sel:[0,1,0]
	ds_load_2addr_b32 v[56:57], v42 offset0:200 offset1:220
	ds_load_b128 v[49:52], v39 offset:160
	v_pk_fma_f16 v58, v53, v47, v58 op_sel_hi:[1,0,1]
	v_pk_fma_f16 v47, v53, v47, v59 op_sel:[0,1,0]
	v_pk_fma_f16 v59, v53, v48, v60 op_sel_hi:[1,0,1]
	v_pk_fma_f16 v48, v53, v48, v69 op_sel:[0,1,0]
	s_waitcnt lgkmcnt(3)
	v_pk_fma_f16 v53, v54, v27, v70 op_sel_hi:[1,0,1]
	v_pk_fma_f16 v45, v54, v27, v45 op_sel:[0,1,0]
	v_pk_fma_f16 v60, v54, v28, v71 op_sel_hi:[1,0,1]
	v_pk_fma_f16 v46, v54, v28, v46 op_sel:[0,1,0]
	;; [unrolled: 2-line block ×4, first 2 shown]
	ds_load_b128 v[27:30], v39 offset:176
	s_waitcnt lgkmcnt(3)
	v_pk_fma_f16 v53, v55, v31, v53 op_sel_hi:[1,0,1]
	v_pk_fma_f16 v45, v55, v31, v45 op_sel:[0,1,0]
	v_add_nc_u32_e32 v31, 0x200, v42
	v_pk_fma_f16 v60, v55, v32, v60 op_sel_hi:[1,0,1]
	v_pk_fma_f16 v46, v55, v32, v46 op_sel:[0,1,0]
	v_pk_fma_f16 v58, v55, v33, v58 op_sel_hi:[1,0,1]
	v_pk_fma_f16 v47, v55, v33, v47 op_sel:[0,1,0]
	;; [unrolled: 2-line block ×3, first 2 shown]
	s_waitcnt lgkmcnt(1)
	v_pk_fma_f16 v55, v56, v49, v53 op_sel_hi:[1,0,1]
	ds_load_2addr_b32 v[53:54], v31 offset0:112 offset1:132
	ds_load_b128 v[31:34], v39 offset:192
	v_pk_fma_f16 v49, v56, v49, v45 op_sel:[0,1,0]
	v_pk_fma_f16 v60, v56, v50, v60 op_sel_hi:[1,0,1]
	v_pk_fma_f16 v50, v56, v50, v46 op_sel:[0,1,0]
	v_pk_fma_f16 v58, v56, v51, v58 op_sel_hi:[1,0,1]
	;; [unrolled: 2-line block ×3, first 2 shown]
	v_pk_fma_f16 v52, v56, v52, v48 op_sel:[0,1,0]
	ds_load_b128 v[45:48], v39 offset:208
	v_add_nc_u32_e32 v70, 0x400, v42
	s_waitcnt lgkmcnt(3)
	v_pk_fma_f16 v55, v57, v27, v55 op_sel_hi:[1,0,1]
	v_pk_fma_f16 v56, v57, v27, v49 op_sel:[0,1,0]
	v_pk_fma_f16 v60, v57, v28, v60 op_sel_hi:[1,0,1]
	v_pk_fma_f16 v69, v57, v28, v50 op_sel:[0,1,0]
	v_pk_fma_f16 v58, v57, v29, v58 op_sel_hi:[1,0,1]
	v_pk_fma_f16 v51, v57, v29, v51 op_sel:[0,1,0]
	v_pk_fma_f16 v59, v57, v30, v59 op_sel_hi:[1,0,1]
	v_pk_fma_f16 v52, v57, v30, v52 op_sel:[0,1,0]
	ds_load_2addr_b32 v[49:50], v70 offset0:24 offset1:44
	ds_load_b128 v[27:30], v39 offset:224
	s_waitcnt lgkmcnt(3)
	v_pk_fma_f16 v55, v53, v31, v55 op_sel_hi:[1,0,1]
	v_pk_fma_f16 v56, v53, v31, v56 op_sel:[0,1,0]
	v_pk_fma_f16 v57, v53, v32, v60 op_sel_hi:[1,0,1]
	v_pk_fma_f16 v60, v53, v32, v69 op_sel:[0,1,0]
	v_pk_fma_f16 v58, v53, v33, v58 op_sel_hi:[1,0,1]
	v_pk_fma_f16 v51, v53, v33, v51 op_sel:[0,1,0]
	v_pk_fma_f16 v59, v53, v34, v59 op_sel_hi:[1,0,1]
	v_pk_fma_f16 v52, v53, v34, v52 op_sel:[0,1,0]
	ds_load_b128 v[31:34], v39 offset:240
	s_waitcnt lgkmcnt(3)
	v_pk_fma_f16 v53, v54, v45, v55 op_sel_hi:[1,0,1]
	v_pk_fma_f16 v55, v54, v45, v56 op_sel:[0,1,0]
	v_pk_fma_f16 v56, v54, v46, v57 op_sel_hi:[1,0,1]
	v_pk_fma_f16 v57, v54, v46, v60 op_sel:[0,1,0]
	v_pk_fma_f16 v58, v54, v47, v58 op_sel_hi:[1,0,1]
	v_pk_fma_f16 v60, v54, v47, v51 op_sel:[0,1,0]
	v_pk_fma_f16 v59, v54, v48, v59 op_sel_hi:[1,0,1]
	v_pk_fma_f16 v54, v54, v48, v52 op_sel:[0,1,0]
	ds_load_2addr_b32 v[51:52], v70 offset0:64 offset1:84
	ds_load_b128 v[45:48], v39 offset:256
	s_waitcnt lgkmcnt(3)
	v_pk_fma_f16 v53, v49, v27, v53 op_sel_hi:[1,0,1]
	v_pk_fma_f16 v55, v49, v27, v55 op_sel:[0,1,0]
	v_pk_fma_f16 v56, v49, v28, v56 op_sel_hi:[1,0,1]
	v_pk_fma_f16 v57, v49, v28, v57 op_sel:[0,1,0]
	v_pk_fma_f16 v58, v49, v29, v58 op_sel_hi:[1,0,1]
	v_pk_fma_f16 v60, v49, v29, v60 op_sel:[0,1,0]
	v_pk_fma_f16 v59, v49, v30, v59 op_sel_hi:[1,0,1]
	v_pk_fma_f16 v49, v49, v30, v54 op_sel:[0,1,0]
	ds_load_b128 v[27:30], v39 offset:272
	;; [unrolled: 21-line block ×4, first 2 shown]
	s_waitcnt lgkmcnt(3)
	v_pk_fma_f16 v69, v54, v45, v50 op_sel_hi:[1,0,1]
	v_pk_fma_f16 v45, v54, v45, v51 op_sel:[0,1,0]
	v_pk_fma_f16 v71, v54, v46, v52 op_sel_hi:[1,0,1]
	v_pk_fma_f16 v46, v54, v46, v57 op_sel:[0,1,0]
	v_pk_fma_f16 v72, v54, v47, v58 op_sel_hi:[1,0,1]
	ds_load_2addr_b32 v[57:58], v70 offset0:184 offset1:204
	ds_load_b128 v[49:52], v39 offset:352
	v_pk_fma_f16 v47, v54, v47, v60 op_sel:[0,1,0]
	v_pk_fma_f16 v59, v54, v48, v59 op_sel_hi:[1,0,1]
	v_pk_fma_f16 v53, v54, v48, v53 op_sel:[0,1,0]
	s_waitcnt lgkmcnt(3)
	v_pk_fma_f16 v54, v55, v27, v69 op_sel_hi:[1,0,1]
	v_pk_fma_f16 v27, v55, v27, v45 op_sel:[0,1,0]
	v_pk_fma_f16 v60, v55, v28, v71 op_sel_hi:[1,0,1]
	v_pk_fma_f16 v28, v55, v28, v46 op_sel:[0,1,0]
	;; [unrolled: 2-line block ×3, first 2 shown]
	v_pk_fma_f16 v59, v55, v30, v59 op_sel_hi:[1,0,1]
	ds_load_b128 v[45:48], v39 offset:368
	v_pk_fma_f16 v30, v55, v30, v53 op_sel:[0,1,0]
	s_waitcnt lgkmcnt(3)
	v_pk_fma_f16 v53, v56, v31, v54 op_sel_hi:[1,0,1]
	v_pk_fma_f16 v31, v56, v31, v27 op_sel:[0,1,0]
	v_pk_fma_f16 v55, v56, v32, v60 op_sel_hi:[1,0,1]
	v_pk_fma_f16 v32, v56, v32, v28 op_sel:[0,1,0]
	;; [unrolled: 2-line block ×4, first 2 shown]
	s_waitcnt lgkmcnt(1)
	v_pk_fma_f16 v56, v57, v49, v53 op_sel_hi:[1,0,1]
	ds_load_2addr_b32 v[53:54], v70 offset0:224 offset1:244
	ds_load_b128 v[27:30], v39 offset:384
	v_pk_fma_f16 v49, v57, v49, v31 op_sel:[0,1,0]
	v_pk_fma_f16 v55, v57, v50, v55 op_sel_hi:[1,0,1]
	v_pk_fma_f16 v50, v57, v50, v32 op_sel:[0,1,0]
	v_pk_fma_f16 v60, v57, v51, v60 op_sel_hi:[1,0,1]
	;; [unrolled: 2-line block ×3, first 2 shown]
	v_pk_fma_f16 v52, v57, v52, v34 op_sel:[0,1,0]
	ds_load_b128 v[31:34], v39 offset:400
	v_add_nc_u32_e32 v70, 0x800, v42
	s_waitcnt lgkmcnt(3)
	v_pk_fma_f16 v57, v58, v45, v56 op_sel_hi:[1,0,1]
	v_pk_fma_f16 v49, v58, v45, v49 op_sel:[0,1,0]
	v_pk_fma_f16 v69, v58, v46, v55 op_sel_hi:[1,0,1]
	v_pk_fma_f16 v50, v58, v46, v50 op_sel:[0,1,0]
	;; [unrolled: 2-line block ×4, first 2 shown]
	ds_load_2addr_b32 v[55:56], v70 offset0:8 offset1:28
	ds_load_b128 v[45:48], v39 offset:416
	s_waitcnt lgkmcnt(3)
	v_pk_fma_f16 v57, v53, v27, v57 op_sel_hi:[1,0,1]
	v_pk_fma_f16 v49, v53, v27, v49 op_sel:[0,1,0]
	v_pk_fma_f16 v58, v53, v28, v69 op_sel_hi:[1,0,1]
	v_pk_fma_f16 v50, v53, v28, v50 op_sel:[0,1,0]
	;; [unrolled: 2-line block ×4, first 2 shown]
	ds_load_b128 v[27:30], v39 offset:432
	s_waitcnt lgkmcnt(3)
	v_pk_fma_f16 v69, v54, v31, v57 op_sel_hi:[1,0,1]
	v_pk_fma_f16 v31, v54, v31, v49 op_sel:[0,1,0]
	v_pk_fma_f16 v71, v54, v32, v58 op_sel_hi:[1,0,1]
	v_pk_fma_f16 v32, v54, v32, v50 op_sel:[0,1,0]
	;; [unrolled: 2-line block ×3, first 2 shown]
	ds_load_2addr_b32 v[57:58], v70 offset0:48 offset1:68
	ds_load_b128 v[49:52], v39 offset:448
	v_pk_fma_f16 v59, v54, v34, v59 op_sel_hi:[1,0,1]
	v_pk_fma_f16 v53, v54, v34, v53 op_sel:[0,1,0]
	s_waitcnt lgkmcnt(3)
	v_pk_fma_f16 v54, v55, v45, v69 op_sel_hi:[1,0,1]
	v_pk_fma_f16 v45, v55, v45, v31 op_sel:[0,1,0]
	v_pk_fma_f16 v69, v55, v46, v71 op_sel_hi:[1,0,1]
	v_pk_fma_f16 v46, v55, v46, v32 op_sel:[0,1,0]
	;; [unrolled: 2-line block ×4, first 2 shown]
	ds_load_b128 v[31:34], v39 offset:464
	s_waitcnt lgkmcnt(3)
	v_pk_fma_f16 v53, v56, v27, v54 op_sel_hi:[1,0,1]
	v_pk_fma_f16 v27, v56, v27, v45 op_sel:[0,1,0]
	v_pk_fma_f16 v45, v56, v28, v69 op_sel_hi:[1,0,1]
	v_pk_fma_f16 v46, v56, v28, v46 op_sel:[0,1,0]
	;; [unrolled: 2-line block ×4, first 2 shown]
	s_waitcnt lgkmcnt(1)
	v_pk_fma_f16 v56, v57, v49, v53 op_sel_hi:[1,0,1]
	v_pk_fma_f16 v49, v57, v49, v27 op_sel:[0,1,0]
	ds_load_2addr_b32 v[53:54], v70 offset0:88 offset1:108
	ds_load_b128 v[27:30], v39 offset:480
	v_pk_fma_f16 v60, v57, v50, v45 op_sel_hi:[1,0,1]
	v_pk_fma_f16 v50, v57, v50, v46 op_sel:[0,1,0]
	v_pk_fma_f16 v55, v57, v51, v55 op_sel_hi:[1,0,1]
	v_pk_fma_f16 v51, v57, v51, v47 op_sel:[0,1,0]
	v_pk_fma_f16 v59, v57, v52, v59 op_sel_hi:[1,0,1]
	v_pk_fma_f16 v52, v57, v52, v48 op_sel:[0,1,0]
	ds_load_b128 v[45:48], v39 offset:496
	s_waitcnt lgkmcnt(0)
	s_barrier
	buffer_gl0_inv
	s_load_b32 s4, s[26:27], 0x4
	v_pk_fma_f16 v56, v58, v31, v56 op_sel_hi:[1,0,1]
	v_pk_fma_f16 v31, v58, v31, v49 op_sel:[0,1,0]
	v_pk_fma_f16 v49, v58, v32, v60 op_sel_hi:[1,0,1]
	v_pk_fma_f16 v32, v58, v32, v50 op_sel:[0,1,0]
	;; [unrolled: 2-line block ×9, first 2 shown]
	v_pk_fma_f16 v33, v54, v46, v49 op_sel_hi:[1,0,1]
	s_waitcnt lgkmcnt(0)
	s_lshl_b32 s4, s4, 5
	v_pk_fma_f16 v32, v54, v46, v28 op_sel:[0,1,0]
	v_pk_fma_f16 v31, v54, v47, v50 op_sel_hi:[1,0,1]
	v_pk_fma_f16 v30, v54, v47, v29 op_sel:[0,1,0]
	v_pk_fma_f16 v29, v54, v48, v51 op_sel_hi:[1,0,1]
	v_pk_fma_f16 v28, v54, v48, v53 op_sel:[0,1,0]
	s_add_i32 s23, s4, s23
	s_delay_alu instid0(SALU_CYCLE_1)
	s_cmp_ge_i32 s23, s34
	s_cbranch_scc1 .LBB0_21
; %bb.20:                               ;   in Loop: Header=BB0_11 Depth=1
	v_dual_mov_b32 v53, v0 :: v_dual_mov_b32 v54, v1
	v_dual_mov_b32 v58, v2 :: v_dual_mov_b32 v55, v3
	;; [unrolled: 1-line block ×8, first 2 shown]
	s_branch .LBB0_11
.LBB0_21:
	v_mov_b32_e32 v8, v19
.LBB0_22:
	v_cmp_lt_i32_e32 vcc_lo, v23, v17
	s_cmp_lg_u64 s[24:25], 0
	s_cselect_b32 s3, -1, 0
	s_cmp_eq_u32 s14, 0
	v_cndmask_b32_e32 v9, v8, v23, vcc_lo
	v_cmp_lt_i32_e32 vcc_lo, v22, v17
	s_cselect_b32 s4, -1, 0
	s_delay_alu instid0(SALU_CYCLE_1) | instskip(NEXT) | instid1(VALU_DEP_2)
	s_and_b32 s3, s4, s3
	v_lshlrev_b32_e32 v9, 2, v9
	ds_bpermute_b32 v10, v9, v68
	s_waitcnt lgkmcnt(0)
	v_add_f32_e32 v10, v68, v10
	ds_bpermute_b32 v11, v9, v65
	ds_bpermute_b32 v14, v9, v66
	;; [unrolled: 1-line block ×7, first 2 shown]
	s_waitcnt lgkmcnt(5)
	v_dual_add_f32 v11, v65, v11 :: v_dual_add_f32 v14, v66, v14
	s_waitcnt lgkmcnt(4)
	v_dual_cndmask_b32 v19, v8, v22 :: v_dual_add_f32 v12, v67, v12
	s_waitcnt lgkmcnt(3)
	v_add_f32_e32 v16, v64, v16
	v_cmp_lt_i32_e32 vcc_lo, v21, v17
	s_delay_alu instid0(VALU_DEP_3)
	v_lshlrev_b32_e32 v19, 2, v19
	v_cndmask_b32_e32 v21, v8, v21, vcc_lo
	v_cmp_lt_i32_e32 vcc_lo, v20, v17
	ds_bpermute_b32 v22, v19, v10
	ds_bpermute_b32 v35, v19, v12
	s_waitcnt lgkmcnt(4)
	v_add_f32_e32 v13, v63, v13
	s_waitcnt lgkmcnt(3)
	v_dual_add_f32 v15, v62, v15 :: v_dual_cndmask_b32 v20, v8, v20
	s_waitcnt lgkmcnt(2)
	v_add_f32_e32 v9, v61, v9
	ds_bpermute_b32 v37, v19, v14
	ds_bpermute_b32 v23, v19, v11
	;; [unrolled: 1-line block ×4, first 2 shown]
	v_lshlrev_b32_e32 v20, 2, v20
	v_lshlrev_b32_e32 v21, 2, v21
	v_cmp_lt_i32_e32 vcc_lo, v18, v17
	v_cndmask_b32_e32 v8, v8, v18, vcc_lo
	s_and_b32 vcc_lo, exec_lo, s3
	s_waitcnt lgkmcnt(5)
	v_add_f32_e32 v10, v10, v22
	ds_bpermute_b32 v36, v19, v13
	s_waitcnt lgkmcnt(5)
	v_add_f32_e32 v12, v12, v35
	ds_bpermute_b32 v19, v19, v9
	v_lshlrev_b32_e32 v8, 2, v8
	s_waitcnt lgkmcnt(5)
	v_add_f32_e32 v14, v14, v37
	s_waitcnt lgkmcnt(2)
	v_add_f32_e32 v16, v16, v39
	;; [unrolled: 2-line block ×3, first 2 shown]
	ds_bpermute_b32 v19, v21, v10
	v_add_f32_e32 v13, v13, v36
	ds_bpermute_b32 v36, v21, v14
	v_add_f32_e32 v11, v11, v23
	;; [unrolled: 2-line block ×3, first 2 shown]
	ds_bpermute_b32 v38, v21, v16
	s_waitcnt lgkmcnt(3)
	v_add_f32_e32 v10, v10, v19
	ds_bpermute_b32 v35, v21, v13
	s_waitcnt lgkmcnt(3)
	v_add_f32_e32 v14, v14, v36
	;; [unrolled: 3-line block ×4, first 2 shown]
	ds_bpermute_b32 v21, v21, v9
	ds_bpermute_b32 v19, v20, v10
	s_waitcnt lgkmcnt(4)
	v_add_f32_e32 v13, v13, v35
	ds_bpermute_b32 v35, v20, v14
	s_waitcnt lgkmcnt(4)
	v_add_f32_e32 v11, v11, v22
	;; [unrolled: 3-line block ×4, first 2 shown]
	ds_bpermute_b32 v21, v20, v11
	ds_bpermute_b32 v37, v20, v16
	s_waitcnt lgkmcnt(5)
	v_add_f32_e32 v10, v10, v19
	ds_bpermute_b32 v36, v20, v15
	s_waitcnt lgkmcnt(5)
	v_add_f32_e32 v14, v14, v35
	s_waitcnt lgkmcnt(4)
	v_add_f32_e32 v12, v12, v22
	ds_bpermute_b32 v20, v20, v9
	s_waitcnt lgkmcnt(4)
	v_add_f32_e32 v13, v13, v23
	s_waitcnt lgkmcnt(3)
	v_add_f32_e32 v11, v11, v21
	s_waitcnt lgkmcnt(2)
	v_add_f32_e32 v16, v16, v37
	ds_bpermute_b32 v19, v8, v12
	ds_bpermute_b32 v21, v8, v14
	ds_bpermute_b32 v18, v8, v11
	ds_bpermute_b32 v23, v8, v16
	s_waitcnt lgkmcnt(4)
	v_add_f32_e32 v17, v9, v20
	ds_bpermute_b32 v9, v8, v10
	v_add_f32_e32 v15, v15, v36
	ds_bpermute_b32 v20, v8, v13
	ds_bpermute_b32 v35, v8, v17
	;; [unrolled: 1-line block ×3, first 2 shown]
	s_waitcnt lgkmcnt(3)
	v_dual_add_f32 v8, v10, v9 :: v_dual_add_f32 v9, v11, v18
	v_add_f32_e32 v10, v12, v19
	s_waitcnt lgkmcnt(2)
	v_dual_add_f32 v12, v14, v21 :: v_dual_add_f32 v11, v13, v20
	s_waitcnt lgkmcnt(0)
	v_dual_add_f32 v14, v16, v23 :: v_dual_add_f32 v13, v15, v22
	v_add_f32_e32 v15, v17, v35
	s_cbranch_vccz .LBB0_25
; %bb.23:
	s_ashr_i32 s23, s22, 31
	v_dual_mov_b32 v16, 0 :: v_dual_max_f32 v17, v1, v1
	s_lshl_b64 s[4:5], s[22:23], 2
	v_dual_max_f32 v18, v2, v2 :: v_dual_max_f32 v21, v5, v5
	s_add_u32 s4, s24, s4
	s_addc_u32 s5, s25, s5
	s_clause 0x1
	global_load_b128 v[35:38], v16, s[4:5]
	global_load_b128 v[39:42], v16, s[4:5] offset:16
	v_dual_max_f32 v16, v0, v0 :: v_dual_max_f32 v19, v3, v3
	v_max_f32_e32 v22, v6, v6
	v_dual_max_f32 v20, v4, v4 :: v_dual_max_f32 v23, v7, v7
	s_waitcnt vmcnt(1)
	v_dual_max_f32 v43, v35, v35 :: v_dual_max_f32 v44, v36, v36
	v_dual_max_f32 v45, v37, v37 :: v_dual_max_f32 v46, v38, v38
	s_waitcnt vmcnt(0)
	v_dual_max_f32 v47, v39, v39 :: v_dual_max_f32 v48, v40, v40
	v_dual_max_f32 v49, v41, v41 :: v_dual_max_f32 v50, v42, v42
	;; [unrolled: 1-line block ×4, first 2 shown]
	s_delay_alu instid0(VALU_DEP_4) | instskip(NEXT) | instid1(VALU_DEP_4)
	v_dual_max_f32 v21, v21, v48 :: v_dual_max_f32 v20, v20, v47
	v_dual_max_f32 v23, v23, v50 :: v_dual_max_f32 v22, v22, v49
	s_delay_alu instid0(VALU_DEP_4)
	v_sub_f32_e32 v43, v0, v16
	v_dual_sub_f32 v35, v35, v16 :: v_dual_sub_f32 v44, v1, v17
	v_dual_sub_f32 v36, v36, v17 :: v_dual_sub_f32 v45, v2, v18
	;; [unrolled: 1-line block ×7, first 2 shown]
	v_dual_mov_b32 v0, v16 :: v_dual_mov_b32 v3, v19
	v_dual_sub_f32 v42, v42, v23 :: v_dual_mov_b32 v1, v17
	v_dual_mov_b32 v2, v18 :: v_dual_mov_b32 v5, v21
	v_dual_mov_b32 v4, v20 :: v_dual_mov_b32 v7, v23
	v_dual_mov_b32 v6, v22 :: v_dual_mul_f32 v17, 0x3fb8aa3b, v35
	v_dual_mul_f32 v16, 0x3fb8aa3b, v43 :: v_dual_mul_f32 v19, 0x3fb8aa3b, v36
	v_dual_mul_f32 v18, 0x3fb8aa3b, v44 :: v_dual_mul_f32 v21, 0x3fb8aa3b, v37
	;; [unrolled: 1-line block ×3, first 2 shown]
	s_delay_alu instid0(VALU_DEP_3) | instskip(SKIP_4) | instid1(VALU_DEP_4)
	v_fma_f32 v59, 0x3fb8aa3b, v43, -v16
	v_rndne_f32_e32 v60, v16
	v_fma_f32 v61, 0x3fb8aa3b, v35, -v17
	v_rndne_f32_e32 v62, v17
	v_rndne_f32_e32 v70, v21
	v_dual_fmac_f32 v59, 0x32a5705f, v43 :: v_dual_sub_f32 v16, v16, v60
	v_dual_mul_f32 v22, 0x3fb8aa3b, v46 :: v_dual_mul_f32 v51, 0x3fb8aa3b, v47
	v_dual_mul_f32 v52, 0x3fb8aa3b, v39 :: v_dual_mul_f32 v53, 0x3fb8aa3b, v48
	v_fma_f32 v63, 0x3fb8aa3b, v44, -v18
	v_rndne_f32_e32 v64, v18
	v_rndne_f32_e32 v68, v20
	v_fma_f32 v69, 0x3fb8aa3b, v37, -v21
	v_fmac_f32_e32 v61, 0x32a5705f, v35
	v_sub_f32_e32 v17, v17, v62
	v_dual_sub_f32 v21, v21, v70 :: v_dual_add_f32 v16, v16, v59
	v_dual_mul_f32 v54, 0x3fb8aa3b, v40 :: v_dual_mul_f32 v55, 0x3fb8aa3b, v49
	v_fma_f32 v65, 0x3fb8aa3b, v36, -v19
	v_rndne_f32_e32 v66, v19
	v_fma_f32 v67, 0x3fb8aa3b, v45, -v20
	v_fma_f32 v71, 0x3fb8aa3b, v46, -v22
	v_rndne_f32_e32 v78, v52
	v_fmac_f32_e32 v63, 0x32a5705f, v44
	v_sub_f32_e32 v18, v18, v64
	v_dual_sub_f32 v20, v20, v68 :: v_dual_add_f32 v17, v17, v61
	v_exp_f32_e32 v16, v16
	v_dual_mul_f32 v56, 0x3fb8aa3b, v41 :: v_dual_mul_f32 v57, 0x3fb8aa3b, v50
	v_rndne_f32_e32 v72, v22
	v_fma_f32 v77, 0x3fb8aa3b, v39, -v52
	v_rndne_f32_e32 v82, v54
	v_cvt_i32_f32_e32 v60, v60
	v_fmac_f32_e32 v65, 0x32a5705f, v36
	v_dual_sub_f32 v19, v19, v66 :: v_dual_sub_f32 v22, v22, v72
	v_sub_f32_e32 v52, v52, v78
	v_dual_fmac_f32 v71, 0x32a5705f, v46 :: v_dual_add_f32 v18, v18, v63
	v_exp_f32_e32 v17, v17
	v_fma_f32 v73, 0x3fb8aa3b, v38, -v23
	v_fma_f32 v81, 0x3fb8aa3b, v40, -v54
	;; [unrolled: 1-line block ×3, first 2 shown]
	v_rndne_f32_e32 v86, v56
	v_cvt_i32_f32_e32 v62, v62
	v_dual_fmac_f32 v67, 0x32a5705f, v45 :: v_dual_sub_f32 v54, v54, v82
	v_add_f32_e32 v19, v19, v65
	v_exp_f32_e32 v18, v18
	v_ldexp_f32 v16, v16, v60
	v_cmp_ngt_f32_e32 vcc_lo, 0xc2ce8ed0, v43
	v_fma_f32 v85, 0x3fb8aa3b, v41, -v56
	v_cvt_i32_f32_e32 v64, v64
	v_dual_fmac_f32 v83, 0x32a5705f, v49 :: v_dual_sub_f32 v56, v56, v86
	v_dual_cndmask_b32 v16, 0, v16 :: v_dual_fmac_f32 v73, 0x32a5705f, v38
	v_add_f32_e32 v20, v20, v67
	v_exp_f32_e32 v19, v19
	v_ldexp_f32 v17, v17, v62
	v_cmp_ngt_f32_e32 vcc_lo, 0xc2ce8ed0, v35
	v_rndne_f32_e32 v76, v51
	v_mul_f32_e32 v58, 0x3fb8aa3b, v42
	v_cvt_i32_f32_e32 v66, v66
	v_exp_f32_e32 v20, v20
	v_ldexp_f32 v18, v18, v64
	v_cndmask_b32_e32 v17, 0, v17, vcc_lo
	v_cmp_ngt_f32_e32 vcc_lo, 0xc2ce8ed0, v44
	v_fma_f32 v75, 0x3fb8aa3b, v47, -v51
	v_cvt_i32_f32_e32 v68, v68
	v_sub_f32_e32 v51, v51, v76
	v_rndne_f32_e32 v90, v58
	v_fmac_f32_e32 v69, 0x32a5705f, v37
	v_dual_fmac_f32 v81, 0x32a5705f, v40 :: v_dual_cndmask_b32 v18, 0, v18
	v_ldexp_f32 v19, v19, v66
	v_cmp_ngt_f32_e32 vcc_lo, 0xc2ce8ed0, v36
	v_rndne_f32_e32 v74, v23
	v_fma_f32 v79, 0x3fb8aa3b, v48, -v53
	v_fma_f32 v89, 0x3fb8aa3b, v42, -v58
	v_dual_sub_f32 v58, v58, v90 :: v_dual_add_f32 v21, v21, v69
	v_ldexp_f32 v20, v20, v68
	v_cndmask_b32_e32 v19, 0, v19, vcc_lo
	v_cmp_ngt_f32_e32 vcc_lo, 0xc2ce8ed0, v45
	v_fmac_f32_e32 v85, 0x32a5705f, v41
	v_dual_sub_f32 v23, v23, v74 :: v_dual_add_f32 v22, v22, v71
	v_exp_f32_e32 v21, v21
	v_cndmask_b32_e32 v20, 0, v20, vcc_lo
	s_delay_alu instid0(VALU_DEP_3)
	v_dual_fmac_f32 v79, 0x32a5705f, v48 :: v_dual_add_f32 v56, v56, v85
	v_cvt_i32_f32_e32 v70, v70
	v_dual_fmac_f32 v77, 0x32a5705f, v39 :: v_dual_add_f32 v54, v54, v81
	v_fmac_f32_e32 v75, 0x32a5705f, v47
	v_add_f32_e32 v23, v23, v73
	v_exp_f32_e32 v22, v22
	v_exp_f32_e32 v56, v56
	v_rndne_f32_e32 v80, v53
	v_cvt_i32_f32_e32 v72, v72
	v_cvt_i32_f32_e32 v86, v86
	v_dual_add_f32 v52, v52, v77 :: v_dual_add_f32 v51, v51, v75
	v_exp_f32_e32 v23, v23
	v_ldexp_f32 v21, v21, v70
	v_cmp_ngt_f32_e32 vcc_lo, 0xc2ce8ed0, v37
	v_rndne_f32_e32 v84, v55
	v_cvt_i32_f32_e32 v74, v74
	v_exp_f32_e32 v51, v51
	v_ldexp_f32 v22, v22, v72
	v_ldexp_f32 v56, v56, v86
	v_fmac_f32_e32 v89, 0x32a5705f, v42
	v_sub_f32_e32 v53, v53, v80
	v_cndmask_b32_e32 v21, 0, v21, vcc_lo
	v_cmp_ngt_f32_e32 vcc_lo, 0xc2ce8ed0, v46
	v_cvt_i32_f32_e32 v76, v76
	v_dual_sub_f32 v55, v55, v84 :: v_dual_add_f32 v58, v58, v89
	v_add_f32_e32 v53, v53, v79
	v_exp_f32_e32 v52, v52
	v_ldexp_f32 v23, v23, v74
	v_cndmask_b32_e32 v22, 0, v22, vcc_lo
	v_cmp_ngt_f32_e32 vcc_lo, 0xc2ce8ed0, v38
	v_cvt_i32_f32_e32 v78, v78
	v_exp_f32_e32 v53, v53
	v_ldexp_f32 v51, v51, v76
	v_fma_f32 v87, 0x3fb8aa3b, v50, -v57
	v_cndmask_b32_e32 v23, 0, v23, vcc_lo
	v_cmp_ngt_f32_e32 vcc_lo, 0xc2ce8ed0, v47
	v_cvt_i32_f32_e32 v80, v80
	v_exp_f32_e32 v54, v54
	v_ldexp_f32 v52, v52, v78
	v_rndne_f32_e32 v88, v57
	v_cndmask_b32_e32 v51, 0, v51, vcc_lo
	v_cmp_ngt_f32_e32 vcc_lo, 0xc2ce8ed0, v39
	v_cvt_i32_f32_e32 v82, v82
	v_fmac_f32_e32 v87, 0x32a5705f, v50
	v_add_f32_e32 v55, v55, v83
	v_ldexp_f32 v53, v53, v80
	v_cndmask_b32_e32 v52, 0, v52, vcc_lo
	v_cmp_ngt_f32_e32 vcc_lo, 0xc2ce8ed0, v48
	v_ldexp_f32 v54, v54, v82
	v_exp_f32_e32 v55, v55
	v_cvt_i32_f32_e32 v84, v84
	v_exp_f32_e32 v58, v58
	v_cndmask_b32_e32 v53, 0, v53, vcc_lo
	v_cmp_ngt_f32_e32 vcc_lo, 0xc2ce8ed0, v40
	v_sub_f32_e32 v57, v57, v88
	v_cvt_i32_f32_e32 v88, v88
	v_cvt_i32_f32_e32 v90, v90
	s_delay_alu instid0(VALU_DEP_3) | instskip(NEXT) | instid1(TRANS32_DEP_2)
	v_dual_cndmask_b32 v54, 0, v54 :: v_dual_add_f32 v57, v57, v87
	v_ldexp_f32 v55, v55, v84
	v_cmp_ngt_f32_e32 vcc_lo, 0xc2ce8ed0, v49
	s_delay_alu instid0(TRANS32_DEP_1) | instid1(VALU_DEP_4)
	v_ldexp_f32 v58, v58, v90
	s_delay_alu instid0(VALU_DEP_4) | instskip(NEXT) | instid1(VALU_DEP_3)
	v_exp_f32_e32 v57, v57
	v_cndmask_b32_e32 v55, 0, v55, vcc_lo
	v_cmp_ngt_f32_e32 vcc_lo, 0xc2ce8ed0, v41
	v_cndmask_b32_e32 v56, 0, v56, vcc_lo
	v_cmp_ngt_f32_e32 vcc_lo, 0xc2ce8ed0, v50
	s_waitcnt_depctr 0xfff
	v_ldexp_f32 v57, v57, v88
	s_delay_alu instid0(VALU_DEP_1)
	v_cndmask_b32_e32 v57, 0, v57, vcc_lo
	v_cmp_ngt_f32_e32 vcc_lo, 0xc2ce8ed0, v42
	v_cndmask_b32_e32 v58, 0, v58, vcc_lo
	v_cmp_nlt_f32_e32 vcc_lo, 0x42b17218, v43
	v_cndmask_b32_e32 v43, 0x7f800000, v16, vcc_lo
	v_cmp_nlt_f32_e32 vcc_lo, 0x42b17218, v35
	;; [unrolled: 2-line block ×3, first 2 shown]
	s_delay_alu instid0(VALU_DEP_2) | instskip(SKIP_4) | instid1(VALU_DEP_3)
	v_dual_fmac_f32 v16, v8, v43 :: v_dual_cndmask_b32 v35, 0x7f800000, v18
	v_cmp_nlt_f32_e32 vcc_lo, 0x42b17218, v36
	v_cvt_f16_f32_e32 v8, v43
	v_cndmask_b32_e32 v17, 0x7f800000, v19, vcc_lo
	v_cmp_nlt_f32_e32 vcc_lo, 0x42b17218, v45
	v_pk_mul_f16 v27, v27, v8 op_sel_hi:[1,0]
	s_delay_alu instid0(VALU_DEP_3)
	v_dual_mov_b32 v8, v16 :: v_dual_fmac_f32 v17, v9, v35
	v_cndmask_b32_e32 v36, 0x7f800000, v20, vcc_lo
	v_cmp_nlt_f32_e32 vcc_lo, 0x42b17218, v37
	v_cvt_f16_f32_e32 v9, v35
	v_cndmask_b32_e32 v18, 0x7f800000, v21, vcc_lo
	v_cmp_nlt_f32_e32 vcc_lo, 0x42b17218, v46
	s_delay_alu instid0(VALU_DEP_3) | instskip(NEXT) | instid1(VALU_DEP_3)
	v_pk_mul_f16 v34, v34, v9 op_sel_hi:[1,0]
	v_dual_mov_b32 v9, v17 :: v_dual_fmac_f32 v18, v10, v36
	v_cndmask_b32_e32 v37, 0x7f800000, v22, vcc_lo
	v_cmp_nlt_f32_e32 vcc_lo, 0x42b17218, v38
	v_cvt_f16_f32_e32 v10, v36
	v_cndmask_b32_e32 v19, 0x7f800000, v23, vcc_lo
	v_cmp_nlt_f32_e32 vcc_lo, 0x42b17218, v47
	s_delay_alu instid0(VALU_DEP_3) | instskip(NEXT) | instid1(VALU_DEP_3)
	v_pk_mul_f16 v33, v33, v10 op_sel_hi:[1,0]
	v_dual_mov_b32 v10, v18 :: v_dual_fmac_f32 v19, v11, v37
	v_cndmask_b32_e32 v38, 0x7f800000, v51, vcc_lo
	v_cmp_nlt_f32_e32 vcc_lo, 0x42b17218, v39
	v_cvt_f16_f32_e32 v11, v37
	v_cndmask_b32_e32 v20, 0x7f800000, v52, vcc_lo
	v_cmp_nlt_f32_e32 vcc_lo, 0x42b17218, v48
	s_delay_alu instid0(VALU_DEP_3) | instskip(NEXT) | instid1(VALU_DEP_3)
	v_pk_mul_f16 v32, v32, v11 op_sel_hi:[1,0]
	v_dual_mov_b32 v11, v19 :: v_dual_fmac_f32 v20, v12, v38
	v_cvt_f16_f32_e32 v12, v38
	s_delay_alu instid0(VALU_DEP_1) | instskip(NEXT) | instid1(VALU_DEP_3)
	v_pk_mul_f16 v31, v31, v12 op_sel_hi:[1,0]
	v_dual_mov_b32 v12, v20 :: v_dual_cndmask_b32 v39, 0x7f800000, v53
	v_cmp_nlt_f32_e32 vcc_lo, 0x42b17218, v40
	v_cndmask_b32_e32 v21, 0x7f800000, v54, vcc_lo
	v_cmp_nlt_f32_e32 vcc_lo, 0x42b17218, v49
	s_delay_alu instid0(VALU_DEP_2)
	v_fmac_f32_e32 v21, v13, v39
	v_cndmask_b32_e32 v40, 0x7f800000, v55, vcc_lo
	v_cmp_nlt_f32_e32 vcc_lo, 0x42b17218, v41
	v_cvt_f16_f32_e32 v13, v39
	v_cndmask_b32_e32 v22, 0x7f800000, v56, vcc_lo
	v_cmp_nlt_f32_e32 vcc_lo, 0x42b17218, v50
	s_delay_alu instid0(VALU_DEP_3) | instskip(NEXT) | instid1(VALU_DEP_3)
	v_pk_mul_f16 v30, v30, v13 op_sel_hi:[1,0]
	v_dual_mov_b32 v13, v21 :: v_dual_fmac_f32 v22, v14, v40
	v_cndmask_b32_e32 v41, 0x7f800000, v57, vcc_lo
	v_cmp_nlt_f32_e32 vcc_lo, 0x42b17218, v42
	v_cvt_f16_f32_e32 v14, v40
	v_cndmask_b32_e32 v23, 0x7f800000, v58, vcc_lo
	s_delay_alu instid0(VALU_DEP_2) | instskip(NEXT) | instid1(VALU_DEP_2)
	v_pk_mul_f16 v29, v29, v14 op_sel_hi:[1,0]
	v_dual_mov_b32 v14, v22 :: v_dual_fmac_f32 v23, v15, v41
	v_cvt_f16_f32_e32 v15, v41
	s_delay_alu instid0(VALU_DEP_1) | instskip(NEXT) | instid1(VALU_DEP_3)
	v_pk_mul_f16 v28, v28, v15 op_sel_hi:[1,0]
	v_mov_b32_e32 v15, v23
	s_mov_b32 s3, exec_lo
	v_cmpx_gt_i32_e64 s38, v26
	s_cbranch_execnz .LBB0_26
.LBB0_24:
	s_nop 0
	s_sendmsg sendmsg(MSG_DEALLOC_VGPRS)
	s_endpgm
.LBB0_25:
	s_delay_alu instid0(VALU_DEP_1) | instskip(NEXT) | instid1(VALU_DEP_3)
	v_dual_mov_b32 v23, v15 :: v_dual_mov_b32 v22, v14
	v_dual_mov_b32 v21, v13 :: v_dual_mov_b32 v20, v12
	;; [unrolled: 1-line block ×4, first 2 shown]
	s_mov_b32 s3, exec_lo
	v_cmpx_gt_i32_e64 s38, v26
	s_cbranch_execz .LBB0_24
.LBB0_26:
	s_load_b32 s0, s[0:1], 0xd4
	v_mov_b32_e32 v35, 1.0
	s_waitcnt lgkmcnt(0)
	s_cmp_lg_u32 s0, 1
	s_cselect_b32 s1, -1, 0
	s_cmp_eq_u32 s0, 1
	s_cselect_b32 s3, -1, 0
	s_and_b32 vcc_lo, exec_lo, s1
	s_cbranch_vccnz .LBB0_28
; %bb.27:
	v_div_scale_f32 v35, null, v8, v8, 1.0
	s_delay_alu instid0(VALU_DEP_1) | instskip(SKIP_2) | instid1(VALU_DEP_1)
	v_rcp_f32_e32 v36, v35
	s_waitcnt_depctr 0xfff
	v_fma_f32 v37, -v35, v36, 1.0
	v_fmac_f32_e32 v36, v37, v36
	v_div_scale_f32 v37, vcc_lo, 1.0, v8, 1.0
	s_delay_alu instid0(VALU_DEP_1) | instskip(NEXT) | instid1(VALU_DEP_1)
	v_mul_f32_e32 v38, v37, v36
	v_fma_f32 v39, -v35, v38, v37
	s_delay_alu instid0(VALU_DEP_1) | instskip(NEXT) | instid1(VALU_DEP_1)
	v_fmac_f32_e32 v38, v39, v36
	v_fma_f32 v35, -v35, v38, v37
	s_delay_alu instid0(VALU_DEP_1) | instskip(NEXT) | instid1(VALU_DEP_1)
	v_div_fmas_f32 v35, v35, v36, v38
	v_div_fixup_f32 v35, v35, v8, 1.0
.LBB0_28:
	v_mad_u64_u32 v[36:37], null, s33, s38, v[26:27]
	s_delay_alu instid0(VALU_DEP_1) | instskip(NEXT) | instid1(VALU_DEP_1)
	v_mad_u64_u32 v[37:38], null, v36, s39, s[22:23]
	v_mul_lo_u32 v8, s0, v37
	s_delay_alu instid0(VALU_DEP_1)
	v_add_nc_u32_e32 v26, s14, v8
	s_and_saveexec_b32 s4, s2
	s_cbranch_execz .LBB0_30
; %bb.29:
	s_delay_alu instid0(VALU_DEP_1) | instskip(SKIP_3) | instid1(VALU_DEP_3)
	v_mad_u64_u32 v[36:37], null, v26, 40, v[24:25]
	v_lshrrev_b32_e32 v38, 16, v27
	v_cvt_f32_f16_e32 v27, v27
	v_mov_b32_e32 v37, 0
	v_cvt_f32_f16_e32 v39, v38
	s_delay_alu instid0(VALU_DEP_3) | instskip(NEXT) | instid1(VALU_DEP_3)
	v_mul_f32_e32 v38, v35, v27
	v_lshlrev_b64 v[36:37], 2, v[36:37]
	s_delay_alu instid0(VALU_DEP_3) | instskip(NEXT) | instid1(VALU_DEP_2)
	v_mul_f32_e32 v39, v35, v39
	v_add_co_u32 v35, vcc_lo, s28, v36
	s_delay_alu instid0(VALU_DEP_3)
	v_add_co_ci_u32_e32 v36, vcc_lo, s29, v37, vcc_lo
	global_store_b64 v[35:36], v[38:39], off
.LBB0_30:
	s_or_b32 exec_lo, exec_lo, s4
	v_cmp_eq_u32_e32 vcc_lo, 0, v25
	s_and_b32 s1, vcc_lo, s1
	s_delay_alu instid0(SALU_CYCLE_1)
	s_and_saveexec_b32 s4, s1
	s_cbranch_execz .LBB0_32
; %bb.31:
	v_ashrrev_i32_e32 v27, 31, v26
	v_mov_b32_e32 v35, v0
	v_mov_b32_e32 v36, v16
	s_delay_alu instid0(VALU_DEP_3) | instskip(NEXT) | instid1(VALU_DEP_1)
	v_lshlrev_b64 v[25:26], 3, v[26:27]
	v_add_co_u32 v25, vcc_lo, s30, v25
	s_delay_alu instid0(VALU_DEP_2)
	v_add_co_ci_u32_e32 v26, vcc_lo, s31, v26, vcc_lo
	global_store_b64 v[25:26], v[35:36], off
.LBB0_32:
	s_or_b32 exec_lo, exec_lo, s4
	v_cndmask_b32_e64 v25, 0, 1, s3
	v_mov_b32_e32 v16, 1.0
	s_and_not1_b32 vcc_lo, exec_lo, s3
	s_cbranch_vccz .LBB0_59
; %bb.33:
	v_add_nc_u32_e32 v0, s0, v8
	s_delay_alu instid0(VALU_DEP_1)
	v_add_nc_u32_e32 v8, s14, v0
	s_and_saveexec_b32 s3, s2
	s_cbranch_execnz .LBB0_60
.LBB0_34:
	s_or_b32 exec_lo, exec_lo, s3
	s_and_saveexec_b32 s3, s1
	s_cbranch_execz .LBB0_36
.LBB0_35:
	v_ashrrev_i32_e32 v9, 31, v8
	v_mov_b32_e32 v16, v1
	s_delay_alu instid0(VALU_DEP_2) | instskip(NEXT) | instid1(VALU_DEP_1)
	v_lshlrev_b64 v[8:9], 3, v[8:9]
	v_add_co_u32 v8, vcc_lo, s30, v8
	s_delay_alu instid0(VALU_DEP_2)
	v_add_co_ci_u32_e32 v9, vcc_lo, s31, v9, vcc_lo
	global_store_b64 v[8:9], v[16:17], off
.LBB0_36:
	s_or_b32 exec_lo, exec_lo, s3
	v_cmp_ne_u32_e32 vcc_lo, 1, v25
	v_mov_b32_e32 v1, 1.0
	s_cbranch_vccz .LBB0_61
; %bb.37:
	v_add_nc_u32_e32 v8, s0, v0
	s_delay_alu instid0(VALU_DEP_1)
	v_add_nc_u32_e32 v0, s14, v8
	s_and_saveexec_b32 s3, s2
	s_cbranch_execnz .LBB0_62
.LBB0_38:
	s_or_b32 exec_lo, exec_lo, s3
	s_and_saveexec_b32 s3, s1
	s_cbranch_execz .LBB0_40
.LBB0_39:
	v_ashrrev_i32_e32 v1, 31, v0
	v_mov_b32_e32 v17, v2
	s_delay_alu instid0(VALU_DEP_2) | instskip(NEXT) | instid1(VALU_DEP_1)
	v_lshlrev_b64 v[0:1], 3, v[0:1]
	v_add_co_u32 v0, vcc_lo, s30, v0
	s_delay_alu instid0(VALU_DEP_2)
	v_add_co_ci_u32_e32 v1, vcc_lo, s31, v1, vcc_lo
	global_store_b64 v[0:1], v[17:18], off
.LBB0_40:
	s_or_b32 exec_lo, exec_lo, s3
	v_cmp_ne_u32_e32 vcc_lo, 1, v25
	v_mov_b32_e32 v1, 1.0
	s_cbranch_vccz .LBB0_63
; %bb.41:
	v_add_nc_u32_e32 v2, s0, v8
	s_delay_alu instid0(VALU_DEP_1)
	v_add_nc_u32_e32 v0, s14, v2
	s_and_saveexec_b32 s3, s2
	s_cbranch_execnz .LBB0_64
.LBB0_42:
	s_or_b32 exec_lo, exec_lo, s3
	s_and_saveexec_b32 s3, s1
	s_cbranch_execz .LBB0_44
.LBB0_43:
	v_ashrrev_i32_e32 v1, 31, v0
	v_mov_b32_e32 v18, v3
	s_delay_alu instid0(VALU_DEP_2) | instskip(NEXT) | instid1(VALU_DEP_1)
	v_lshlrev_b64 v[0:1], 3, v[0:1]
	v_add_co_u32 v0, vcc_lo, s30, v0
	s_delay_alu instid0(VALU_DEP_2)
	v_add_co_ci_u32_e32 v1, vcc_lo, s31, v1, vcc_lo
	global_store_b64 v[0:1], v[18:19], off
.LBB0_44:
	s_or_b32 exec_lo, exec_lo, s3
	v_cmp_ne_u32_e32 vcc_lo, 1, v25
	v_mov_b32_e32 v1, 1.0
	s_cbranch_vccz .LBB0_65
; %bb.45:
	v_add_nc_u32_e32 v2, s0, v2
	s_delay_alu instid0(VALU_DEP_1)
	v_add_nc_u32_e32 v0, s14, v2
	s_and_saveexec_b32 s3, s2
	s_cbranch_execnz .LBB0_66
.LBB0_46:
	s_or_b32 exec_lo, exec_lo, s3
	s_and_saveexec_b32 s3, s1
	s_cbranch_execz .LBB0_48
.LBB0_47:
	v_ashrrev_i32_e32 v1, 31, v0
	v_mov_b32_e32 v19, v4
	s_delay_alu instid0(VALU_DEP_2) | instskip(NEXT) | instid1(VALU_DEP_1)
	v_lshlrev_b64 v[0:1], 3, v[0:1]
	v_add_co_u32 v0, vcc_lo, s30, v0
	s_delay_alu instid0(VALU_DEP_2)
	v_add_co_ci_u32_e32 v1, vcc_lo, s31, v1, vcc_lo
	global_store_b64 v[0:1], v[19:20], off
.LBB0_48:
	s_or_b32 exec_lo, exec_lo, s3
	v_cmp_ne_u32_e32 vcc_lo, 1, v25
	v_mov_b32_e32 v1, 1.0
	s_cbranch_vccz .LBB0_67
; %bb.49:
	v_add_nc_u32_e32 v2, s0, v2
	s_delay_alu instid0(VALU_DEP_1)
	v_add_nc_u32_e32 v0, s14, v2
	s_and_saveexec_b32 s3, s2
	s_cbranch_execnz .LBB0_68
.LBB0_50:
	s_or_b32 exec_lo, exec_lo, s3
	s_and_saveexec_b32 s3, s1
	s_cbranch_execz .LBB0_52
.LBB0_51:
	v_ashrrev_i32_e32 v1, 31, v0
	v_mov_b32_e32 v20, v5
	s_delay_alu instid0(VALU_DEP_2) | instskip(NEXT) | instid1(VALU_DEP_1)
	v_lshlrev_b64 v[0:1], 3, v[0:1]
	v_add_co_u32 v0, vcc_lo, s30, v0
	s_delay_alu instid0(VALU_DEP_2)
	v_add_co_ci_u32_e32 v1, vcc_lo, s31, v1, vcc_lo
	global_store_b64 v[0:1], v[20:21], off
.LBB0_52:
	s_or_b32 exec_lo, exec_lo, s3
	v_cmp_ne_u32_e32 vcc_lo, 1, v25
	v_mov_b32_e32 v1, 1.0
	s_cbranch_vccz .LBB0_69
; %bb.53:
	v_add_nc_u32_e32 v2, s0, v2
	s_delay_alu instid0(VALU_DEP_1)
	v_add_nc_u32_e32 v0, s14, v2
	s_and_saveexec_b32 s3, s2
	s_cbranch_execnz .LBB0_70
.LBB0_54:
	s_or_b32 exec_lo, exec_lo, s3
	s_and_saveexec_b32 s3, s1
	s_cbranch_execz .LBB0_56
.LBB0_55:
	v_ashrrev_i32_e32 v1, 31, v0
	v_mov_b32_e32 v21, v6
	s_delay_alu instid0(VALU_DEP_2) | instskip(NEXT) | instid1(VALU_DEP_1)
	v_lshlrev_b64 v[0:1], 3, v[0:1]
	v_add_co_u32 v0, vcc_lo, s30, v0
	s_delay_alu instid0(VALU_DEP_2)
	v_add_co_ci_u32_e32 v1, vcc_lo, s31, v1, vcc_lo
	global_store_b64 v[0:1], v[21:22], off
.LBB0_56:
	s_or_b32 exec_lo, exec_lo, s3
	v_cmp_ne_u32_e32 vcc_lo, 1, v25
	v_mov_b32_e32 v1, 1.0
	s_cbranch_vccz .LBB0_71
; %bb.57:
	v_add3_u32 v0, s14, s0, v2
	s_and_saveexec_b32 s0, s2
	s_cbranch_execnz .LBB0_72
.LBB0_58:
	s_or_b32 exec_lo, exec_lo, s0
	s_delay_alu instid0(SALU_CYCLE_1)
	s_and_b32 exec_lo, exec_lo, s1
	s_cbranch_execz .LBB0_24
	s_branch .LBB0_73
.LBB0_59:
	v_div_scale_f32 v0, null, v9, v9, 1.0
	s_delay_alu instid0(VALU_DEP_1) | instskip(SKIP_2) | instid1(VALU_DEP_1)
	v_rcp_f32_e32 v16, v0
	s_waitcnt_depctr 0xfff
	v_fma_f32 v26, -v0, v16, 1.0
	v_fmac_f32_e32 v16, v26, v16
	v_div_scale_f32 v26, vcc_lo, 1.0, v9, 1.0
	s_delay_alu instid0(VALU_DEP_1) | instskip(NEXT) | instid1(VALU_DEP_1)
	v_mul_f32_e32 v27, v26, v16
	v_fma_f32 v35, -v0, v27, v26
	s_delay_alu instid0(VALU_DEP_1) | instskip(NEXT) | instid1(VALU_DEP_1)
	v_fmac_f32_e32 v27, v35, v16
	v_fma_f32 v0, -v0, v27, v26
	s_delay_alu instid0(VALU_DEP_1) | instskip(NEXT) | instid1(VALU_DEP_1)
	v_div_fmas_f32 v0, v0, v16, v27
	v_div_fixup_f32 v16, v0, v9, 1.0
	v_add_nc_u32_e32 v0, s0, v8
	s_delay_alu instid0(VALU_DEP_1)
	v_add_nc_u32_e32 v8, s14, v0
	s_and_saveexec_b32 s3, s2
	s_cbranch_execz .LBB0_34
.LBB0_60:
	s_delay_alu instid0(VALU_DEP_1) | instskip(SKIP_3) | instid1(VALU_DEP_3)
	v_mad_u64_u32 v[26:27], null, v8, 40, v[24:25]
	v_lshrrev_b32_e32 v9, 16, v34
	v_cvt_f32_f16_e32 v34, v34
	v_mov_b32_e32 v27, 0
	v_cvt_f32_f16_e32 v9, v9
	s_delay_alu instid0(VALU_DEP_3) | instskip(NEXT) | instid1(VALU_DEP_3)
	v_mul_f32_e32 v34, v16, v34
	v_lshlrev_b64 v[26:27], 2, v[26:27]
	s_delay_alu instid0(VALU_DEP_3) | instskip(NEXT) | instid1(VALU_DEP_2)
	v_mul_f32_e32 v35, v16, v9
	v_add_co_u32 v26, vcc_lo, s28, v26
	s_delay_alu instid0(VALU_DEP_3)
	v_add_co_ci_u32_e32 v27, vcc_lo, s29, v27, vcc_lo
	global_store_b64 v[26:27], v[34:35], off
	s_or_b32 exec_lo, exec_lo, s3
	s_and_saveexec_b32 s3, s1
	s_cbranch_execnz .LBB0_35
	s_branch .LBB0_36
.LBB0_61:
	v_div_scale_f32 v1, null, v10, v10, 1.0
	s_delay_alu instid0(VALU_DEP_1) | instskip(SKIP_2) | instid1(VALU_DEP_1)
	v_rcp_f32_e32 v8, v1
	s_waitcnt_depctr 0xfff
	v_fma_f32 v9, -v1, v8, 1.0
	v_fmac_f32_e32 v8, v9, v8
	v_div_scale_f32 v9, vcc_lo, 1.0, v10, 1.0
	s_delay_alu instid0(VALU_DEP_1) | instskip(NEXT) | instid1(VALU_DEP_1)
	v_mul_f32_e32 v16, v9, v8
	v_fma_f32 v17, -v1, v16, v9
	s_delay_alu instid0(VALU_DEP_1) | instskip(NEXT) | instid1(VALU_DEP_1)
	v_fmac_f32_e32 v16, v17, v8
	v_fma_f32 v1, -v1, v16, v9
	s_delay_alu instid0(VALU_DEP_1) | instskip(NEXT) | instid1(VALU_DEP_1)
	v_div_fmas_f32 v1, v1, v8, v16
	v_div_fixup_f32 v1, v1, v10, 1.0
	v_add_nc_u32_e32 v8, s0, v0
	s_delay_alu instid0(VALU_DEP_1)
	v_add_nc_u32_e32 v0, s14, v8
	s_and_saveexec_b32 s3, s2
	s_cbranch_execz .LBB0_38
.LBB0_62:
	v_lshrrev_b32_e32 v16, 16, v33
	s_delay_alu instid0(VALU_DEP_2) | instskip(SKIP_1) | instid1(VALU_DEP_3)
	v_mad_u64_u32 v[9:10], null, v0, 40, v[24:25]
	v_cvt_f32_f16_e32 v17, v33
	v_cvt_f32_f16_e32 v26, v16
	v_mov_b32_e32 v10, 0
	s_delay_alu instid0(VALU_DEP_3) | instskip(NEXT) | instid1(VALU_DEP_3)
	v_mul_f32_e32 v16, v1, v17
	v_mul_f32_e32 v17, v1, v26
	s_delay_alu instid0(VALU_DEP_3) | instskip(NEXT) | instid1(VALU_DEP_1)
	v_lshlrev_b64 v[9:10], 2, v[9:10]
	v_add_co_u32 v9, vcc_lo, s28, v9
	s_delay_alu instid0(VALU_DEP_2)
	v_add_co_ci_u32_e32 v10, vcc_lo, s29, v10, vcc_lo
	global_store_b64 v[9:10], v[16:17], off
	s_or_b32 exec_lo, exec_lo, s3
	s_and_saveexec_b32 s3, s1
	s_cbranch_execnz .LBB0_39
	s_branch .LBB0_40
.LBB0_63:
	v_div_scale_f32 v0, null, v11, v11, 1.0
	s_delay_alu instid0(VALU_DEP_1) | instskip(SKIP_2) | instid1(VALU_DEP_1)
	v_rcp_f32_e32 v1, v0
	s_waitcnt_depctr 0xfff
	v_fma_f32 v2, -v0, v1, 1.0
	v_fmac_f32_e32 v1, v2, v1
	v_div_scale_f32 v2, vcc_lo, 1.0, v11, 1.0
	s_delay_alu instid0(VALU_DEP_1) | instskip(NEXT) | instid1(VALU_DEP_1)
	v_mul_f32_e32 v9, v2, v1
	v_fma_f32 v10, -v0, v9, v2
	s_delay_alu instid0(VALU_DEP_1) | instskip(NEXT) | instid1(VALU_DEP_1)
	v_fmac_f32_e32 v9, v10, v1
	v_fma_f32 v0, -v0, v9, v2
	s_delay_alu instid0(VALU_DEP_1) | instskip(NEXT) | instid1(VALU_DEP_1)
	v_div_fmas_f32 v0, v0, v1, v9
	v_div_fixup_f32 v1, v0, v11, 1.0
	v_add_nc_u32_e32 v2, s0, v8
	s_delay_alu instid0(VALU_DEP_1)
	v_add_nc_u32_e32 v0, s14, v2
	s_and_saveexec_b32 s3, s2
	s_cbranch_execz .LBB0_42
.LBB0_64:
	s_delay_alu instid0(VALU_DEP_1) | instskip(SKIP_3) | instid1(VALU_DEP_3)
	v_mad_u64_u32 v[8:9], null, v0, 40, v[24:25]
	v_lshrrev_b32_e32 v10, 16, v32
	v_cvt_f32_f16_e32 v11, v32
	v_mov_b32_e32 v9, 0
	v_cvt_f32_f16_e32 v16, v10
	s_delay_alu instid0(VALU_DEP_3) | instskip(NEXT) | instid1(VALU_DEP_3)
	v_mul_f32_e32 v10, v1, v11
	v_lshlrev_b64 v[8:9], 2, v[8:9]
	s_delay_alu instid0(VALU_DEP_3) | instskip(NEXT) | instid1(VALU_DEP_2)
	v_mul_f32_e32 v11, v1, v16
	v_add_co_u32 v8, vcc_lo, s28, v8
	s_delay_alu instid0(VALU_DEP_3)
	v_add_co_ci_u32_e32 v9, vcc_lo, s29, v9, vcc_lo
	global_store_b64 v[8:9], v[10:11], off
	s_or_b32 exec_lo, exec_lo, s3
	s_and_saveexec_b32 s3, s1
	s_cbranch_execnz .LBB0_43
	s_branch .LBB0_44
.LBB0_65:
	v_div_scale_f32 v0, null, v12, v12, 1.0
	s_delay_alu instid0(VALU_DEP_1) | instskip(SKIP_2) | instid1(VALU_DEP_1)
	v_rcp_f32_e32 v1, v0
	s_waitcnt_depctr 0xfff
	v_fma_f32 v3, -v0, v1, 1.0
	v_fmac_f32_e32 v1, v3, v1
	v_div_scale_f32 v3, vcc_lo, 1.0, v12, 1.0
	s_delay_alu instid0(VALU_DEP_1) | instskip(NEXT) | instid1(VALU_DEP_1)
	v_mul_f32_e32 v8, v3, v1
	v_fma_f32 v9, -v0, v8, v3
	s_delay_alu instid0(VALU_DEP_1) | instskip(NEXT) | instid1(VALU_DEP_1)
	v_fmac_f32_e32 v8, v9, v1
	v_fma_f32 v0, -v0, v8, v3
	s_delay_alu instid0(VALU_DEP_1) | instskip(NEXT) | instid1(VALU_DEP_1)
	v_div_fmas_f32 v0, v0, v1, v8
	v_div_fixup_f32 v1, v0, v12, 1.0
	v_add_nc_u32_e32 v2, s0, v2
	s_delay_alu instid0(VALU_DEP_1)
	v_add_nc_u32_e32 v0, s14, v2
	s_and_saveexec_b32 s3, s2
	s_cbranch_execz .LBB0_46
.LBB0_66:
	s_delay_alu instid0(VALU_DEP_1) | instskip(SKIP_3) | instid1(VALU_DEP_3)
	v_mad_u64_u32 v[8:9], null, v0, 40, v[24:25]
	v_cvt_f32_f16_e32 v10, v31
	v_mov_b32_e32 v9, 0
	v_lshrrev_b32_e32 v3, 16, v31
	v_mul_f32_e32 v10, v1, v10
	s_delay_alu instid0(VALU_DEP_3) | instskip(NEXT) | instid1(VALU_DEP_3)
	v_lshlrev_b64 v[8:9], 2, v[8:9]
	v_cvt_f32_f16_e32 v3, v3
	s_delay_alu instid0(VALU_DEP_1) | instskip(NEXT) | instid1(VALU_DEP_3)
	v_mul_f32_e32 v11, v1, v3
	v_add_co_u32 v8, vcc_lo, s28, v8
	s_delay_alu instid0(VALU_DEP_4)
	v_add_co_ci_u32_e32 v9, vcc_lo, s29, v9, vcc_lo
	global_store_b64 v[8:9], v[10:11], off
	s_or_b32 exec_lo, exec_lo, s3
	s_and_saveexec_b32 s3, s1
	s_cbranch_execnz .LBB0_47
	s_branch .LBB0_48
.LBB0_67:
	v_div_scale_f32 v0, null, v13, v13, 1.0
	s_delay_alu instid0(VALU_DEP_1) | instskip(SKIP_2) | instid1(VALU_DEP_1)
	v_rcp_f32_e32 v1, v0
	s_waitcnt_depctr 0xfff
	v_fma_f32 v3, -v0, v1, 1.0
	v_fmac_f32_e32 v1, v3, v1
	v_div_scale_f32 v3, vcc_lo, 1.0, v13, 1.0
	s_delay_alu instid0(VALU_DEP_1) | instskip(NEXT) | instid1(VALU_DEP_1)
	v_mul_f32_e32 v4, v3, v1
	v_fma_f32 v8, -v0, v4, v3
	s_delay_alu instid0(VALU_DEP_1) | instskip(NEXT) | instid1(VALU_DEP_1)
	v_fmac_f32_e32 v4, v8, v1
	v_fma_f32 v0, -v0, v4, v3
	s_delay_alu instid0(VALU_DEP_1) | instskip(NEXT) | instid1(VALU_DEP_1)
	v_div_fmas_f32 v0, v0, v1, v4
	v_div_fixup_f32 v1, v0, v13, 1.0
	v_add_nc_u32_e32 v2, s0, v2
	s_delay_alu instid0(VALU_DEP_1)
	v_add_nc_u32_e32 v0, s14, v2
	s_and_saveexec_b32 s3, s2
	s_cbranch_execz .LBB0_50
.LBB0_68:
	v_lshrrev_b32_e32 v8, 16, v30
	s_delay_alu instid0(VALU_DEP_2) | instskip(SKIP_1) | instid1(VALU_DEP_3)
	v_mad_u64_u32 v[3:4], null, v0, 40, v[24:25]
	v_cvt_f32_f16_e32 v9, v30
	v_cvt_f32_f16_e32 v10, v8
	v_mov_b32_e32 v4, 0
	s_delay_alu instid0(VALU_DEP_3) | instskip(NEXT) | instid1(VALU_DEP_3)
	v_mul_f32_e32 v8, v1, v9
	v_mul_f32_e32 v9, v1, v10
	s_delay_alu instid0(VALU_DEP_3) | instskip(NEXT) | instid1(VALU_DEP_1)
	v_lshlrev_b64 v[3:4], 2, v[3:4]
	v_add_co_u32 v3, vcc_lo, s28, v3
	s_delay_alu instid0(VALU_DEP_2)
	v_add_co_ci_u32_e32 v4, vcc_lo, s29, v4, vcc_lo
	global_store_b64 v[3:4], v[8:9], off
	s_or_b32 exec_lo, exec_lo, s3
	s_and_saveexec_b32 s3, s1
	s_cbranch_execnz .LBB0_51
	s_branch .LBB0_52
.LBB0_69:
	v_div_scale_f32 v0, null, v14, v14, 1.0
	s_delay_alu instid0(VALU_DEP_1) | instskip(SKIP_2) | instid1(VALU_DEP_1)
	v_rcp_f32_e32 v1, v0
	s_waitcnt_depctr 0xfff
	v_fma_f32 v3, -v0, v1, 1.0
	v_fmac_f32_e32 v1, v3, v1
	v_div_scale_f32 v3, vcc_lo, 1.0, v14, 1.0
	s_delay_alu instid0(VALU_DEP_1) | instskip(NEXT) | instid1(VALU_DEP_1)
	v_mul_f32_e32 v4, v3, v1
	v_fma_f32 v5, -v0, v4, v3
	s_delay_alu instid0(VALU_DEP_1) | instskip(NEXT) | instid1(VALU_DEP_1)
	v_fmac_f32_e32 v4, v5, v1
	v_fma_f32 v0, -v0, v4, v3
	s_delay_alu instid0(VALU_DEP_1) | instskip(NEXT) | instid1(VALU_DEP_1)
	v_div_fmas_f32 v0, v0, v1, v4
	v_div_fixup_f32 v1, v0, v14, 1.0
	v_add_nc_u32_e32 v2, s0, v2
	s_delay_alu instid0(VALU_DEP_1)
	v_add_nc_u32_e32 v0, s14, v2
	s_and_saveexec_b32 s3, s2
	s_cbranch_execz .LBB0_54
.LBB0_70:
	v_lshrrev_b32_e32 v5, 16, v29
	s_delay_alu instid0(VALU_DEP_2) | instskip(SKIP_1) | instid1(VALU_DEP_3)
	v_mad_u64_u32 v[3:4], null, v0, 40, v[24:25]
	v_cvt_f32_f16_e32 v8, v29
	v_cvt_f32_f16_e32 v5, v5
	v_mov_b32_e32 v4, 0
	s_delay_alu instid0(VALU_DEP_3) | instskip(NEXT) | instid1(VALU_DEP_3)
	v_mul_f32_e32 v8, v1, v8
	v_mul_f32_e32 v9, v1, v5
	s_delay_alu instid0(VALU_DEP_3) | instskip(NEXT) | instid1(VALU_DEP_1)
	v_lshlrev_b64 v[3:4], 2, v[3:4]
	v_add_co_u32 v3, vcc_lo, s28, v3
	s_delay_alu instid0(VALU_DEP_2)
	v_add_co_ci_u32_e32 v4, vcc_lo, s29, v4, vcc_lo
	global_store_b64 v[3:4], v[8:9], off
	s_or_b32 exec_lo, exec_lo, s3
	s_and_saveexec_b32 s3, s1
	s_cbranch_execnz .LBB0_55
	s_branch .LBB0_56
.LBB0_71:
	v_div_scale_f32 v0, null, v15, v15, 1.0
	s_delay_alu instid0(VALU_DEP_1) | instskip(SKIP_2) | instid1(VALU_DEP_1)
	v_rcp_f32_e32 v1, v0
	s_waitcnt_depctr 0xfff
	v_fma_f32 v3, -v0, v1, 1.0
	v_fmac_f32_e32 v1, v3, v1
	v_div_scale_f32 v3, vcc_lo, 1.0, v15, 1.0
	s_delay_alu instid0(VALU_DEP_1) | instskip(NEXT) | instid1(VALU_DEP_1)
	v_mul_f32_e32 v4, v3, v1
	v_fma_f32 v5, -v0, v4, v3
	s_delay_alu instid0(VALU_DEP_1) | instskip(NEXT) | instid1(VALU_DEP_1)
	v_fmac_f32_e32 v4, v5, v1
	v_fma_f32 v0, -v0, v4, v3
	s_delay_alu instid0(VALU_DEP_1) | instskip(NEXT) | instid1(VALU_DEP_1)
	v_div_fmas_f32 v0, v0, v1, v4
	v_div_fixup_f32 v1, v0, v15, 1.0
	v_add3_u32 v0, s14, s0, v2
	s_and_saveexec_b32 s0, s2
	s_cbranch_execz .LBB0_58
.LBB0_72:
	s_delay_alu instid0(VALU_DEP_1) | instskip(SKIP_3) | instid1(VALU_DEP_3)
	v_mad_u64_u32 v[2:3], null, v0, 40, v[24:25]
	v_lshrrev_b32_e32 v4, 16, v28
	v_cvt_f32_f16_e32 v5, v28
	v_mov_b32_e32 v3, 0
	v_cvt_f32_f16_e32 v6, v4
	s_delay_alu instid0(VALU_DEP_3) | instskip(NEXT) | instid1(VALU_DEP_3)
	v_mul_f32_e32 v4, v1, v5
	v_lshlrev_b64 v[2:3], 2, v[2:3]
	s_delay_alu instid0(VALU_DEP_3) | instskip(NEXT) | instid1(VALU_DEP_2)
	v_mul_f32_e32 v5, v1, v6
	v_add_co_u32 v1, vcc_lo, s28, v2
	s_delay_alu instid0(VALU_DEP_3) | instskip(SKIP_2) | instid1(SALU_CYCLE_1)
	v_add_co_ci_u32_e32 v2, vcc_lo, s29, v3, vcc_lo
	global_store_b64 v[1:2], v[4:5], off
	s_or_b32 exec_lo, exec_lo, s0
	s_and_b32 exec_lo, exec_lo, s1
	s_cbranch_execz .LBB0_24
.LBB0_73:
	v_ashrrev_i32_e32 v1, 31, v0
	v_mov_b32_e32 v22, v7
	s_delay_alu instid0(VALU_DEP_2) | instskip(NEXT) | instid1(VALU_DEP_1)
	v_lshlrev_b64 v[0:1], 3, v[0:1]
	v_add_co_u32 v0, vcc_lo, s30, v0
	s_delay_alu instid0(VALU_DEP_2)
	v_add_co_ci_u32_e32 v1, vcc_lo, s31, v1, vcc_lo
	global_store_b64 v[0:1], v[22:23], off
	s_nop 0
	s_sendmsg sendmsg(MSG_DEALLOC_VGPRS)
	s_endpgm
	.section	.rodata,"a",@progbits
	.p2align	6, 0x0
	.amdhsa_kernel _ZL15flash_attn_tileILi40ELi40ELi8ELi8ELb0EEvPKcS1_S1_S1_S1_PKiPfP15HIP_vector_typeIfLj2EEffffjfiS5_IjLj3EEiiiiiiiiiiiliiliiiiil
		.amdhsa_group_segment_fixed_size 12384
		.amdhsa_private_segment_fixed_size 0
		.amdhsa_kernarg_size 464
		.amdhsa_user_sgpr_count 13
		.amdhsa_user_sgpr_dispatch_ptr 0
		.amdhsa_user_sgpr_queue_ptr 0
		.amdhsa_user_sgpr_kernarg_segment_ptr 1
		.amdhsa_user_sgpr_dispatch_id 0
		.amdhsa_user_sgpr_private_segment_size 0
		.amdhsa_wavefront_size32 1
		.amdhsa_uses_dynamic_stack 0
		.amdhsa_enable_private_segment 0
		.amdhsa_system_sgpr_workgroup_id_x 1
		.amdhsa_system_sgpr_workgroup_id_y 1
		.amdhsa_system_sgpr_workgroup_id_z 1
		.amdhsa_system_sgpr_workgroup_info 0
		.amdhsa_system_vgpr_workitem_id 1
		.amdhsa_next_free_vgpr 99
		.amdhsa_next_free_sgpr 48
		.amdhsa_reserve_vcc 1
		.amdhsa_float_round_mode_32 0
		.amdhsa_float_round_mode_16_64 0
		.amdhsa_float_denorm_mode_32 3
		.amdhsa_float_denorm_mode_16_64 3
		.amdhsa_dx10_clamp 1
		.amdhsa_ieee_mode 1
		.amdhsa_fp16_overflow 0
		.amdhsa_workgroup_processor_mode 1
		.amdhsa_memory_ordered 1
		.amdhsa_forward_progress 0
		.amdhsa_shared_vgpr_count 0
		.amdhsa_exception_fp_ieee_invalid_op 0
		.amdhsa_exception_fp_denorm_src 0
		.amdhsa_exception_fp_ieee_div_zero 0
		.amdhsa_exception_fp_ieee_overflow 0
		.amdhsa_exception_fp_ieee_underflow 0
		.amdhsa_exception_fp_ieee_inexact 0
		.amdhsa_exception_int_div_zero 0
	.end_amdhsa_kernel
	.section	.text._ZL15flash_attn_tileILi40ELi40ELi8ELi8ELb0EEvPKcS1_S1_S1_S1_PKiPfP15HIP_vector_typeIfLj2EEffffjfiS5_IjLj3EEiiiiiiiiiiiliiliiiiil,"axG",@progbits,_ZL15flash_attn_tileILi40ELi40ELi8ELi8ELb0EEvPKcS1_S1_S1_S1_PKiPfP15HIP_vector_typeIfLj2EEffffjfiS5_IjLj3EEiiiiiiiiiiiliiliiiiil,comdat
.Lfunc_end0:
	.size	_ZL15flash_attn_tileILi40ELi40ELi8ELi8ELb0EEvPKcS1_S1_S1_S1_PKiPfP15HIP_vector_typeIfLj2EEffffjfiS5_IjLj3EEiiiiiiiiiiiliiliiiiil, .Lfunc_end0-_ZL15flash_attn_tileILi40ELi40ELi8ELi8ELb0EEvPKcS1_S1_S1_S1_PKiPfP15HIP_vector_typeIfLj2EEffffjfiS5_IjLj3EEiiiiiiiiiiiliiliiiiil
                                        ; -- End function
	.section	.AMDGPU.csdata,"",@progbits
; Kernel info:
; codeLenInByte = 17000
; NumSgprs: 50
; NumVgprs: 99
; ScratchSize: 0
; MemoryBound: 0
; FloatMode: 240
; IeeeMode: 1
; LDSByteSize: 12384 bytes/workgroup (compile time only)
; SGPRBlocks: 6
; VGPRBlocks: 12
; NumSGPRsForWavesPerEU: 50
; NumVGPRsForWavesPerEU: 99
; Occupancy: 12
; WaveLimiterHint : 1
; COMPUTE_PGM_RSRC2:SCRATCH_EN: 0
; COMPUTE_PGM_RSRC2:USER_SGPR: 13
; COMPUTE_PGM_RSRC2:TRAP_HANDLER: 0
; COMPUTE_PGM_RSRC2:TGID_X_EN: 1
; COMPUTE_PGM_RSRC2:TGID_Y_EN: 1
; COMPUTE_PGM_RSRC2:TGID_Z_EN: 1
; COMPUTE_PGM_RSRC2:TIDIG_COMP_CNT: 1
	.section	.text._ZL25flash_attn_mask_to_KV_maxILi8EEvPK7__half2Piiii,"axG",@progbits,_ZL25flash_attn_mask_to_KV_maxILi8EEvPK7__half2Piiii,comdat
	.globl	_ZL25flash_attn_mask_to_KV_maxILi8EEvPK7__half2Piiii ; -- Begin function _ZL25flash_attn_mask_to_KV_maxILi8EEvPK7__half2Piiii
	.p2align	8
	.type	_ZL25flash_attn_mask_to_KV_maxILi8EEvPK7__half2Piiii,@function
_ZL25flash_attn_mask_to_KV_maxILi8EEvPK7__half2Piiii: ; @_ZL25flash_attn_mask_to_KV_maxILi8EEvPK7__half2Piiii
; %bb.0:
	s_load_b128 s[4:7], s[0:1], 0x0
	s_mov_b32 s2, exec_lo
	v_cmpx_gt_u32_e32 32, v0
	s_cbranch_execz .LBB1_2
; %bb.1:
	v_dual_mov_b32 v2, 1 :: v_dual_lshlrev_b32 v1, 2, v0
	ds_store_b32 v1, v2
.LBB1_2:
	s_or_b32 exec_lo, exec_lo, s2
	s_clause 0x1
	s_load_b128 s[8:11], s[0:1], 0x10
	s_load_b32 s1, s[0:1], 0x20
	v_dual_mov_b32 v2, 0 :: v_dual_and_b32 v1, 31, v0
	v_lshrrev_b32_e32 v5, 3, v0
	s_waitcnt lgkmcnt(0)
	s_barrier
	s_delay_alu instid0(VALU_DEP_2) | instskip(SKIP_4) | instid1(SALU_CYCLE_1)
	v_lshlrev_b32_e32 v6, 2, v1
	buffer_gl0_inv
	s_mul_i32 s0, s14, s9
	s_mul_i32 s2, s15, s10
	s_lshl_b32 s0, s0, 3
	s_add_i32 s2, s2, s0
	v_cmp_eq_u32_e64 s0, 0, v1
	s_ashr_i32 s3, s2, 31
	s_delay_alu instid0(SALU_CYCLE_1) | instskip(NEXT) | instid1(SALU_CYCLE_1)
	s_lshl_b64 s[10:11], s[2:3], 2
	s_add_u32 s3, s4, s10
	s_addc_u32 s4, s5, s11
	s_lshl_b32 s5, s8, 8
	s_branch .LBB1_4
.LBB1_3:                                ;   in Loop: Header=BB1_4 Depth=1
	s_or_b32 exec_lo, exec_lo, s10
	s_waitcnt lgkmcnt(0)
	s_barrier
	buffer_gl0_inv
	ds_load_b32 v1, v6
	s_waitcnt lgkmcnt(0)
	s_barrier
	buffer_gl0_inv
	;;#ASMSTART
	;;#ASMEND
	v_cmp_ne_u32_e32 vcc_lo, 0, v1
	s_cmp_lg_u32 vcc_lo, exec_lo
	s_cselect_b32 s8, -1, 0
	s_delay_alu instid0(SALU_CYCLE_1)
	s_and_b32 vcc_lo, exec_lo, s8
	s_cbranch_vccnz .LBB1_36
.LBB1_4:                                ; =>This Inner Loop Header: Depth=1
	s_mov_b32 s2, s5
	s_addk_i32 s5, 0xff00
	s_delay_alu instid0(SALU_CYCLE_1)
	s_cmp_lt_i32 s5, 0
	s_cbranch_scc1 .LBB1_35
; %bb.5:                                ;   in Loop: Header=BB1_4 Depth=1
	s_lshr_b32 s8, s5, 1
	s_mov_b32 s10, 0
	v_add_nc_u32_e32 v1, s8, v0
	s_delay_alu instid0(VALU_DEP_1) | instskip(NEXT) | instid1(VALU_DEP_1)
	v_lshlrev_b64 v[3:4], 2, v[1:2]
	v_add_co_u32 v3, vcc_lo, s3, v3
	s_delay_alu instid0(VALU_DEP_2) | instskip(SKIP_4) | instid1(VALU_DEP_2)
	v_add_co_ci_u32_e32 v4, vcc_lo, s4, v4, vcc_lo
	global_load_b32 v3, v[3:4], off
	s_waitcnt vmcnt(0)
	v_lshrrev_b32_e32 v4, 16, v3
	v_cmp_class_f16_e64 s8, v3, 0x204
	v_and_b32_e32 v4, 0x7fff, v4
	s_delay_alu instid0(VALU_DEP_1) | instskip(NEXT) | instid1(VALU_DEP_3)
	v_cmp_eq_f16_e32 vcc_lo, 0x7c00, v4
	s_and_b32 s11, s8, vcc_lo
	s_delay_alu instid0(SALU_CYCLE_1)
	s_and_saveexec_b32 s8, s11
	s_cbranch_execz .LBB1_33
; %bb.6:                                ;   in Loop: Header=BB1_4 Depth=1
	v_add_nc_u32_e32 v3, s9, v1
	s_mov_b32 s11, 0
	s_delay_alu instid0(VALU_DEP_1) | instskip(NEXT) | instid1(VALU_DEP_1)
	v_ashrrev_i32_e32 v4, 31, v3
	v_lshlrev_b64 v[7:8], 2, v[3:4]
	s_delay_alu instid0(VALU_DEP_1) | instskip(NEXT) | instid1(VALU_DEP_2)
	v_add_co_u32 v7, vcc_lo, s3, v7
	v_add_co_ci_u32_e32 v8, vcc_lo, s4, v8, vcc_lo
	global_load_b32 v1, v[7:8], off
	s_waitcnt vmcnt(0)
	v_cmp_class_f16_e64 s12, v1, 0x204
	s_delay_alu instid0(VALU_DEP_1)
	s_and_saveexec_b32 s10, s12
	s_cbranch_execz .LBB1_32
; %bb.7:                                ;   in Loop: Header=BB1_4 Depth=1
	v_lshrrev_b32_e32 v1, 16, v1
	s_mov_b32 s12, 0
	s_delay_alu instid0(VALU_DEP_1) | instskip(NEXT) | instid1(VALU_DEP_1)
	v_cmp_class_f16_e64 s13, v1, 0x204
	s_and_saveexec_b32 s11, s13
	s_cbranch_execz .LBB1_31
; %bb.8:                                ;   in Loop: Header=BB1_4 Depth=1
	v_add_nc_u32_e32 v3, s9, v3
	s_mov_b32 s13, 0
	s_delay_alu instid0(VALU_DEP_1) | instskip(NEXT) | instid1(VALU_DEP_1)
	v_ashrrev_i32_e32 v4, 31, v3
	v_lshlrev_b64 v[7:8], 2, v[3:4]
	s_delay_alu instid0(VALU_DEP_1) | instskip(NEXT) | instid1(VALU_DEP_2)
	v_add_co_u32 v7, vcc_lo, s3, v7
	v_add_co_ci_u32_e32 v8, vcc_lo, s4, v8, vcc_lo
	global_load_b32 v1, v[7:8], off
	s_waitcnt vmcnt(0)
	v_cmp_class_f16_e64 s16, v1, 0x204
	s_delay_alu instid0(VALU_DEP_1)
	s_and_saveexec_b32 s12, s16
	s_cbranch_execz .LBB1_30
; %bb.9:                                ;   in Loop: Header=BB1_4 Depth=1
	v_lshrrev_b32_e32 v1, 16, v1
	s_mov_b32 s16, 0
	s_delay_alu instid0(VALU_DEP_1) | instskip(NEXT) | instid1(VALU_DEP_1)
	v_cmp_class_f16_e64 s17, v1, 0x204
	s_and_saveexec_b32 s13, s17
	s_cbranch_execz .LBB1_29
; %bb.10:                               ;   in Loop: Header=BB1_4 Depth=1
	v_add_nc_u32_e32 v3, s9, v3
	s_mov_b32 s17, 0
	s_delay_alu instid0(VALU_DEP_1) | instskip(NEXT) | instid1(VALU_DEP_1)
	v_ashrrev_i32_e32 v4, 31, v3
	v_lshlrev_b64 v[7:8], 2, v[3:4]
	s_delay_alu instid0(VALU_DEP_1) | instskip(NEXT) | instid1(VALU_DEP_2)
	v_add_co_u32 v7, vcc_lo, s3, v7
	v_add_co_ci_u32_e32 v8, vcc_lo, s4, v8, vcc_lo
	global_load_b32 v1, v[7:8], off
	s_waitcnt vmcnt(0)
	v_cmp_class_f16_e64 s18, v1, 0x204
	s_delay_alu instid0(VALU_DEP_1)
	s_and_saveexec_b32 s16, s18
	s_cbranch_execz .LBB1_28
; %bb.11:                               ;   in Loop: Header=BB1_4 Depth=1
	v_lshrrev_b32_e32 v1, 16, v1
	s_mov_b32 s18, 0
	s_delay_alu instid0(VALU_DEP_1) | instskip(NEXT) | instid1(VALU_DEP_1)
	v_cmp_class_f16_e64 s19, v1, 0x204
	s_and_saveexec_b32 s17, s19
	s_cbranch_execz .LBB1_27
; %bb.12:                               ;   in Loop: Header=BB1_4 Depth=1
	v_add_nc_u32_e32 v3, s9, v3
	s_mov_b32 s19, 0
	s_delay_alu instid0(VALU_DEP_1) | instskip(NEXT) | instid1(VALU_DEP_1)
	v_ashrrev_i32_e32 v4, 31, v3
	v_lshlrev_b64 v[7:8], 2, v[3:4]
	s_delay_alu instid0(VALU_DEP_1) | instskip(NEXT) | instid1(VALU_DEP_2)
	v_add_co_u32 v7, vcc_lo, s3, v7
	v_add_co_ci_u32_e32 v8, vcc_lo, s4, v8, vcc_lo
	global_load_b32 v1, v[7:8], off
	s_waitcnt vmcnt(0)
	v_cmp_class_f16_e64 s20, v1, 0x204
	s_delay_alu instid0(VALU_DEP_1)
	s_and_saveexec_b32 s18, s20
	s_cbranch_execz .LBB1_26
; %bb.13:                               ;   in Loop: Header=BB1_4 Depth=1
	v_lshrrev_b32_e32 v1, 16, v1
	s_mov_b32 s20, 0
	s_delay_alu instid0(VALU_DEP_1) | instskip(NEXT) | instid1(VALU_DEP_1)
	v_cmp_class_f16_e64 s21, v1, 0x204
	s_and_saveexec_b32 s19, s21
	s_cbranch_execz .LBB1_25
; %bb.14:                               ;   in Loop: Header=BB1_4 Depth=1
	v_add_nc_u32_e32 v3, s9, v3
	s_mov_b32 s21, 0
	s_delay_alu instid0(VALU_DEP_1) | instskip(NEXT) | instid1(VALU_DEP_1)
	v_ashrrev_i32_e32 v4, 31, v3
	v_lshlrev_b64 v[7:8], 2, v[3:4]
	s_delay_alu instid0(VALU_DEP_1) | instskip(NEXT) | instid1(VALU_DEP_2)
	v_add_co_u32 v7, vcc_lo, s3, v7
	v_add_co_ci_u32_e32 v8, vcc_lo, s4, v8, vcc_lo
	global_load_b32 v1, v[7:8], off
	s_waitcnt vmcnt(0)
	v_cmp_class_f16_e64 s22, v1, 0x204
	s_delay_alu instid0(VALU_DEP_1)
	s_and_saveexec_b32 s20, s22
	s_cbranch_execz .LBB1_24
; %bb.15:                               ;   in Loop: Header=BB1_4 Depth=1
	v_lshrrev_b32_e32 v1, 16, v1
	s_mov_b32 s22, 0
	s_delay_alu instid0(VALU_DEP_1) | instskip(NEXT) | instid1(VALU_DEP_1)
	v_cmp_class_f16_e64 s23, v1, 0x204
	s_and_saveexec_b32 s21, s23
	s_cbranch_execz .LBB1_23
; %bb.16:                               ;   in Loop: Header=BB1_4 Depth=1
	v_add_nc_u32_e32 v3, s9, v3
	s_mov_b32 s23, 0
	s_delay_alu instid0(VALU_DEP_1) | instskip(NEXT) | instid1(VALU_DEP_1)
	v_ashrrev_i32_e32 v4, 31, v3
	v_lshlrev_b64 v[7:8], 2, v[3:4]
	s_delay_alu instid0(VALU_DEP_1) | instskip(NEXT) | instid1(VALU_DEP_2)
	v_add_co_u32 v7, vcc_lo, s3, v7
	v_add_co_ci_u32_e32 v8, vcc_lo, s4, v8, vcc_lo
	global_load_b32 v1, v[7:8], off
	s_waitcnt vmcnt(0)
	v_cmp_class_f16_e64 s24, v1, 0x204
	s_delay_alu instid0(VALU_DEP_1)
	s_and_saveexec_b32 s22, s24
	s_cbranch_execz .LBB1_22
; %bb.17:                               ;   in Loop: Header=BB1_4 Depth=1
	v_lshrrev_b32_e32 v1, 16, v1
	s_mov_b32 s24, 0
	s_delay_alu instid0(VALU_DEP_1) | instskip(NEXT) | instid1(VALU_DEP_1)
	v_cmp_class_f16_e64 s25, v1, 0x204
	s_and_saveexec_b32 s23, s25
	s_cbranch_execz .LBB1_21
; %bb.18:                               ;   in Loop: Header=BB1_4 Depth=1
	v_add_nc_u32_e32 v3, s9, v3
	s_delay_alu instid0(VALU_DEP_1) | instskip(NEXT) | instid1(VALU_DEP_1)
	v_ashrrev_i32_e32 v4, 31, v3
	v_lshlrev_b64 v[3:4], 2, v[3:4]
	s_delay_alu instid0(VALU_DEP_1) | instskip(NEXT) | instid1(VALU_DEP_2)
	v_add_co_u32 v3, vcc_lo, s3, v3
	v_add_co_ci_u32_e32 v4, vcc_lo, s4, v4, vcc_lo
	global_load_b32 v1, v[3:4], off
	s_waitcnt vmcnt(0)
	v_cmp_class_f16_e64 s26, v1, 0x204
	s_delay_alu instid0(VALU_DEP_1)
	s_and_saveexec_b32 s25, s26
; %bb.19:                               ;   in Loop: Header=BB1_4 Depth=1
	v_lshrrev_b32_e32 v1, 16, v1
	s_delay_alu instid0(VALU_DEP_1) | instskip(NEXT) | instid1(VALU_DEP_1)
	v_cmp_class_f16_e64 s24, v1, 0x204
	s_and_b32 s24, s24, exec_lo
; %bb.20:                               ;   in Loop: Header=BB1_4 Depth=1
	s_or_b32 exec_lo, exec_lo, s25
	s_delay_alu instid0(SALU_CYCLE_1)
	s_and_b32 s24, s24, exec_lo
.LBB1_21:                               ;   in Loop: Header=BB1_4 Depth=1
	s_or_b32 exec_lo, exec_lo, s23
	s_delay_alu instid0(SALU_CYCLE_1)
	s_and_b32 s23, s24, exec_lo
.LBB1_22:                               ;   in Loop: Header=BB1_4 Depth=1
	s_or_b32 exec_lo, exec_lo, s22
	s_delay_alu instid0(SALU_CYCLE_1)
	s_and_b32 s22, s23, exec_lo
.LBB1_23:                               ;   in Loop: Header=BB1_4 Depth=1
	s_or_b32 exec_lo, exec_lo, s21
	s_delay_alu instid0(SALU_CYCLE_1)
	s_and_b32 s21, s22, exec_lo
.LBB1_24:                               ;   in Loop: Header=BB1_4 Depth=1
	s_or_b32 exec_lo, exec_lo, s20
	s_delay_alu instid0(SALU_CYCLE_1)
	s_and_b32 s20, s21, exec_lo
.LBB1_25:                               ;   in Loop: Header=BB1_4 Depth=1
	s_or_b32 exec_lo, exec_lo, s19
	s_delay_alu instid0(SALU_CYCLE_1)
	s_and_b32 s19, s20, exec_lo
.LBB1_26:                               ;   in Loop: Header=BB1_4 Depth=1
	s_or_b32 exec_lo, exec_lo, s18
	s_delay_alu instid0(SALU_CYCLE_1)
	s_and_b32 s18, s19, exec_lo
.LBB1_27:                               ;   in Loop: Header=BB1_4 Depth=1
	s_or_b32 exec_lo, exec_lo, s17
	s_delay_alu instid0(SALU_CYCLE_1)
	s_and_b32 s17, s18, exec_lo
.LBB1_28:                               ;   in Loop: Header=BB1_4 Depth=1
	s_or_b32 exec_lo, exec_lo, s16
	s_delay_alu instid0(SALU_CYCLE_1)
	s_and_b32 s16, s17, exec_lo
.LBB1_29:                               ;   in Loop: Header=BB1_4 Depth=1
	s_or_b32 exec_lo, exec_lo, s13
	s_delay_alu instid0(SALU_CYCLE_1)
	s_and_b32 s13, s16, exec_lo
.LBB1_30:                               ;   in Loop: Header=BB1_4 Depth=1
	s_or_b32 exec_lo, exec_lo, s12
	s_delay_alu instid0(SALU_CYCLE_1)
	s_and_b32 s12, s13, exec_lo
.LBB1_31:                               ;   in Loop: Header=BB1_4 Depth=1
	s_or_b32 exec_lo, exec_lo, s11
	s_delay_alu instid0(SALU_CYCLE_1)
	s_and_b32 s11, s12, exec_lo
.LBB1_32:                               ;   in Loop: Header=BB1_4 Depth=1
	s_or_b32 exec_lo, exec_lo, s10
	s_delay_alu instid0(SALU_CYCLE_1)
	s_and_b32 s10, s11, exec_lo
.LBB1_33:                               ;   in Loop: Header=BB1_4 Depth=1
	s_or_b32 exec_lo, exec_lo, s8
	v_cndmask_b32_e64 v1, 0, 1, s10
	;;#ASMSTART
	;;#ASMEND
	s_delay_alu instid0(VALU_DEP_1)
	v_cmp_ne_u32_e32 vcc_lo, 0, v1
	s_mov_b32 s8, exec_lo
	s_and_saveexec_b32 s10, s0
	s_cbranch_execz .LBB1_3
; %bb.34:                               ;   in Loop: Header=BB1_4 Depth=1
	s_cmp_eq_u32 vcc_lo, s8
	s_cselect_b32 s8, -1, 0
	s_delay_alu instid0(SALU_CYCLE_1)
	v_cndmask_b32_e64 v1, 0, 1, s8
	ds_store_b32 v5, v1
	s_branch .LBB1_3
.LBB1_35:                               ;   in Loop: Header=BB1_4 Depth=1
                                        ; implicit-def: $sgpr5
	s_cbranch_execz .LBB1_4
.LBB1_36:
	s_mov_b32 s0, exec_lo
	v_cmpx_eq_u32_e32 0, v0
	s_cbranch_execz .LBB1_38
; %bb.37:
	s_mul_i32 s0, s1, s15
	v_dual_mov_b32 v0, 0 :: v_dual_mov_b32 v1, s2
	s_add_i32 s0, s0, s14
	s_delay_alu instid0(SALU_CYCLE_1) | instskip(NEXT) | instid1(SALU_CYCLE_1)
	s_ashr_i32 s1, s0, 31
	s_lshl_b64 s[0:1], s[0:1], 2
	s_delay_alu instid0(SALU_CYCLE_1)
	s_add_u32 s0, s6, s0
	s_addc_u32 s1, s7, s1
	global_store_b32 v0, v1, s[0:1]
.LBB1_38:
	s_nop 0
	s_sendmsg sendmsg(MSG_DEALLOC_VGPRS)
	s_endpgm
	.section	.rodata,"a",@progbits
	.p2align	6, 0x0
	.amdhsa_kernel _ZL25flash_attn_mask_to_KV_maxILi8EEvPK7__half2Piiii
		.amdhsa_group_segment_fixed_size 128
		.amdhsa_private_segment_fixed_size 0
		.amdhsa_kernarg_size 288
		.amdhsa_user_sgpr_count 14
		.amdhsa_user_sgpr_dispatch_ptr 0
		.amdhsa_user_sgpr_queue_ptr 0
		.amdhsa_user_sgpr_kernarg_segment_ptr 1
		.amdhsa_user_sgpr_dispatch_id 0
		.amdhsa_user_sgpr_private_segment_size 0
		.amdhsa_wavefront_size32 1
		.amdhsa_uses_dynamic_stack 0
		.amdhsa_enable_private_segment 0
		.amdhsa_system_sgpr_workgroup_id_x 1
		.amdhsa_system_sgpr_workgroup_id_y 1
		.amdhsa_system_sgpr_workgroup_id_z 0
		.amdhsa_system_sgpr_workgroup_info 0
		.amdhsa_system_vgpr_workitem_id 0
		.amdhsa_next_free_vgpr 9
		.amdhsa_next_free_sgpr 27
		.amdhsa_reserve_vcc 1
		.amdhsa_float_round_mode_32 0
		.amdhsa_float_round_mode_16_64 0
		.amdhsa_float_denorm_mode_32 3
		.amdhsa_float_denorm_mode_16_64 3
		.amdhsa_dx10_clamp 1
		.amdhsa_ieee_mode 1
		.amdhsa_fp16_overflow 0
		.amdhsa_workgroup_processor_mode 1
		.amdhsa_memory_ordered 1
		.amdhsa_forward_progress 0
		.amdhsa_shared_vgpr_count 0
		.amdhsa_exception_fp_ieee_invalid_op 0
		.amdhsa_exception_fp_denorm_src 0
		.amdhsa_exception_fp_ieee_div_zero 0
		.amdhsa_exception_fp_ieee_overflow 0
		.amdhsa_exception_fp_ieee_underflow 0
		.amdhsa_exception_fp_ieee_inexact 0
		.amdhsa_exception_int_div_zero 0
	.end_amdhsa_kernel
	.section	.text._ZL25flash_attn_mask_to_KV_maxILi8EEvPK7__half2Piiii,"axG",@progbits,_ZL25flash_attn_mask_to_KV_maxILi8EEvPK7__half2Piiii,comdat
.Lfunc_end1:
	.size	_ZL25flash_attn_mask_to_KV_maxILi8EEvPK7__half2Piiii, .Lfunc_end1-_ZL25flash_attn_mask_to_KV_maxILi8EEvPK7__half2Piiii
                                        ; -- End function
	.section	.AMDGPU.csdata,"",@progbits
; Kernel info:
; codeLenInByte = 1376
; NumSgprs: 29
; NumVgprs: 9
; ScratchSize: 0
; MemoryBound: 0
; FloatMode: 240
; IeeeMode: 1
; LDSByteSize: 128 bytes/workgroup (compile time only)
; SGPRBlocks: 3
; VGPRBlocks: 1
; NumSGPRsForWavesPerEU: 29
; NumVGPRsForWavesPerEU: 9
; Occupancy: 16
; WaveLimiterHint : 0
; COMPUTE_PGM_RSRC2:SCRATCH_EN: 0
; COMPUTE_PGM_RSRC2:USER_SGPR: 14
; COMPUTE_PGM_RSRC2:TRAP_HANDLER: 0
; COMPUTE_PGM_RSRC2:TGID_X_EN: 1
; COMPUTE_PGM_RSRC2:TGID_Y_EN: 1
; COMPUTE_PGM_RSRC2:TGID_Z_EN: 0
; COMPUTE_PGM_RSRC2:TIDIG_COMP_CNT: 0
	.section	.text._ZL33flash_attn_stream_k_fixup_uniformILi40ELi8ELi8EEvPfPK15HIP_vector_typeIfLj2EEiiiiiiS1_IjLj3EES5_S5_,"axG",@progbits,_ZL33flash_attn_stream_k_fixup_uniformILi40ELi8ELi8EEvPfPK15HIP_vector_typeIfLj2EEiiiiiiS1_IjLj3EES5_S5_,comdat
	.globl	_ZL33flash_attn_stream_k_fixup_uniformILi40ELi8ELi8EEvPfPK15HIP_vector_typeIfLj2EEiiiiiiS1_IjLj3EES5_S5_ ; -- Begin function _ZL33flash_attn_stream_k_fixup_uniformILi40ELi8ELi8EEvPfPK15HIP_vector_typeIfLj2EEiiiiiiS1_IjLj3EES5_S5_
	.p2align	8
	.type	_ZL33flash_attn_stream_k_fixup_uniformILi40ELi8ELi8EEvPfPK15HIP_vector_typeIfLj2EEiiiiiiS1_IjLj3EES5_S5_,@function
_ZL33flash_attn_stream_k_fixup_uniformILi40ELi8ELi8EEvPfPK15HIP_vector_typeIfLj2EEiiiiiiS1_IjLj3EES5_S5_: ; @_ZL33flash_attn_stream_k_fixup_uniformILi40ELi8ELi8EEvPfPK15HIP_vector_typeIfLj2EEiiiiiiS1_IjLj3EES5_S5_
; %bb.0:
	s_clause 0x1
	s_load_b256 s[4:11], s[0:1], 0x1c
	s_load_b128 s[16:19], s[0:1], 0x3c
	s_waitcnt lgkmcnt(0)
	s_mul_hi_u32 s2, s7, s13
	s_delay_alu instid0(SALU_CYCLE_1) | instskip(NEXT) | instid1(SALU_CYCLE_1)
	s_add_i32 s2, s13, s2
	s_lshr_b32 s2, s2, s8
	s_delay_alu instid0(SALU_CYCLE_1) | instskip(SKIP_2) | instid1(SALU_CYCLE_1)
	s_mul_i32 s3, s2, s9
	s_load_b64 s[8:9], s[0:1], 0x10
	s_sub_i32 s3, s13, s3
	s_mul_hi_u32 s7, s3, s10
	s_delay_alu instid0(SALU_CYCLE_1) | instskip(NEXT) | instid1(SALU_CYCLE_1)
	s_add_i32 s7, s3, s7
	s_lshr_b32 s7, s7, s11
	s_delay_alu instid0(SALU_CYCLE_1) | instskip(NEXT) | instid1(SALU_CYCLE_1)
	s_mul_i32 s10, s7, s16
	s_sub_i32 s3, s3, s10
	s_delay_alu instid0(SALU_CYCLE_1) | instskip(NEXT) | instid1(SALU_CYCLE_1)
	s_mul_hi_u32 s10, s3, s17
	s_add_i32 s10, s3, s10
	s_delay_alu instid0(SALU_CYCLE_1) | instskip(NEXT) | instid1(SALU_CYCLE_1)
	s_lshr_b32 s11, s10, s18
	s_mul_i32 s10, s11, s19
	s_lshl_b32 s11, s11, 3
	s_sub_i32 s10, s3, s10
	s_delay_alu instid0(SALU_CYCLE_1) | instskip(NEXT) | instid1(SALU_CYCLE_1)
	s_lshl_b32 s3, s10, 3
	s_add_i32 s3, s3, s14
	s_waitcnt lgkmcnt(0)
	s_cmp_lt_i32 s3, s8
	s_cselect_b32 s3, -1, 0
	s_add_i32 s11, s11, s15
	s_delay_alu instid0(SALU_CYCLE_1) | instskip(SKIP_1) | instid1(SALU_CYCLE_1)
	s_cmp_lt_i32 s11, s5
	s_cselect_b32 s12, -1, 0
	s_and_b32 s3, s3, s12
	s_delay_alu instid0(SALU_CYCLE_1)
	s_and_not1_b32 vcc_lo, exec_lo, s3
	s_cbranch_vccnz .LBB2_6
; %bb.1:
	s_mul_i32 s8, s2, s8
	s_mul_i32 s7, s7, s5
	s_add_i32 s8, s8, s14
	s_add_i32 s5, s11, s7
	s_mul_i32 s8, s8, s9
	s_load_b128 s[0:3], s[0:1], 0x0
	s_mul_i32 s7, s9, s10
	s_add_i32 s5, s5, s8
	s_mulk_i32 s7, 0x140
	s_mul_i32 s5, s5, 40
	s_lshl_b32 s9, s14, 3
	v_add3_u32 v1, s5, s7, v0
	s_mul_i32 s5, s13, s6
	s_delay_alu instid0(SALU_CYCLE_1) | instskip(NEXT) | instid1(VALU_DEP_1)
	s_add_i32 s10, s5, s6
	v_ashrrev_i32_e32 v2, 31, v1
	s_delay_alu instid0(VALU_DEP_1) | instskip(SKIP_1) | instid1(VALU_DEP_1)
	v_lshlrev_b64 v[1:2], 2, v[1:2]
	s_waitcnt lgkmcnt(0)
	v_add_co_u32 v1, vcc_lo, s0, v1
	s_delay_alu instid0(VALU_DEP_2) | instskip(SKIP_4) | instid1(SALU_CYCLE_1)
	v_add_co_ci_u32_e32 v2, vcc_lo, s1, v2, vcc_lo
	s_add_i32 s0, s9, s15
	s_lshl_b32 s1, s10, 6
	global_load_b32 v5, v[1:2], off
	s_add_i32 s0, s0, s1
	s_sub_i32 s0, s0, 64
	s_delay_alu instid0(SALU_CYCLE_1) | instskip(NEXT) | instid1(SALU_CYCLE_1)
	s_ashr_i32 s1, s0, 31
	s_lshl_b64 s[0:1], s[0:1], 3
	s_delay_alu instid0(SALU_CYCLE_1)
	s_add_u32 s0, s2, s0
	s_addc_u32 s1, s3, s1
	s_add_i32 s7, s10, -2
	s_load_b32 s11, s[0:1], 0x4
	s_cmp_lt_i32 s7, s5
	s_cbranch_scc1 .LBB2_4
; %bb.2:
	s_load_b32 s12, s[0:1], 0x0
	s_lshl_b32 s16, s4, 8
	s_mulk_i32 s14, 0x140
	s_ashr_i32 s17, s16, 31
	s_waitcnt lgkmcnt(0)
	v_mov_b32_e32 v6, s11
	s_lshl_b64 s[0:1], s[16:17], 2
	s_delay_alu instid0(SALU_CYCLE_1)
	s_add_u32 s7, s2, s0
	s_addc_u32 s8, s3, s1
	s_add_i32 s13, s13, 1
	s_lshl_b32 s4, s4, 6
	s_mul_i32 s0, s6, s13
	s_mul_i32 s6, s15, 40
	s_lshl_b32 s1, s0, 6
	s_mulk_i32 s0, 0xa00
	s_add_i32 s6, s6, s14
	s_add_i32 s1, s15, s1
	;; [unrolled: 1-line block ×4, first 2 shown]
	v_add3_u32 v3, s6, v0, 0xffffec00
	v_mov_b32_e32 v0, s12
	s_add_i32 s0, s0, s9
	s_add_i32 s4, s10, -1
	s_addk_i32 s0, 0xff80
.LBB2_3:                                ; =>This Inner Loop Header: Depth=1
	s_delay_alu instid0(VALU_DEP_2) | instskip(SKIP_1) | instid1(SALU_CYCLE_1)
	v_ashrrev_i32_e32 v4, 31, v3
	s_ashr_i32 s1, s0, 31
	s_lshl_b64 s[10:11], s[0:1], 3
	s_delay_alu instid0(SALU_CYCLE_1) | instskip(NEXT) | instid1(VALU_DEP_1)
	s_add_u32 s10, s2, s10
	v_lshlrev_b64 v[7:8], 2, v[3:4]
	s_addc_u32 s11, s3, s11
	s_add_i32 s4, s4, -1
	s_sub_i32 s0, s0, 64
	s_cmp_le_i32 s4, s5
	s_load_b64 s[10:11], s[10:11], 0x0
	v_add_co_u32 v7, vcc_lo, s7, v7
	v_add_co_ci_u32_e32 v8, vcc_lo, s8, v8, vcc_lo
	global_load_b32 v4, v[7:8], off
	v_max_f32_e32 v7, v0, v0
	s_waitcnt lgkmcnt(0)
	v_max_f32_e64 v8, s10, s10
	s_delay_alu instid0(VALU_DEP_1) | instskip(NEXT) | instid1(VALU_DEP_1)
	v_max_f32_e32 v7, v7, v8
	v_sub_f32_e32 v8, s10, v7
	s_delay_alu instid0(VALU_DEP_1) | instskip(NEXT) | instid1(VALU_DEP_1)
	v_dual_sub_f32 v0, v0, v7 :: v_dual_mul_f32 v9, 0x3fb8aa3b, v8
	v_fma_f32 v10, 0x3fb8aa3b, v8, -v9
	v_rndne_f32_e32 v11, v9
	s_delay_alu instid0(VALU_DEP_3) | instskip(NEXT) | instid1(VALU_DEP_2)
	v_mul_f32_e32 v12, 0x3fb8aa3b, v0
	v_dual_fmac_f32 v10, 0x32a5705f, v8 :: v_dual_sub_f32 v9, v9, v11
	v_cvt_i32_f32_e32 v11, v11
	s_delay_alu instid0(VALU_DEP_3) | instskip(SKIP_1) | instid1(VALU_DEP_4)
	v_fma_f32 v13, 0x3fb8aa3b, v0, -v12
	v_rndne_f32_e32 v14, v12
	v_add_f32_e32 v9, v9, v10
	v_cmp_ngt_f32_e32 vcc_lo, 0xc2ce8ed0, v8
	s_delay_alu instid0(VALU_DEP_3) | instskip(NEXT) | instid1(VALU_DEP_3)
	v_sub_f32_e32 v10, v12, v14
	v_exp_f32_e32 v9, v9
	s_waitcnt_depctr 0xfff
	v_ldexp_f32 v9, v9, v11
	v_cvt_i32_f32_e32 v11, v14
	s_delay_alu instid0(VALU_DEP_2) | instskip(SKIP_1) | instid1(VALU_DEP_2)
	v_cndmask_b32_e32 v9, 0, v9, vcc_lo
	v_cmp_nlt_f32_e32 vcc_lo, 0x42b17218, v8
	v_cndmask_b32_e32 v9, 0x7f800000, v9, vcc_lo
	v_cmp_ngt_f32_e32 vcc_lo, 0xc2ce8ed0, v0
	v_fmac_f32_e32 v13, 0x32a5705f, v0
	s_delay_alu instid0(VALU_DEP_1) | instskip(NEXT) | instid1(VALU_DEP_1)
	v_add_f32_e32 v10, v10, v13
	v_exp_f32_e32 v10, v10
	s_waitcnt_depctr 0xfff
	v_ldexp_f32 v10, v10, v11
	s_delay_alu instid0(VALU_DEP_1)
	v_dual_mov_b32 v11, v6 :: v_dual_cndmask_b32 v10, 0, v10
	v_cmp_le_f32_e32 vcc_lo, 0xc1a00000, v8
	s_waitcnt vmcnt(1)
	v_dual_cndmask_b32 v8, 0, v9 :: v_dual_mov_b32 v9, v5
	v_cmp_nlt_f32_e32 vcc_lo, 0x42b17218, v0
	v_cndmask_b32_e32 v5, 0x7f800000, v10, vcc_lo
	s_delay_alu instid0(VALU_DEP_3) | instskip(SKIP_2) | instid1(VALU_DEP_3)
	v_mul_f32_e32 v10, s11, v8
	v_cmp_le_f32_e32 vcc_lo, 0xc1a00000, v0
	v_mov_b32_e32 v0, v7
	v_mov_b32_e32 v6, v10
	s_waitcnt vmcnt(0)
	v_dual_cndmask_b32 v12, 0, v5 :: v_dual_mul_f32 v5, v4, v8
	s_delay_alu instid0(VALU_DEP_1) | instskip(NEXT) | instid1(VALU_DEP_2)
	v_dual_fmac_f32 v6, v11, v12 :: v_dual_add_nc_u32 v3, 0xfffff600, v3
	v_fmac_f32_e32 v5, v9, v12
	s_cbranch_scc0 .LBB2_3
	s_branch .LBB2_5
.LBB2_4:
	s_waitcnt lgkmcnt(0)
	v_mov_b32_e32 v6, s11
.LBB2_5:
	s_waitcnt vmcnt(0)
	s_delay_alu instid0(VALU_DEP_1) | instskip(NEXT) | instid1(VALU_DEP_1)
	v_div_scale_f32 v0, null, v6, v6, v5
	v_rcp_f32_e32 v3, v0
	s_waitcnt_depctr 0xfff
	v_fma_f32 v4, -v0, v3, 1.0
	s_delay_alu instid0(VALU_DEP_1) | instskip(SKIP_1) | instid1(VALU_DEP_1)
	v_fmac_f32_e32 v3, v4, v3
	v_div_scale_f32 v4, vcc_lo, v5, v6, v5
	v_mul_f32_e32 v7, v4, v3
	s_delay_alu instid0(VALU_DEP_1) | instskip(NEXT) | instid1(VALU_DEP_1)
	v_fma_f32 v8, -v0, v7, v4
	v_fmac_f32_e32 v7, v8, v3
	s_delay_alu instid0(VALU_DEP_1) | instskip(NEXT) | instid1(VALU_DEP_1)
	v_fma_f32 v0, -v0, v7, v4
	v_div_fmas_f32 v0, v0, v3, v7
	s_delay_alu instid0(VALU_DEP_1)
	v_div_fixup_f32 v0, v0, v6, v5
	global_store_b32 v[1:2], v0, off
.LBB2_6:
	s_nop 0
	s_sendmsg sendmsg(MSG_DEALLOC_VGPRS)
	s_endpgm
	.section	.rodata,"a",@progbits
	.p2align	6, 0x0
	.amdhsa_kernel _ZL33flash_attn_stream_k_fixup_uniformILi40ELi8ELi8EEvPfPK15HIP_vector_typeIfLj2EEiiiiiiS1_IjLj3EES5_S5_
		.amdhsa_group_segment_fixed_size 0
		.amdhsa_private_segment_fixed_size 0
		.amdhsa_kernarg_size 76
		.amdhsa_user_sgpr_count 13
		.amdhsa_user_sgpr_dispatch_ptr 0
		.amdhsa_user_sgpr_queue_ptr 0
		.amdhsa_user_sgpr_kernarg_segment_ptr 1
		.amdhsa_user_sgpr_dispatch_id 0
		.amdhsa_user_sgpr_private_segment_size 0
		.amdhsa_wavefront_size32 1
		.amdhsa_uses_dynamic_stack 0
		.amdhsa_enable_private_segment 0
		.amdhsa_system_sgpr_workgroup_id_x 1
		.amdhsa_system_sgpr_workgroup_id_y 1
		.amdhsa_system_sgpr_workgroup_id_z 1
		.amdhsa_system_sgpr_workgroup_info 0
		.amdhsa_system_vgpr_workitem_id 0
		.amdhsa_next_free_vgpr 15
		.amdhsa_next_free_sgpr 20
		.amdhsa_reserve_vcc 1
		.amdhsa_float_round_mode_32 0
		.amdhsa_float_round_mode_16_64 0
		.amdhsa_float_denorm_mode_32 3
		.amdhsa_float_denorm_mode_16_64 3
		.amdhsa_dx10_clamp 1
		.amdhsa_ieee_mode 1
		.amdhsa_fp16_overflow 0
		.amdhsa_workgroup_processor_mode 1
		.amdhsa_memory_ordered 1
		.amdhsa_forward_progress 0
		.amdhsa_shared_vgpr_count 0
		.amdhsa_exception_fp_ieee_invalid_op 0
		.amdhsa_exception_fp_denorm_src 0
		.amdhsa_exception_fp_ieee_div_zero 0
		.amdhsa_exception_fp_ieee_overflow 0
		.amdhsa_exception_fp_ieee_underflow 0
		.amdhsa_exception_fp_ieee_inexact 0
		.amdhsa_exception_int_div_zero 0
	.end_amdhsa_kernel
	.section	.text._ZL33flash_attn_stream_k_fixup_uniformILi40ELi8ELi8EEvPfPK15HIP_vector_typeIfLj2EEiiiiiiS1_IjLj3EES5_S5_,"axG",@progbits,_ZL33flash_attn_stream_k_fixup_uniformILi40ELi8ELi8EEvPfPK15HIP_vector_typeIfLj2EEiiiiiiS1_IjLj3EES5_S5_,comdat
.Lfunc_end2:
	.size	_ZL33flash_attn_stream_k_fixup_uniformILi40ELi8ELi8EEvPfPK15HIP_vector_typeIfLj2EEiiiiiiS1_IjLj3EES5_S5_, .Lfunc_end2-_ZL33flash_attn_stream_k_fixup_uniformILi40ELi8ELi8EEvPfPK15HIP_vector_typeIfLj2EEiiiiiiS1_IjLj3EES5_S5_
                                        ; -- End function
	.section	.AMDGPU.csdata,"",@progbits
; Kernel info:
; codeLenInByte = 988
; NumSgprs: 22
; NumVgprs: 15
; ScratchSize: 0
; MemoryBound: 0
; FloatMode: 240
; IeeeMode: 1
; LDSByteSize: 0 bytes/workgroup (compile time only)
; SGPRBlocks: 2
; VGPRBlocks: 1
; NumSGPRsForWavesPerEU: 22
; NumVGPRsForWavesPerEU: 15
; Occupancy: 16
; WaveLimiterHint : 0
; COMPUTE_PGM_RSRC2:SCRATCH_EN: 0
; COMPUTE_PGM_RSRC2:USER_SGPR: 13
; COMPUTE_PGM_RSRC2:TRAP_HANDLER: 0
; COMPUTE_PGM_RSRC2:TGID_X_EN: 1
; COMPUTE_PGM_RSRC2:TGID_Y_EN: 1
; COMPUTE_PGM_RSRC2:TGID_Z_EN: 1
; COMPUTE_PGM_RSRC2:TIDIG_COMP_CNT: 0
	.section	.text._ZL33flash_attn_stream_k_fixup_generalILi40ELi8ELi8EEvPfPK15HIP_vector_typeIfLj2EEiiiiS1_IjLj3EES5_S5_S5_,"axG",@progbits,_ZL33flash_attn_stream_k_fixup_generalILi40ELi8ELi8EEvPfPK15HIP_vector_typeIfLj2EEiiiiS1_IjLj3EES5_S5_S5_,comdat
	.globl	_ZL33flash_attn_stream_k_fixup_generalILi40ELi8ELi8EEvPfPK15HIP_vector_typeIfLj2EEiiiiS1_IjLj3EES5_S5_S5_ ; -- Begin function _ZL33flash_attn_stream_k_fixup_generalILi40ELi8ELi8EEvPfPK15HIP_vector_typeIfLj2EEiiiiS1_IjLj3EES5_S5_S5_
	.p2align	8
	.type	_ZL33flash_attn_stream_k_fixup_generalILi40ELi8ELi8EEvPfPK15HIP_vector_typeIfLj2EEiiiiS1_IjLj3EES5_S5_S5_,@function
_ZL33flash_attn_stream_k_fixup_generalILi40ELi8ELi8EEvPfPK15HIP_vector_typeIfLj2EEiiiiS1_IjLj3EES5_S5_S5_: ; @_ZL33flash_attn_stream_k_fixup_generalILi40ELi8ELi8EEvPfPK15HIP_vector_typeIfLj2EEiiiiS1_IjLj3EES5_S5_S5_
; %bb.0:
	s_clause 0x1
	s_load_b128 s[4:7], s[0:1], 0x10
	s_load_b32 s20, s[0:1], 0x50
	s_mov_b32 s2, 0
	s_waitcnt lgkmcnt(0)
	s_mul_hi_i32 s3, s7, s13
	s_mul_i32 s12, s7, s13
	s_cmp_lg_u64 s[2:3], 0
	s_cbranch_scc0 .LBB3_21
; %bb.1:
	v_cvt_f32_ubyte0_e32 v1, 0
	v_cvt_f32_u32_e32 v2, s20
	s_sub_u32 s10, 0, s20
	s_subb_u32 s11, 0, 0
	s_delay_alu instid0(VALU_DEP_1) | instskip(NEXT) | instid1(VALU_DEP_1)
	v_fmamk_f32 v1, v1, 0x4f800000, v2
	v_rcp_f32_e32 v1, v1
	s_waitcnt_depctr 0xfff
	v_mul_f32_e32 v1, 0x5f7ffffc, v1
	s_delay_alu instid0(VALU_DEP_1) | instskip(NEXT) | instid1(VALU_DEP_1)
	v_mul_f32_e32 v2, 0x2f800000, v1
	v_trunc_f32_e32 v2, v2
	s_delay_alu instid0(VALU_DEP_1) | instskip(SKIP_1) | instid1(VALU_DEP_2)
	v_fmamk_f32 v1, v2, 0xcf800000, v1
	v_cvt_u32_f32_e32 v2, v2
	v_cvt_u32_f32_e32 v1, v1
	s_delay_alu instid0(VALU_DEP_2) | instskip(NEXT) | instid1(VALU_DEP_2)
	v_readfirstlane_b32 s8, v2
	v_readfirstlane_b32 s9, v1
	s_delay_alu instid0(VALU_DEP_2) | instskip(NEXT) | instid1(VALU_DEP_1)
	s_mul_i32 s16, s10, s8
	s_mul_hi_u32 s18, s10, s9
	s_mul_i32 s17, s11, s9
	s_add_i32 s16, s18, s16
	s_mul_i32 s19, s10, s9
	s_add_i32 s16, s16, s17
	s_mul_hi_u32 s18, s9, s19
	s_mul_hi_u32 s21, s8, s19
	s_mul_i32 s17, s8, s19
	s_mul_hi_u32 s19, s9, s16
	s_mul_i32 s9, s9, s16
	s_mul_hi_u32 s22, s8, s16
	s_add_u32 s9, s18, s9
	s_addc_u32 s18, 0, s19
	s_add_u32 s9, s9, s17
	s_mul_i32 s16, s8, s16
	s_addc_u32 s9, s18, s21
	s_addc_u32 s17, s22, 0
	s_add_u32 s9, s9, s16
	s_addc_u32 s16, 0, s17
	v_add_co_u32 v1, s9, v1, s9
	s_delay_alu instid0(VALU_DEP_1) | instskip(SKIP_1) | instid1(VALU_DEP_1)
	s_cmp_lg_u32 s9, 0
	s_addc_u32 s8, s8, s16
	v_readfirstlane_b32 s9, v1
	s_mul_i32 s16, s10, s8
	s_delay_alu instid0(VALU_DEP_1)
	s_mul_hi_u32 s17, s10, s9
	s_mul_i32 s11, s11, s9
	s_add_i32 s16, s17, s16
	s_mul_i32 s10, s10, s9
	s_add_i32 s16, s16, s11
	s_mul_hi_u32 s17, s8, s10
	s_mul_i32 s18, s8, s10
	s_mul_hi_u32 s10, s9, s10
	s_mul_hi_u32 s19, s9, s16
	s_mul_i32 s9, s9, s16
	s_mul_hi_u32 s11, s8, s16
	s_add_u32 s9, s10, s9
	s_addc_u32 s10, 0, s19
	s_add_u32 s9, s9, s18
	s_mul_i32 s16, s8, s16
	s_addc_u32 s9, s10, s17
	s_addc_u32 s10, s11, 0
	s_add_u32 s9, s9, s16
	s_addc_u32 s10, 0, s10
	v_add_co_u32 v1, s9, v1, s9
	s_delay_alu instid0(VALU_DEP_1) | instskip(SKIP_2) | instid1(SALU_CYCLE_1)
	s_cmp_lg_u32 s9, 0
	s_addc_u32 s16, s8, s10
	s_ashr_i32 s8, s3, 31
	s_add_u32 s10, s12, s8
	s_addc_u32 s11, s3, s8
	v_readfirstlane_b32 s3, v1
	s_mov_b32 s9, s8
	s_delay_alu instid0(SALU_CYCLE_1) | instskip(NEXT) | instid1(SALU_CYCLE_1)
	s_xor_b64 s[10:11], s[10:11], s[8:9]
	s_mul_i32 s18, s10, s16
	s_delay_alu instid0(VALU_DEP_1)
	s_mul_hi_u32 s19, s10, s3
	s_mul_hi_u32 s17, s10, s16
	;; [unrolled: 1-line block ×3, first 2 shown]
	s_mul_i32 s3, s11, s3
	s_add_u32 s18, s19, s18
	s_addc_u32 s17, 0, s17
	s_mul_hi_u32 s21, s11, s16
	s_add_u32 s3, s18, s3
	s_mul_i32 s16, s11, s16
	s_addc_u32 s3, s17, s22
	s_addc_u32 s17, s21, 0
	s_add_u32 s3, s3, s16
	s_addc_u32 s16, 0, s17
	s_mul_i32 s18, s20, s3
	s_add_u32 s17, s3, 1
	v_sub_co_u32 v1, s10, s10, s18
	s_mul_hi_u32 s18, s20, s3
	s_addc_u32 s19, s16, 0
	s_mul_i32 s21, s20, s16
	s_delay_alu instid0(VALU_DEP_1)
	v_sub_co_u32 v2, s22, v1, s20
	s_add_u32 s23, s3, 2
	s_addc_u32 s24, s16, 0
	s_add_i32 s18, s18, s21
	s_cmp_lg_u32 s10, 0
	v_readfirstlane_b32 s10, v2
	s_subb_u32 s11, s11, s18
	s_cmp_lg_u32 s22, 0
	s_subb_u32 s18, s11, 0
	s_delay_alu instid0(VALU_DEP_1) | instskip(SKIP_4) | instid1(SALU_CYCLE_1)
	s_cmp_ge_u32 s10, s20
	s_cselect_b32 s10, -1, 0
	s_cmp_eq_u32 s18, 0
	v_readfirstlane_b32 s18, v1
	s_cselect_b32 s10, s10, -1
	s_cmp_lg_u32 s10, 0
	s_cselect_b32 s10, s23, s17
	s_cselect_b32 s17, s24, s19
	s_cmp_ge_u32 s18, s20
	s_cselect_b32 s18, -1, 0
	s_cmp_eq_u32 s11, 0
	s_cselect_b32 s11, s18, -1
	s_delay_alu instid0(SALU_CYCLE_1) | instskip(SKIP_2) | instid1(SALU_CYCLE_1)
	s_cmp_lg_u32 s11, 0
	s_cselect_b32 s11, s17, s16
	s_cselect_b32 s10, s10, s3
	s_xor_b64 s[10:11], s[10:11], s[8:9]
	s_delay_alu instid0(SALU_CYCLE_1)
	s_sub_u32 s16, s10, s8
	s_load_b128 s[8:11], s[0:1], 0x44
	s_and_not1_b32 vcc_lo, exec_lo, s2
	s_cbranch_vccnz .LBB3_3
.LBB3_2:
	v_cvt_f32_u32_e32 v1, s20
	s_sub_i32 s3, 0, s20
	s_delay_alu instid0(VALU_DEP_1) | instskip(SKIP_2) | instid1(VALU_DEP_1)
	v_rcp_iflag_f32_e32 v1, v1
	s_waitcnt_depctr 0xfff
	v_mul_f32_e32 v1, 0x4f7ffffe, v1
	v_cvt_u32_f32_e32 v1, v1
	s_delay_alu instid0(VALU_DEP_1) | instskip(NEXT) | instid1(VALU_DEP_1)
	v_readfirstlane_b32 s2, v1
	s_mul_i32 s3, s3, s2
	s_delay_alu instid0(SALU_CYCLE_1) | instskip(NEXT) | instid1(SALU_CYCLE_1)
	s_mul_hi_u32 s3, s2, s3
	s_add_i32 s2, s2, s3
	s_delay_alu instid0(SALU_CYCLE_1) | instskip(NEXT) | instid1(SALU_CYCLE_1)
	s_mul_hi_u32 s2, s12, s2
	s_mul_i32 s3, s2, s20
	s_waitcnt lgkmcnt(0)
	s_add_i32 s11, s2, 1
	s_sub_i32 s3, s12, s3
	s_delay_alu instid0(SALU_CYCLE_1)
	s_sub_i32 s12, s3, s20
	s_cmp_ge_u32 s3, s20
	s_cselect_b32 s2, s11, s2
	s_cselect_b32 s3, s12, s3
	s_add_i32 s11, s2, 1
	s_cmp_ge_u32 s3, s20
	s_cselect_b32 s16, s11, s2
.LBB3_3:
	s_waitcnt lgkmcnt(0)
	s_add_i32 s11, s13, 1
	s_mov_b32 s2, 0
	s_mul_hi_i32 s3, s7, s11
	s_mul_i32 s11, s7, s11
	s_cmp_lg_u64 s[2:3], 0
	s_cbranch_scc0 .LBB3_22
; %bb.4:
	v_cvt_f32_ubyte0_e32 v1, 0
	v_cvt_f32_u32_e32 v2, s20
	s_sub_u32 s18, 0, s20
	s_subb_u32 s19, 0, 0
	s_delay_alu instid0(VALU_DEP_1) | instskip(NEXT) | instid1(VALU_DEP_1)
	v_fmamk_f32 v1, v1, 0x4f800000, v2
	v_rcp_f32_e32 v1, v1
	s_waitcnt_depctr 0xfff
	v_mul_f32_e32 v1, 0x5f7ffffc, v1
	s_delay_alu instid0(VALU_DEP_1) | instskip(NEXT) | instid1(VALU_DEP_1)
	v_mul_f32_e32 v2, 0x2f800000, v1
	v_trunc_f32_e32 v2, v2
	s_delay_alu instid0(VALU_DEP_1) | instskip(SKIP_1) | instid1(VALU_DEP_2)
	v_fmamk_f32 v1, v2, 0xcf800000, v1
	v_cvt_u32_f32_e32 v2, v2
	v_cvt_u32_f32_e32 v1, v1
	s_delay_alu instid0(VALU_DEP_2) | instskip(NEXT) | instid1(VALU_DEP_2)
	v_readfirstlane_b32 s12, v2
	v_readfirstlane_b32 s17, v1
	s_delay_alu instid0(VALU_DEP_2) | instskip(NEXT) | instid1(VALU_DEP_1)
	s_mul_i32 s21, s18, s12
	s_mul_hi_u32 s23, s18, s17
	s_mul_i32 s22, s19, s17
	s_add_i32 s21, s23, s21
	s_mul_i32 s24, s18, s17
	s_add_i32 s21, s21, s22
	s_mul_hi_u32 s23, s17, s24
	s_mul_hi_u32 s25, s12, s24
	s_mul_i32 s22, s12, s24
	s_mul_hi_u32 s24, s17, s21
	s_mul_i32 s17, s17, s21
	s_mul_hi_u32 s26, s12, s21
	s_add_u32 s17, s23, s17
	s_addc_u32 s23, 0, s24
	s_add_u32 s17, s17, s22
	s_mul_i32 s21, s12, s21
	s_addc_u32 s17, s23, s25
	s_addc_u32 s22, s26, 0
	s_add_u32 s17, s17, s21
	s_addc_u32 s21, 0, s22
	v_add_co_u32 v1, s17, v1, s17
	s_delay_alu instid0(VALU_DEP_1) | instskip(SKIP_1) | instid1(VALU_DEP_1)
	s_cmp_lg_u32 s17, 0
	s_addc_u32 s12, s12, s21
	v_readfirstlane_b32 s17, v1
	s_mul_i32 s21, s18, s12
	s_delay_alu instid0(VALU_DEP_1)
	s_mul_hi_u32 s22, s18, s17
	s_mul_i32 s19, s19, s17
	s_add_i32 s21, s22, s21
	s_mul_i32 s18, s18, s17
	s_add_i32 s21, s21, s19
	s_mul_hi_u32 s22, s12, s18
	s_mul_i32 s23, s12, s18
	s_mul_hi_u32 s18, s17, s18
	s_mul_hi_u32 s24, s17, s21
	s_mul_i32 s17, s17, s21
	s_mul_hi_u32 s19, s12, s21
	s_add_u32 s17, s18, s17
	s_addc_u32 s18, 0, s24
	s_add_u32 s17, s17, s23
	s_mul_i32 s21, s12, s21
	s_addc_u32 s17, s18, s22
	s_addc_u32 s18, s19, 0
	s_add_u32 s17, s17, s21
	s_addc_u32 s18, 0, s18
	v_add_co_u32 v1, s17, v1, s17
	s_delay_alu instid0(VALU_DEP_1) | instskip(SKIP_2) | instid1(SALU_CYCLE_1)
	s_cmp_lg_u32 s17, 0
	s_addc_u32 s12, s12, s18
	s_ashr_i32 s18, s3, 31
	s_add_u32 s22, s11, s18
	s_addc_u32 s23, s3, s18
	v_readfirstlane_b32 s3, v1
	s_mov_b32 s19, s18
	s_delay_alu instid0(SALU_CYCLE_1) | instskip(NEXT) | instid1(SALU_CYCLE_1)
	s_xor_b64 s[22:23], s[22:23], s[18:19]
	s_mul_i32 s21, s22, s12
	s_delay_alu instid0(VALU_DEP_1)
	s_mul_hi_u32 s24, s22, s3
	s_mul_hi_u32 s17, s22, s12
	;; [unrolled: 1-line block ×3, first 2 shown]
	s_mul_i32 s3, s23, s3
	s_add_u32 s21, s24, s21
	s_addc_u32 s17, 0, s17
	s_mul_hi_u32 s25, s23, s12
	s_add_u32 s3, s21, s3
	s_mul_i32 s12, s23, s12
	s_addc_u32 s3, s17, s26
	s_addc_u32 s17, s25, 0
	s_add_u32 s3, s3, s12
	s_addc_u32 s12, 0, s17
	s_mul_i32 s21, s20, s3
	s_add_u32 s17, s3, 1
	v_sub_co_u32 v1, s21, s22, s21
	s_mul_hi_u32 s22, s20, s3
	s_addc_u32 s24, s12, 0
	s_mul_i32 s25, s20, s12
	s_delay_alu instid0(VALU_DEP_1)
	v_sub_co_u32 v2, s26, v1, s20
	s_add_u32 s27, s3, 2
	s_addc_u32 s28, s12, 0
	s_add_i32 s22, s22, s25
	s_cmp_lg_u32 s21, 0
	v_readfirstlane_b32 s21, v2
	s_subb_u32 s22, s23, s22
	s_cmp_lg_u32 s26, 0
	s_subb_u32 s23, s22, 0
	s_delay_alu instid0(VALU_DEP_1) | instskip(SKIP_4) | instid1(SALU_CYCLE_1)
	s_cmp_ge_u32 s21, s20
	s_cselect_b32 s21, -1, 0
	s_cmp_eq_u32 s23, 0
	v_readfirstlane_b32 s23, v1
	s_cselect_b32 s21, s21, -1
	s_cmp_lg_u32 s21, 0
	s_cselect_b32 s17, s27, s17
	s_cselect_b32 s21, s28, s24
	s_cmp_ge_u32 s23, s20
	s_cselect_b32 s23, -1, 0
	s_cmp_eq_u32 s22, 0
	s_cselect_b32 s22, s23, -1
	s_delay_alu instid0(SALU_CYCLE_1) | instskip(SKIP_2) | instid1(SALU_CYCLE_1)
	s_cmp_lg_u32 s22, 0
	s_cselect_b32 s23, s21, s12
	s_cselect_b32 s22, s17, s3
	s_xor_b64 s[22:23], s[22:23], s[18:19]
	s_delay_alu instid0(SALU_CYCLE_1)
	s_sub_u32 s18, s22, s18
	s_and_not1_b32 vcc_lo, exec_lo, s2
	s_cbranch_vccnz .LBB3_6
.LBB3_5:
	v_cvt_f32_u32_e32 v1, s20
	s_sub_i32 s3, 0, s20
	s_delay_alu instid0(VALU_DEP_1) | instskip(SKIP_2) | instid1(VALU_DEP_1)
	v_rcp_iflag_f32_e32 v1, v1
	s_waitcnt_depctr 0xfff
	v_mul_f32_e32 v1, 0x4f7ffffe, v1
	v_cvt_u32_f32_e32 v1, v1
	s_delay_alu instid0(VALU_DEP_1) | instskip(NEXT) | instid1(VALU_DEP_1)
	v_readfirstlane_b32 s2, v1
	s_mul_i32 s3, s3, s2
	s_delay_alu instid0(SALU_CYCLE_1) | instskip(NEXT) | instid1(SALU_CYCLE_1)
	s_mul_hi_u32 s3, s2, s3
	s_add_i32 s2, s2, s3
	s_delay_alu instid0(SALU_CYCLE_1) | instskip(NEXT) | instid1(SALU_CYCLE_1)
	s_mul_hi_u32 s2, s11, s2
	s_mul_i32 s3, s2, s20
	s_delay_alu instid0(SALU_CYCLE_1)
	s_sub_i32 s3, s11, s3
	s_add_i32 s11, s2, 1
	s_sub_i32 s12, s3, s20
	s_cmp_ge_u32 s3, s20
	s_cselect_b32 s2, s11, s2
	s_cselect_b32 s3, s12, s3
	s_add_i32 s11, s2, 1
	s_cmp_ge_u32 s3, s20
	s_cselect_b32 s18, s11, s2
.LBB3_6:
	s_delay_alu instid0(SALU_CYCLE_1) | instskip(SKIP_3) | instid1(SALU_CYCLE_1)
	s_cmp_eq_u32 s16, s18
	s_mul_hi_u32 s2, s16, s8
	s_cselect_b32 s3, -1, 0
	s_add_i32 s2, s2, s16
	s_lshr_b32 s11, s2, s9
	s_delay_alu instid0(SALU_CYCLE_1) | instskip(NEXT) | instid1(SALU_CYCLE_1)
	s_mul_i32 s2, s11, s10
	s_cmp_eq_u32 s2, s16
	s_mul_hi_u32 s2, s18, s8
	s_cselect_b32 s12, -1, 0
	s_add_i32 s2, s2, s18
	s_delay_alu instid0(SALU_CYCLE_1) | instskip(NEXT) | instid1(SALU_CYCLE_1)
	s_lshr_b32 s2, s2, s9
	s_cmp_eq_u32 s11, s2
	s_mul_i32 s2, s2, s10
	s_cselect_b32 s17, -1, 0
	s_cmp_lg_u32 s2, s18
	s_cselect_b32 s2, -1, 0
	s_or_b32 s3, s3, s12
	s_and_b32 s2, s17, s2
	s_delay_alu instid0(SALU_CYCLE_1) | instskip(NEXT) | instid1(SALU_CYCLE_1)
	s_or_b32 s2, s3, s2
	s_and_b32 vcc_lo, exec_lo, s2
	s_cbranch_vccnz .LBB3_24
; %bb.7:
	s_load_b256 s[24:31], s[0:1], 0x20
	s_waitcnt lgkmcnt(0)
	s_mul_hi_u32 s2, s16, s24
	s_delay_alu instid0(SALU_CYCLE_1) | instskip(NEXT) | instid1(SALU_CYCLE_1)
	s_add_i32 s2, s2, s16
	s_lshr_b32 s17, s2, s25
	s_load_b32 s2, s[0:1], 0x40
	s_mul_i32 s3, s17, s26
	s_delay_alu instid0(SALU_CYCLE_1) | instskip(NEXT) | instid1(SALU_CYCLE_1)
	s_sub_i32 s3, s16, s3
	s_mul_hi_u32 s12, s3, s27
	s_delay_alu instid0(SALU_CYCLE_1) | instskip(NEXT) | instid1(SALU_CYCLE_1)
	s_add_i32 s12, s3, s12
	s_lshr_b32 s19, s12, s28
	s_delay_alu instid0(SALU_CYCLE_1) | instskip(NEXT) | instid1(SALU_CYCLE_1)
	s_mul_i32 s12, s19, s29
	s_sub_i32 s3, s3, s12
	s_delay_alu instid0(SALU_CYCLE_1) | instskip(NEXT) | instid1(SALU_CYCLE_1)
	s_mul_hi_u32 s12, s3, s30
	s_add_i32 s12, s3, s12
	s_delay_alu instid0(SALU_CYCLE_1)
	s_lshr_b32 s12, s12, s31
	s_waitcnt lgkmcnt(0)
	s_mul_i32 s2, s12, s2
	s_lshl_b32 s21, s12, 3
	s_sub_i32 s2, s3, s2
	s_mov_b32 s12, 0
	s_mul_hi_u32 s3, s2, s8
	s_delay_alu instid0(SALU_CYCLE_1) | instskip(NEXT) | instid1(SALU_CYCLE_1)
	s_add_i32 s2, s2, s3
	s_lshr_b32 s18, s2, s9
	s_delay_alu instid0(SALU_CYCLE_1) | instskip(NEXT) | instid1(SALU_CYCLE_1)
	s_lshl_b32 s2, s18, 3
	s_add_i32 s2, s2, s14
	s_delay_alu instid0(SALU_CYCLE_1) | instskip(SKIP_2) | instid1(SALU_CYCLE_1)
	s_cmp_lt_i32 s2, s4
	s_cselect_b32 s2, -1, 0
	s_add_i32 s21, s21, s15
	s_cmp_lt_i32 s21, s6
	s_cselect_b32 s3, -1, 0
	s_delay_alu instid0(SALU_CYCLE_1) | instskip(NEXT) | instid1(SALU_CYCLE_1)
	s_and_b32 s2, s2, s3
	s_and_not1_b32 vcc_lo, exec_lo, s2
	s_cbranch_vccnz .LBB3_24
; %bb.8:
	s_load_b128 s[0:3], s[0:1], 0x0
	s_lshl_b32 s22, s20, 8
	s_mov_b32 s23, s12
	s_lshl_b32 s24, s14, 3
	s_lshl_b64 s[22:23], s[22:23], 2
	s_mul_i32 s19, s19, s6
	s_mul_i32 s4, s17, s4
	s_add_i32 s6, s24, s15
	v_cvt_f32_ubyte0_e32 v3, 0
	v_cvt_f32_u32_e32 v4, s20
	s_waitcnt lgkmcnt(0)
	s_add_u32 s15, s2, s22
	s_addc_u32 s17, s3, s23
	s_add_i32 s4, s4, s14
	s_add_i32 s14, s21, s19
	s_mul_i32 s4, s4, s5
	s_mul_i32 s5, s5, s18
	s_add_i32 s4, s14, s4
	s_mulk_i32 s5, 0x140
	s_mul_i32 s4, s4, 40
	s_delay_alu instid0(SALU_CYCLE_1) | instskip(NEXT) | instid1(VALU_DEP_1)
	v_add3_u32 v1, s5, s4, v0
	v_ashrrev_i32_e32 v2, 31, v1
	s_delay_alu instid0(VALU_DEP_1) | instskip(NEXT) | instid1(VALU_DEP_1)
	v_lshlrev_b64 v[1:2], 2, v[1:2]
	v_add_co_u32 v1, vcc_lo, s0, v1
	s_delay_alu instid0(VALU_DEP_2) | instskip(SKIP_1) | instid1(SALU_CYCLE_1)
	v_add_co_ci_u32_e32 v2, vcc_lo, s1, v2, vcc_lo
	s_lshl_b32 s0, s13, 6
	s_add_i32 s0, s6, s0
	global_load_b32 v5, v[1:2], off
	s_ashr_i32 s1, s0, 31
	s_delay_alu instid0(SALU_CYCLE_1) | instskip(NEXT) | instid1(SALU_CYCLE_1)
	s_lshl_b64 s[0:1], s[0:1], 3
	s_add_u32 s0, s2, s0
	s_addc_u32 s1, s3, s1
	s_add_i32 s18, s13, -1
	s_load_b64 s[0:1], s[0:1], 0x0
	v_fmac_f32_e32 v4, 0x4f800000, v3
	s_sub_i32 s14, 0, s20
	s_delay_alu instid0(VALU_DEP_1)
	v_rcp_f32_e32 v3, v4
	s_waitcnt_depctr 0xfff
	v_mul_f32_e32 v6, 0x5f7ffffc, v3
	v_cvt_f32_u32_e32 v3, s20
	s_waitcnt lgkmcnt(0)
	v_mov_b32_e32 v8, s0
	s_delay_alu instid0(VALU_DEP_3) | instskip(NEXT) | instid1(VALU_DEP_3)
	v_mul_f32_e32 v4, 0x2f800000, v6
	v_rcp_iflag_f32_e32 v7, v3
	s_delay_alu instid0(VALU_DEP_1) | instskip(SKIP_1) | instid1(VALU_DEP_2)
	v_trunc_f32_e32 v9, v4
	v_mad_u64_u32 v[3:4], null, s6, 40, v[0:1]
	v_fmac_f32_e32 v6, 0xcf800000, v9
	s_waitcnt_depctr 0xfff
	v_dual_mul_f32 v10, 0x4f7ffffe, v7 :: v_dual_mov_b32 v7, s1
	v_cvt_u32_f32_e32 v4, v9
	v_cvt_u32_f32_e32 v0, v6
	s_delay_alu instid0(VALU_DEP_3)
	v_cvt_u32_f32_e32 v6, v10
.LBB3_9:                                ; =>This Inner Loop Header: Depth=1
	s_mul_hi_i32 s13, s18, s7
	s_mul_i32 s4, s18, s7
	s_cmp_lg_u64 s[12:13], 0
	s_mov_b32 s5, -1
                                        ; implicit-def: $sgpr0_sgpr1
	s_cbranch_scc0 .LBB3_11
; %bb.10:                               ;   in Loop: Header=BB3_9 Depth=1
	v_readfirstlane_b32 s0, v0
	v_readfirstlane_b32 s1, v4
	s_sub_u32 s5, 0, s20
	s_subb_u32 s19, 0, 0
	s_delay_alu instid0(VALU_DEP_2) | instskip(NEXT) | instid1(VALU_DEP_1)
	s_mul_hi_u32 s21, s5, s0
	s_mul_i32 s22, s5, s1
	s_mul_i32 s23, s19, s0
	s_add_i32 s21, s21, s22
	s_mul_i32 s22, s5, s0
	s_add_i32 s21, s21, s23
	s_mul_hi_u32 s23, s0, s22
	s_mul_i32 s24, s0, s21
	s_mul_hi_u32 s0, s0, s21
	s_add_u32 s23, s23, s24
	s_mul_i32 s25, s1, s22
	s_addc_u32 s0, 0, s0
	s_mul_hi_u32 s22, s1, s22
	s_mul_hi_u32 s24, s1, s21
	s_add_u32 s23, s23, s25
	s_addc_u32 s0, s0, s22
	s_mul_i32 s21, s1, s21
	s_addc_u32 s22, s24, 0
	s_add_u32 s0, s0, s21
	s_addc_u32 s21, 0, s22
	v_add_co_u32 v9, s0, v0, s0
	s_delay_alu instid0(VALU_DEP_1) | instskip(SKIP_1) | instid1(VALU_DEP_1)
	s_cmp_lg_u32 s0, 0
	s_addc_u32 s1, s1, s21
	v_readfirstlane_b32 s0, v9
	s_mul_i32 s21, s5, s1
	s_delay_alu instid0(VALU_DEP_1)
	s_mul_hi_u32 s22, s5, s0
	s_mul_i32 s19, s19, s0
	s_add_i32 s21, s22, s21
	s_mul_i32 s5, s5, s0
	s_add_i32 s21, s21, s19
	s_mul_hi_u32 s19, s1, s5
	s_mul_i32 s23, s1, s5
	s_mul_i32 s24, s0, s21
	s_mul_hi_u32 s5, s0, s5
	s_mul_hi_u32 s0, s0, s21
	s_add_u32 s5, s5, s24
	s_addc_u32 s0, 0, s0
	s_mul_hi_u32 s22, s1, s21
	s_add_u32 s5, s5, s23
	s_addc_u32 s0, s0, s19
	s_mul_i32 s5, s1, s21
	s_addc_u32 s19, s22, 0
	s_add_u32 s0, s0, s5
	s_addc_u32 s5, 0, s19
	v_add_co_u32 v9, s0, v9, s0
	s_delay_alu instid0(VALU_DEP_1) | instskip(SKIP_2) | instid1(SALU_CYCLE_1)
	s_cmp_lg_u32 s0, 0
	s_addc_u32 s5, s1, s5
	s_ashr_i32 s0, s13, 31
	s_add_u32 s22, s4, s0
	s_addc_u32 s23, s13, s0
	v_readfirstlane_b32 s13, v9
	s_mov_b32 s1, s0
	s_delay_alu instid0(SALU_CYCLE_1) | instskip(NEXT) | instid1(SALU_CYCLE_1)
	s_xor_b64 s[22:23], s[22:23], s[0:1]
	s_mul_i32 s19, s22, s5
	s_delay_alu instid0(VALU_DEP_1)
	s_mul_hi_u32 s21, s22, s13
	s_mul_hi_u32 s24, s22, s5
	s_add_u32 s19, s21, s19
	s_mul_i32 s25, s23, s13
	s_addc_u32 s21, 0, s24
	s_mul_hi_u32 s13, s23, s13
	s_mul_hi_u32 s24, s23, s5
	s_add_u32 s19, s19, s25
	s_addc_u32 s13, s21, s13
	s_mul_i32 s5, s23, s5
	s_addc_u32 s19, s24, 0
	s_add_u32 s5, s13, s5
	s_addc_u32 s13, 0, s19
	s_mul_i32 s21, s20, s5
	s_add_u32 s19, s5, 1
	v_sub_co_u32 v9, s21, s22, s21
	s_addc_u32 s22, s13, 0
	s_mul_i32 s25, s20, s13
	s_mul_hi_u32 s27, s20, s5
	s_delay_alu instid0(VALU_DEP_1)
	v_sub_co_u32 v10, s26, v9, s20
	s_add_u32 s24, s5, 2
	s_addc_u32 s28, s13, 0
	s_add_i32 s27, s27, s25
	s_cmp_lg_u32 s21, 0
	v_readfirstlane_b32 s21, v10
	s_subb_u32 s23, s23, s27
	s_cmp_lg_u32 s26, 0
	s_subb_u32 s25, s23, 0
	s_delay_alu instid0(VALU_DEP_1) | instskip(SKIP_4) | instid1(SALU_CYCLE_1)
	s_cmp_ge_u32 s21, s20
	s_cselect_b32 s21, -1, 0
	s_cmp_eq_u32 s25, 0
	v_readfirstlane_b32 s25, v9
	s_cselect_b32 s21, s21, -1
	s_cmp_lg_u32 s21, 0
	s_cselect_b32 s19, s24, s19
	s_cselect_b32 s21, s28, s22
	s_cmp_ge_u32 s25, s20
	s_cselect_b32 s22, -1, 0
	s_cmp_eq_u32 s23, 0
	s_cselect_b32 s22, s22, -1
	s_delay_alu instid0(SALU_CYCLE_1) | instskip(SKIP_4) | instid1(SALU_CYCLE_1)
	s_cmp_lg_u32 s22, 0
	s_cselect_b32 s23, s21, s13
	s_cselect_b32 s22, s19, s5
	s_mov_b32 s5, 0
	s_xor_b64 s[22:23], s[22:23], s[0:1]
	s_sub_u32 s0, s22, s0
.LBB3_11:                               ;   in Loop: Header=BB3_9 Depth=1
	s_and_not1_b32 vcc_lo, exec_lo, s5
	s_cbranch_vccnz .LBB3_13
; %bb.12:                               ;   in Loop: Header=BB3_9 Depth=1
	v_readfirstlane_b32 s0, v6
	s_delay_alu instid0(VALU_DEP_1) | instskip(NEXT) | instid1(SALU_CYCLE_1)
	s_mul_i32 s1, s14, s0
	s_mul_hi_u32 s1, s0, s1
	s_delay_alu instid0(SALU_CYCLE_1) | instskip(NEXT) | instid1(SALU_CYCLE_1)
	s_add_i32 s0, s0, s1
	s_mul_hi_u32 s0, s4, s0
	s_delay_alu instid0(SALU_CYCLE_1) | instskip(NEXT) | instid1(SALU_CYCLE_1)
	s_mul_i32 s1, s0, s20
	s_sub_i32 s1, s4, s1
	s_add_i32 s4, s0, 1
	s_sub_i32 s5, s1, s20
	s_cmp_ge_u32 s1, s20
	s_cselect_b32 s0, s4, s0
	s_cselect_b32 s1, s5, s1
	s_add_i32 s4, s0, 1
	s_cmp_ge_u32 s1, s20
	s_cselect_b32 s0, s4, s0
.LBB3_13:                               ;   in Loop: Header=BB3_9 Depth=1
	s_delay_alu instid0(SALU_CYCLE_1)
	s_cmp_lg_u32 s16, s0
	s_cbranch_scc0 .LBB3_17
; %bb.14:                               ;   in Loop: Header=BB3_9 Depth=1
	s_add_i32 s1, s18, s20
	s_mov_b32 s5, s12
	s_lshl_b32 s1, s1, 6
	s_mov_b32 s19, s16
	s_add_i32 s4, s1, s6
	s_mul_hi_u32 s1, s0, s8
	s_lshl_b64 s[4:5], s[4:5], 3
	s_delay_alu instid0(SALU_CYCLE_1) | instskip(SKIP_2) | instid1(SALU_CYCLE_1)
	s_add_u32 s4, s2, s4
	s_addc_u32 s5, s3, s5
	s_add_i32 s1, s1, s0
	s_lshr_b32 s1, s1, s9
	s_delay_alu instid0(SALU_CYCLE_1) | instskip(NEXT) | instid1(SALU_CYCLE_1)
	s_mul_i32 s13, s1, s10
	s_cmp_eq_u32 s13, s0
	s_cselect_b32 s13, -1, 0
	s_cmp_lt_u32 s1, s11
	s_cselect_b32 s1, -1, 0
	s_delay_alu instid0(SALU_CYCLE_1)
	s_or_b32 s1, s1, s13
	s_mov_b32 s13, -1
	s_and_b32 vcc_lo, exec_lo, s1
	s_mov_b32 s1, s18
	s_cbranch_vccnz .LBB3_16
; %bb.15:                               ;   in Loop: Header=BB3_9 Depth=1
	s_add_i32 s1, s18, -1
	s_mov_b32 s13, 0
	s_mov_b32 s19, s0
.LBB3_16:                               ;   in Loop: Header=BB3_9 Depth=1
	v_mad_u64_u32 v[9:10], null, 0xa00, s18, v[3:4]
	s_load_b64 s[4:5], s[4:5], 0x0
	s_delay_alu instid0(VALU_DEP_1) | instskip(NEXT) | instid1(VALU_DEP_1)
	v_ashrrev_i32_e32 v10, 31, v9
	v_lshlrev_b64 v[9:10], 2, v[9:10]
	s_delay_alu instid0(VALU_DEP_1) | instskip(NEXT) | instid1(VALU_DEP_2)
	v_add_co_u32 v9, vcc_lo, s15, v9
	v_add_co_ci_u32_e32 v10, vcc_lo, s17, v10, vcc_lo
	s_waitcnt lgkmcnt(0)
	v_max_f32_e64 v11, s4, s4
	global_load_b32 v10, v[9:10], off
	v_max_f32_e32 v9, v8, v8
	s_delay_alu instid0(VALU_DEP_1) | instskip(NEXT) | instid1(VALU_DEP_1)
	v_max_f32_e32 v9, v9, v11
	v_sub_f32_e32 v12, v8, v9
	s_delay_alu instid0(VALU_DEP_1) | instskip(NEXT) | instid1(VALU_DEP_1)
	v_dual_mul_f32 v14, 0x3fb8aa3b, v12 :: v_dual_sub_f32 v11, s4, v9
	v_rndne_f32_e32 v18, v14
	s_delay_alu instid0(VALU_DEP_2) | instskip(SKIP_2) | instid1(VALU_DEP_4)
	v_mul_f32_e32 v13, 0x3fb8aa3b, v11
	v_fma_f32 v17, 0x3fb8aa3b, v12, -v14
	v_cmp_ngt_f32_e32 vcc_lo, 0xc2ce8ed0, v11
	v_sub_f32_e32 v14, v14, v18
	s_delay_alu instid0(VALU_DEP_4) | instskip(SKIP_2) | instid1(VALU_DEP_3)
	v_fma_f32 v15, 0x3fb8aa3b, v11, -v13
	v_rndne_f32_e32 v16, v13
	v_fmac_f32_e32 v17, 0x32a5705f, v12
	v_fmac_f32_e32 v15, 0x32a5705f, v11
	s_delay_alu instid0(VALU_DEP_2) | instskip(NEXT) | instid1(VALU_DEP_1)
	v_dual_sub_f32 v13, v13, v16 :: v_dual_add_f32 v14, v14, v17
	v_add_f32_e32 v13, v13, v15
	s_delay_alu instid0(VALU_DEP_2) | instskip(SKIP_2) | instid1(VALU_DEP_3)
	v_exp_f32_e32 v14, v14
	v_cvt_i32_f32_e32 v15, v16
	v_cvt_i32_f32_e32 v16, v18
	v_exp_f32_e32 v13, v13
	s_waitcnt_depctr 0xfff
	v_ldexp_f32 v14, v14, v16
	v_ldexp_f32 v13, v13, v15
	s_delay_alu instid0(VALU_DEP_1) | instskip(SKIP_1) | instid1(VALU_DEP_4)
	v_cndmask_b32_e32 v13, 0, v13, vcc_lo
	v_cmp_ngt_f32_e32 vcc_lo, 0xc2ce8ed0, v12
	v_cndmask_b32_e32 v14, 0, v14, vcc_lo
	v_cmp_nlt_f32_e32 vcc_lo, 0x42b17218, v11
	s_delay_alu instid0(VALU_DEP_4) | instskip(SKIP_1) | instid1(VALU_DEP_4)
	v_cndmask_b32_e32 v13, 0x7f800000, v13, vcc_lo
	v_cmp_nlt_f32_e32 vcc_lo, 0x42b17218, v12
	v_cndmask_b32_e32 v14, 0x7f800000, v14, vcc_lo
	v_cmp_le_f32_e32 vcc_lo, 0xc1a00000, v11
	s_delay_alu instid0(VALU_DEP_4) | instskip(SKIP_1) | instid1(VALU_DEP_4)
	v_cndmask_b32_e32 v11, 0, v13, vcc_lo
	v_cmp_le_f32_e32 vcc_lo, 0xc1a00000, v12
	v_cndmask_b32_e32 v12, 0, v14, vcc_lo
	s_waitcnt vmcnt(0)
	s_delay_alu instid0(VALU_DEP_3) | instskip(NEXT) | instid1(VALU_DEP_1)
	v_mul_f32_e32 v10, v10, v11
	v_dual_mul_f32 v11, s5, v11 :: v_dual_fmac_f32 v10, v5, v12
	s_delay_alu instid0(VALU_DEP_1)
	v_fmac_f32_e32 v11, v7, v12
	s_cbranch_execz .LBB3_18
	s_branch .LBB3_19
.LBB3_17:                               ;   in Loop: Header=BB3_9 Depth=1
                                        ; implicit-def: $sgpr13
                                        ; implicit-def: $vgpr10
                                        ; implicit-def: $vgpr9
                                        ; implicit-def: $vgpr11
                                        ; implicit-def: $sgpr1
                                        ; implicit-def: $sgpr19
.LBB3_18:                               ;   in Loop: Header=BB3_9 Depth=1
	s_waitcnt vmcnt(0)
	v_dual_mov_b32 v11, v7 :: v_dual_mov_b32 v10, v5
	v_mov_b32_e32 v9, v8
	s_add_i32 s1, s18, -1
	s_mov_b32 s13, 0
	s_mov_b32 s19, s16
.LBB3_19:                               ;   in Loop: Header=BB3_9 Depth=1
	s_and_not1_b32 vcc_lo, exec_lo, s13
	s_cbranch_vccz .LBB3_23
; %bb.20:                               ;   in Loop: Header=BB3_9 Depth=1
	v_dual_mov_b32 v7, v11 :: v_dual_mov_b32 v8, v9
	s_waitcnt vmcnt(0)
	v_mov_b32_e32 v5, v10
	s_mov_b32 s16, s19
	s_mov_b32 s18, s1
	s_branch .LBB3_9
.LBB3_21:
                                        ; implicit-def: $sgpr16_sgpr17
	s_load_b128 s[8:11], s[0:1], 0x44
	s_branch .LBB3_2
.LBB3_22:
                                        ; implicit-def: $sgpr18_sgpr19
	s_branch .LBB3_5
.LBB3_23:
	v_div_scale_f32 v0, null, v11, v11, v10
	s_delay_alu instid0(VALU_DEP_1) | instskip(SKIP_2) | instid1(VALU_DEP_1)
	v_rcp_f32_e32 v3, v0
	s_waitcnt_depctr 0xfff
	v_fma_f32 v4, -v0, v3, 1.0
	v_fmac_f32_e32 v3, v4, v3
	v_div_scale_f32 v4, vcc_lo, v10, v11, v10
	s_waitcnt vmcnt(0)
	s_delay_alu instid0(VALU_DEP_1) | instskip(NEXT) | instid1(VALU_DEP_1)
	v_mul_f32_e32 v5, v4, v3
	v_fma_f32 v6, -v0, v5, v4
	s_delay_alu instid0(VALU_DEP_1) | instskip(NEXT) | instid1(VALU_DEP_1)
	v_fmac_f32_e32 v5, v6, v3
	v_fma_f32 v0, -v0, v5, v4
	s_delay_alu instid0(VALU_DEP_1) | instskip(NEXT) | instid1(VALU_DEP_1)
	v_div_fmas_f32 v0, v0, v3, v5
	v_div_fixup_f32 v0, v0, v11, v10
	global_store_b32 v[1:2], v0, off
.LBB3_24:
	s_nop 0
	s_sendmsg sendmsg(MSG_DEALLOC_VGPRS)
	s_endpgm
	.section	.rodata,"a",@progbits
	.p2align	6, 0x0
	.amdhsa_kernel _ZL33flash_attn_stream_k_fixup_generalILi40ELi8ELi8EEvPfPK15HIP_vector_typeIfLj2EEiiiiS1_IjLj3EES5_S5_S5_
		.amdhsa_group_segment_fixed_size 0
		.amdhsa_private_segment_fixed_size 0
		.amdhsa_kernarg_size 336
		.amdhsa_user_sgpr_count 13
		.amdhsa_user_sgpr_dispatch_ptr 0
		.amdhsa_user_sgpr_queue_ptr 0
		.amdhsa_user_sgpr_kernarg_segment_ptr 1
		.amdhsa_user_sgpr_dispatch_id 0
		.amdhsa_user_sgpr_private_segment_size 0
		.amdhsa_wavefront_size32 1
		.amdhsa_uses_dynamic_stack 0
		.amdhsa_enable_private_segment 0
		.amdhsa_system_sgpr_workgroup_id_x 1
		.amdhsa_system_sgpr_workgroup_id_y 1
		.amdhsa_system_sgpr_workgroup_id_z 1
		.amdhsa_system_sgpr_workgroup_info 0
		.amdhsa_system_vgpr_workitem_id 0
		.amdhsa_next_free_vgpr 19
		.amdhsa_next_free_sgpr 32
		.amdhsa_reserve_vcc 1
		.amdhsa_float_round_mode_32 0
		.amdhsa_float_round_mode_16_64 0
		.amdhsa_float_denorm_mode_32 3
		.amdhsa_float_denorm_mode_16_64 3
		.amdhsa_dx10_clamp 1
		.amdhsa_ieee_mode 1
		.amdhsa_fp16_overflow 0
		.amdhsa_workgroup_processor_mode 1
		.amdhsa_memory_ordered 1
		.amdhsa_forward_progress 0
		.amdhsa_shared_vgpr_count 0
		.amdhsa_exception_fp_ieee_invalid_op 0
		.amdhsa_exception_fp_denorm_src 0
		.amdhsa_exception_fp_ieee_div_zero 0
		.amdhsa_exception_fp_ieee_overflow 0
		.amdhsa_exception_fp_ieee_underflow 0
		.amdhsa_exception_fp_ieee_inexact 0
		.amdhsa_exception_int_div_zero 0
	.end_amdhsa_kernel
	.section	.text._ZL33flash_attn_stream_k_fixup_generalILi40ELi8ELi8EEvPfPK15HIP_vector_typeIfLj2EEiiiiS1_IjLj3EES5_S5_S5_,"axG",@progbits,_ZL33flash_attn_stream_k_fixup_generalILi40ELi8ELi8EEvPfPK15HIP_vector_typeIfLj2EEiiiiS1_IjLj3EES5_S5_S5_,comdat
.Lfunc_end3:
	.size	_ZL33flash_attn_stream_k_fixup_generalILi40ELi8ELi8EEvPfPK15HIP_vector_typeIfLj2EEiiiiS1_IjLj3EES5_S5_S5_, .Lfunc_end3-_ZL33flash_attn_stream_k_fixup_generalILi40ELi8ELi8EEvPfPK15HIP_vector_typeIfLj2EEiiiiS1_IjLj3EES5_S5_S5_
                                        ; -- End function
	.section	.AMDGPU.csdata,"",@progbits
; Kernel info:
; codeLenInByte = 3220
; NumSgprs: 34
; NumVgprs: 19
; ScratchSize: 0
; MemoryBound: 0
; FloatMode: 240
; IeeeMode: 1
; LDSByteSize: 0 bytes/workgroup (compile time only)
; SGPRBlocks: 4
; VGPRBlocks: 2
; NumSGPRsForWavesPerEU: 34
; NumVGPRsForWavesPerEU: 19
; Occupancy: 16
; WaveLimiterHint : 0
; COMPUTE_PGM_RSRC2:SCRATCH_EN: 0
; COMPUTE_PGM_RSRC2:USER_SGPR: 13
; COMPUTE_PGM_RSRC2:TRAP_HANDLER: 0
; COMPUTE_PGM_RSRC2:TGID_X_EN: 1
; COMPUTE_PGM_RSRC2:TGID_Y_EN: 1
; COMPUTE_PGM_RSRC2:TGID_Z_EN: 1
; COMPUTE_PGM_RSRC2:TIDIG_COMP_CNT: 0
	.section	.text._ZL26flash_attn_combine_resultsILi40EEvPKfPK15HIP_vector_typeIfLj2EEPfi,"axG",@progbits,_ZL26flash_attn_combine_resultsILi40EEvPKfPK15HIP_vector_typeIfLj2EEPfi,comdat
	.globl	_ZL26flash_attn_combine_resultsILi40EEvPKfPK15HIP_vector_typeIfLj2EEPfi ; -- Begin function _ZL26flash_attn_combine_resultsILi40EEvPKfPK15HIP_vector_typeIfLj2EEPfi
	.p2align	8
	.type	_ZL26flash_attn_combine_resultsILi40EEvPKfPK15HIP_vector_typeIfLj2EEPfi,@function
_ZL26flash_attn_combine_resultsILi40EEvPKfPK15HIP_vector_typeIfLj2EEPfi: ; @_ZL26flash_attn_combine_resultsILi40EEvPKfPK15HIP_vector_typeIfLj2EEPfi
; %bb.0:
	s_clause 0x3
	s_load_b64 s[2:3], s[0:1], 0x20
	s_load_b32 s12, s[0:1], 0x18
	s_load_b128 s[8:11], s[0:1], 0x0
	s_load_b64 s[16:17], s[0:1], 0x10
	v_lshlrev_b32_e32 v7, 2, v0
	s_mov_b32 s4, exec_lo
	s_waitcnt lgkmcnt(0)
	s_mul_i32 s0, s2, s15
	s_lshl_b32 s1, s12, 1
	s_add_i32 s0, s0, s13
	s_delay_alu instid0(SALU_CYCLE_1) | instskip(NEXT) | instid1(SALU_CYCLE_1)
	s_mul_i32 s7, s0, s3
	s_add_i32 s7, s7, s14
	s_delay_alu instid0(SALU_CYCLE_1)
	s_mul_i32 s2, s7, s12
	v_cmpx_gt_i32_e64 s1, v0
	s_cbranch_execz .LBB4_3
; %bb.1:
	s_ashr_i32 s3, s2, 31
	v_dual_mov_b32 v4, v0 :: v_dual_add_nc_u32 v3, 0, v7
	s_lshl_b64 s[14:15], s[2:3], 3
	s_delay_alu instid0(SALU_CYCLE_1) | instskip(SKIP_2) | instid1(VALU_DEP_1)
	s_add_u32 s0, s10, s14
	s_addc_u32 s3, s11, s15
	v_add_co_u32 v1, s0, s0, v7
	v_add_co_ci_u32_e64 v2, null, s3, 0, s0
	s_mov_b32 s3, 0
.LBB4_2:                                ; =>This Inner Loop Header: Depth=1
	global_load_b32 v5, v[1:2], off
	v_add_nc_u32_e32 v4, 40, v4
	v_add_co_u32 v1, vcc_lo, 0xa0, v1
	v_add_co_ci_u32_e32 v2, vcc_lo, 0, v2, vcc_lo
	s_delay_alu instid0(VALU_DEP_3) | instskip(NEXT) | instid1(VALU_DEP_1)
	v_cmp_le_i32_e64 s0, s1, v4
	s_or_b32 s3, s0, s3
	s_waitcnt vmcnt(0)
	ds_store_b32 v3, v5
	v_add_nc_u32_e32 v3, 0xa0, v3
	s_and_not1_b32 exec_lo, exec_lo, s3
	s_cbranch_execnz .LBB4_2
.LBB4_3:
	s_or_b32 exec_lo, exec_lo, s4
	v_mov_b32_e32 v1, 0
	s_waitcnt lgkmcnt(0)
	s_barrier
	buffer_gl0_inv
	s_cmp_lt_i32 s12, 2
	ds_load_b32 v8, v1
	s_cbranch_scc1 .LBB4_11
; %bb.4:
	s_add_i32 s1, s12, -2
	s_add_i32 s0, s12, -1
	s_cmp_lt_u32 s1, 7
	s_cbranch_scc1 .LBB4_8
; %bb.5:
	s_mov_b32 s3, 0
	s_add_i32 s1, 0, 8
	s_and_b32 s4, s0, -8
	.p2align	6
.LBB4_6:                                ; =>This Inner Loop Header: Depth=1
	v_mov_b32_e32 v9, s1
	s_mov_b32 s5, s3
	s_add_i32 s3, s3, 8
	s_add_i32 s1, s1, 64
	s_cmp_eq_u32 s4, s3
	ds_load_2addr_b32 v[1:2], v9 offset1:2
	ds_load_2addr_b32 v[3:4], v9 offset0:4 offset1:6
	ds_load_2addr_b32 v[5:6], v9 offset0:8 offset1:10
	;; [unrolled: 1-line block ×3, first 2 shown]
	s_waitcnt lgkmcnt(3)
	v_max3_f32 v1, v8, v1, v2
	s_waitcnt lgkmcnt(2)
	s_delay_alu instid0(VALU_DEP_1) | instskip(SKIP_1) | instid1(VALU_DEP_1)
	v_max3_f32 v1, v1, v3, v4
	s_waitcnt lgkmcnt(1)
	v_max3_f32 v1, v1, v5, v6
	s_waitcnt lgkmcnt(0)
	s_delay_alu instid0(VALU_DEP_1)
	v_max3_f32 v8, v1, v9, v10
	s_cbranch_scc0 .LBB4_6
; %bb.7:
	s_add_i32 s1, s5, 9
	s_and_b32 s0, s0, 7
	s_delay_alu instid0(SALU_CYCLE_1)
	s_cmp_eq_u32 s0, 0
	s_cbranch_scc0 .LBB4_9
	s_branch .LBB4_11
.LBB4_8:
	s_mov_b32 s1, 1
	s_and_b32 s0, s0, 7
	s_delay_alu instid0(SALU_CYCLE_1)
	s_cmp_eq_u32 s0, 0
	s_cbranch_scc1 .LBB4_11
.LBB4_9:
	s_lshl_b32 s1, s1, 3
	s_delay_alu instid0(SALU_CYCLE_1)
	s_add_i32 s1, s1, 0
.LBB4_10:                               ; =>This Inner Loop Header: Depth=1
	s_waitcnt lgkmcnt(0)
	s_delay_alu instid0(VALU_DEP_1)
	v_dual_mov_b32 v1, s1 :: v_dual_max_f32 v2, v8, v8
	s_add_i32 s0, s0, -1
	s_add_i32 s1, s1, 8
	s_cmp_lg_u32 s0, 0
	ds_load_b32 v1, v1
	s_waitcnt lgkmcnt(0)
	v_max_f32_e32 v1, v1, v1
	s_delay_alu instid0(VALU_DEP_1)
	v_max_f32_e32 v8, v2, v1
	s_cbranch_scc1 .LBB4_10
.LBB4_11:
	s_cmp_lt_i32 s12, 1
	s_cbranch_scc1 .LBB4_16
; %bb.12:
	s_mul_i32 s10, s2, 40
	v_mov_b32_e32 v9, 0
	s_ashr_i32 s11, s10, 31
	s_cmp_lt_u32 s12, 8
	s_mov_b32 s14, 0
	s_cbranch_scc1 .LBB4_17
; %bb.13:
	s_lshl_b64 s[0:1], s[10:11], 2
	v_dual_mov_b32 v6, 0 :: v_dual_add_nc_u32 v3, 0xa0, v0
	s_add_u32 s15, s8, s0
	s_addc_u32 s18, s9, s1
	v_add_co_u32 v1, s0, s15, v7
	s_delay_alu instid0(VALU_DEP_1) | instskip(SKIP_1) | instid1(VALU_DEP_3)
	v_add_co_ci_u32_e64 v2, null, s18, 0, s0
	v_dual_mov_b32 v10, 0 :: v_dual_mov_b32 v9, 0
	v_add_co_u32 v1, vcc_lo, 0xa0, v1
	s_delay_alu instid0(VALU_DEP_3)
	v_add_co_ci_u32_e32 v2, vcc_lo, 0, v2, vcc_lo
	s_and_b32 s13, s12, 0x7ffffff8
	s_mov_b32 s19, 0
.LBB4_14:                               ; =>This Inner Loop Header: Depth=1
	v_dual_mov_b32 v4, v6 :: v_dual_add_nc_u32 v5, 0xffffff60, v3
	s_clause 0x1
	global_load_b32 v27, v[1:2], off
	global_load_b32 v28, v[1:2], off offset:160
	s_add_i32 s19, s19, 8
	v_lshlrev_b64 v[11:12], 2, v[5:6]
	v_lshlrev_b64 v[13:14], 2, v[3:4]
	v_subrev_nc_u32_e32 v5, 40, v3
	s_delay_alu instid0(VALU_DEP_3) | instskip(NEXT) | instid1(VALU_DEP_4)
	v_add_co_u32 v11, vcc_lo, s15, v11
	v_add_co_ci_u32_e32 v12, vcc_lo, s18, v12, vcc_lo
	s_delay_alu instid0(VALU_DEP_3)
	v_lshlrev_b64 v[15:16], 2, v[5:6]
	v_add_co_u32 v13, vcc_lo, s15, v13
	global_load_b32 v29, v[11:12], off
	v_add_nc_u32_e32 v5, 40, v3
	v_add_co_ci_u32_e32 v14, vcc_lo, s18, v14, vcc_lo
	v_add_co_u32 v15, vcc_lo, s15, v15
	v_add_co_ci_u32_e32 v16, vcc_lo, s18, v16, vcc_lo
	global_load_b32 v31, v[13:14], off
	v_lshlrev_b64 v[11:12], 2, v[5:6]
	v_add_nc_u32_e32 v5, 0x50, v3
	global_load_b32 v30, v[15:16], off
	v_lshlrev_b64 v[17:18], 2, v[5:6]
	v_add_nc_u32_e32 v5, 0x78, v3
	v_add_co_u32 v11, vcc_lo, s15, v11
	v_add_co_ci_u32_e32 v12, vcc_lo, s18, v12, vcc_lo
	s_delay_alu instid0(VALU_DEP_3)
	v_lshlrev_b64 v[4:5], 2, v[5:6]
	v_add_nc_u32_e32 v3, 0x140, v3
	global_load_b32 v32, v[11:12], off
	v_add_co_u32 v11, vcc_lo, s15, v17
	v_add_co_ci_u32_e32 v12, vcc_lo, s18, v18, vcc_lo
	v_add_co_u32 v4, vcc_lo, s15, v4
	v_add_co_ci_u32_e32 v5, vcc_lo, s18, v5, vcc_lo
	s_clause 0x1
	global_load_b32 v33, v[11:12], off
	global_load_b32 v4, v[4:5], off
	v_mov_b32_e32 v5, s14
	ds_load_2addr_b64 v[11:14], v5 offset1:1
	ds_load_2addr_b64 v[15:18], v5 offset0:2 offset1:3
	ds_load_2addr_b64 v[19:22], v5 offset0:4 offset1:5
	ds_load_2addr_b64 v[23:26], v5 offset0:6 offset1:7
	s_add_i32 s14, s14, 64
	s_cmp_eq_u32 s13, s19
	s_waitcnt lgkmcnt(3)
	v_sub_f32_e32 v5, v11, v8
	v_sub_f32_e32 v11, v13, v8
	s_waitcnt lgkmcnt(2)
	v_sub_f32_e32 v13, v15, v8
	v_sub_f32_e32 v15, v17, v8
	;; [unrolled: 3-line block ×3, first 2 shown]
	s_waitcnt lgkmcnt(0)
	s_delay_alu instid0(VALU_DEP_1) | instskip(SKIP_2) | instid1(VALU_DEP_3)
	v_dual_sub_f32 v21, v23, v8 :: v_dual_mul_f32 v38, 0x3fb8aa3b, v19
	v_mul_f32_e32 v34, 0x3fb8aa3b, v11
	v_cmp_ngt_f32_e32 vcc_lo, 0xc2ce8ed0, v11
	v_fma_f32 v51, 0x3fb8aa3b, v19, -v38
	s_delay_alu instid0(VALU_DEP_3) | instskip(SKIP_2) | instid1(VALU_DEP_4)
	v_fma_f32 v43, 0x3fb8aa3b, v11, -v34
	v_rndne_f32_e32 v44, v34
	v_rndne_f32_e32 v52, v38
	v_fmac_f32_e32 v51, 0x32a5705f, v19
	s_delay_alu instid0(VALU_DEP_3) | instskip(SKIP_1) | instid1(VALU_DEP_4)
	v_dual_fmac_f32 v43, 0x32a5705f, v11 :: v_dual_sub_f32 v34, v34, v44
	v_cvt_i32_f32_e32 v44, v44
	v_sub_f32_e32 v38, v38, v52
	v_cvt_i32_f32_e32 v52, v52
	s_delay_alu instid0(VALU_DEP_4)
	v_add_f32_e32 v34, v34, v43
	v_mul_f32_e32 v36, 0x3fb8aa3b, v15
	v_cmp_ngt_f32_e64 s6, 0xc2ce8ed0, v5
	v_add_f32_e32 v38, v38, v51
	v_cmp_ngt_f32_e64 s1, 0xc2ce8ed0, v15
	v_exp_f32_e32 v34, v34
	v_fma_f32 v47, 0x3fb8aa3b, v15, -v36
	v_rndne_f32_e32 v48, v36
	v_exp_f32_e32 v38, v38
	v_cmp_ngt_f32_e64 s3, 0xc2ce8ed0, v19
	s_delay_alu instid0(VALU_DEP_2) | instskip(SKIP_1) | instid1(TRANS32_DEP_2)
	v_dual_fmac_f32 v47, 0x32a5705f, v15 :: v_dual_sub_f32 v36, v36, v48
	v_cvt_i32_f32_e32 v48, v48
	v_ldexp_f32 v34, v34, v44
	s_delay_alu instid0(VALU_DEP_3) | instskip(SKIP_1) | instid1(TRANS32_DEP_1)
	v_dual_sub_f32 v23, v25, v8 :: v_dual_add_f32 v36, v36, v47
	v_cmp_ngt_f32_e64 s2, 0xc2ce8ed0, v17
	v_ldexp_f32 v38, v38, v52
	s_delay_alu instid0(VALU_DEP_4) | instskip(NEXT) | instid1(VALU_DEP_4)
	v_cndmask_b32_e32 v34, 0, v34, vcc_lo
	v_mul_f32_e32 v40, 0x3fb8aa3b, v23
	v_cmp_nlt_f32_e32 vcc_lo, 0x42b17218, v5
	v_cmp_ngt_f32_e64 s0, 0xc2ce8ed0, v13
	v_exp_f32_e32 v36, v36
	v_cndmask_b32_e64 v38, 0, v38, s3
	v_rndne_f32_e32 v56, v40
	v_mul_f32_e32 v25, 0x3fb8aa3b, v5
	v_fma_f32 v55, 0x3fb8aa3b, v23, -v40
	v_cmp_ngt_f32_e64 s5, 0xc2ce8ed0, v23
	s_delay_alu instid0(VALU_DEP_4) | instskip(NEXT) | instid1(VALU_DEP_4)
	v_sub_f32_e32 v40, v40, v56
	v_fma_f32 v41, 0x3fb8aa3b, v5, -v25
	v_rndne_f32_e32 v42, v25
	v_fmac_f32_e32 v55, 0x32a5705f, v23
	v_ldexp_f32 v36, v36, v48
	v_cvt_i32_f32_e32 v56, v56
	v_fmac_f32_e32 v41, 0x32a5705f, v5
	v_sub_f32_e32 v25, v25, v42
	v_cvt_i32_f32_e32 v42, v42
	v_add_f32_e32 v40, v40, v55
	v_cndmask_b32_e64 v36, 0, v36, s1
	v_cmp_ngt_f32_e64 s4, 0xc2ce8ed0, v21
	v_add_f32_e32 v25, v25, v41
	s_delay_alu instid0(VALU_DEP_4) | instskip(NEXT) | instid1(VALU_DEP_1)
	v_exp_f32_e32 v40, v40
	v_exp_f32_e32 v25, v25
	s_waitcnt_depctr 0xfff
	v_ldexp_f32 v40, v40, v56
	v_ldexp_f32 v25, v25, v42
	s_delay_alu instid0(VALU_DEP_2) | instskip(NEXT) | instid1(VALU_DEP_2)
	v_cndmask_b32_e64 v40, 0, v40, s5
	v_cndmask_b32_e64 v25, 0, v25, s6
	s_delay_alu instid0(VALU_DEP_1) | instskip(SKIP_2) | instid1(VALU_DEP_3)
	v_cndmask_b32_e32 v5, 0x7f800000, v25, vcc_lo
	v_mul_f32_e32 v35, 0x3fb8aa3b, v13
	v_cmp_nlt_f32_e32 vcc_lo, 0x42b17218, v11
	v_fmac_f32_e32 v10, v5, v12
	s_delay_alu instid0(VALU_DEP_3)
	v_fma_f32 v45, 0x3fb8aa3b, v13, -v35
	v_rndne_f32_e32 v46, v35
	v_cndmask_b32_e32 v11, 0x7f800000, v34, vcc_lo
	v_mul_f32_e32 v37, 0x3fb8aa3b, v17
	v_cmp_nlt_f32_e32 vcc_lo, 0x42b17218, v13
	v_fmac_f32_e32 v45, 0x32a5705f, v13
	v_sub_f32_e32 v35, v35, v46
	v_cvt_i32_f32_e32 v46, v46
	v_fmac_f32_e32 v10, v11, v14
	v_fma_f32 v49, 0x3fb8aa3b, v17, -v37
	v_rndne_f32_e32 v50, v37
	v_add_f32_e32 v35, v35, v45
	s_delay_alu instid0(VALU_DEP_3) | instskip(NEXT) | instid1(VALU_DEP_3)
	v_fmac_f32_e32 v49, 0x32a5705f, v17
	v_sub_f32_e32 v37, v37, v50
	s_delay_alu instid0(VALU_DEP_3) | instskip(SKIP_1) | instid1(VALU_DEP_2)
	v_exp_f32_e32 v35, v35
	v_cvt_i32_f32_e32 v50, v50
	v_add_f32_e32 v37, v37, v49
	s_delay_alu instid0(VALU_DEP_1) | instskip(SKIP_2) | instid1(VALU_DEP_1)
	v_exp_f32_e32 v37, v37
	s_waitcnt_depctr 0xfff
	v_ldexp_f32 v35, v35, v46
	v_cndmask_b32_e64 v35, 0, v35, s0
	v_cmp_nlt_f32_e64 s0, 0x42b17218, v23
	v_ldexp_f32 v37, v37, v50
	s_delay_alu instid0(VALU_DEP_1)
	v_cndmask_b32_e64 v37, 0, v37, s2
	s_waitcnt vmcnt(5)
	v_fmac_f32_e32 v9, v29, v5
	v_cndmask_b32_e32 v5, 0x7f800000, v35, vcc_lo
	v_mul_f32_e32 v39, 0x3fb8aa3b, v21
	v_cmp_nlt_f32_e32 vcc_lo, 0x42b17218, v15
	s_delay_alu instid0(VALU_DEP_3) | instskip(NEXT) | instid1(VALU_DEP_3)
	v_dual_fmac_f32 v9, v27, v11 :: v_dual_fmac_f32 v10, v5, v16
	v_fma_f32 v53, 0x3fb8aa3b, v21, -v39
	v_rndne_f32_e32 v54, v39
	v_cndmask_b32_e32 v11, 0x7f800000, v36, vcc_lo
	s_delay_alu instid0(VALU_DEP_4)
	v_fmac_f32_e32 v9, v28, v5
	v_cmp_nlt_f32_e32 vcc_lo, 0x42b17218, v17
	v_fmac_f32_e32 v53, 0x32a5705f, v21
	v_sub_f32_e32 v39, v39, v54
	v_cvt_i32_f32_e32 v54, v54
	v_dual_fmac_f32 v10, v11, v18 :: v_dual_cndmask_b32 v5, 0x7f800000, v37
	s_waitcnt vmcnt(3)
	v_fmac_f32_e32 v9, v30, v11
	v_add_f32_e32 v39, v39, v53
	v_cmp_nlt_f32_e32 vcc_lo, 0x42b17218, v19
	s_delay_alu instid0(VALU_DEP_3) | instskip(NEXT) | instid1(VALU_DEP_3)
	v_dual_fmac_f32 v10, v5, v20 :: v_dual_fmac_f32 v9, v31, v5
	v_exp_f32_e32 v39, v39
	v_cndmask_b32_e32 v11, 0x7f800000, v38, vcc_lo
	v_cmp_nlt_f32_e32 vcc_lo, 0x42b17218, v21
	s_waitcnt vmcnt(2)
	s_delay_alu instid0(VALU_DEP_2) | instskip(SKIP_3) | instid1(VALU_DEP_1)
	v_dual_fmac_f32 v10, v11, v22 :: v_dual_fmac_f32 v9, v32, v11
	v_cndmask_b32_e64 v11, 0x7f800000, v40, s0
	s_waitcnt_depctr 0xfff
	v_ldexp_f32 v39, v39, v54
	v_cndmask_b32_e64 v39, 0, v39, s4
	s_delay_alu instid0(VALU_DEP_1) | instskip(SKIP_2) | instid1(VALU_DEP_3)
	v_cndmask_b32_e32 v5, 0x7f800000, v39, vcc_lo
	v_add_co_u32 v1, vcc_lo, 0x500, v1
	v_add_co_ci_u32_e32 v2, vcc_lo, 0, v2, vcc_lo
	v_fmac_f32_e32 v10, v5, v24
	s_waitcnt vmcnt(1)
	s_delay_alu instid0(VALU_DEP_1) | instskip(SKIP_1) | instid1(VALU_DEP_1)
	v_dual_fmac_f32 v9, v33, v5 :: v_dual_fmac_f32 v10, v11, v26
	s_waitcnt vmcnt(0)
	v_fmac_f32_e32 v9, v4, v11
	s_cbranch_scc0 .LBB4_14
; %bb.15:
	s_and_b32 s1, s12, 7
	s_delay_alu instid0(SALU_CYCLE_1)
	s_cmp_eq_u32 s1, 0
	s_cbranch_scc0 .LBB4_18
	s_branch .LBB4_20
.LBB4_16:
	v_mov_b32_e32 v0, 0x7fc00000
	s_branch .LBB4_21
.LBB4_17:
	v_mov_b32_e32 v10, 0
	s_mov_b32 s13, 0
	s_and_b32 s1, s12, 7
	s_delay_alu instid0(SALU_CYCLE_1)
	s_cmp_eq_u32 s1, 0
	s_cbranch_scc1 .LBB4_20
.LBB4_18:
	v_mad_u64_u32 v[1:2], null, s13, 40, v[0:1]
	v_mov_b32_e32 v2, 0
	s_lshl_b64 s[2:3], s[10:11], 2
	s_delay_alu instid0(SALU_CYCLE_1) | instskip(SKIP_1) | instid1(VALU_DEP_1)
	s_add_u32 s0, s8, s2
	s_addc_u32 s2, s9, s3
	v_lshlrev_b64 v[0:1], 2, v[1:2]
	s_delay_alu instid0(VALU_DEP_1) | instskip(NEXT) | instid1(VALU_DEP_2)
	v_add_co_u32 v0, vcc_lo, s0, v0
	v_add_co_ci_u32_e32 v1, vcc_lo, s2, v1, vcc_lo
	s_lshl_b32 s0, s13, 3
	s_delay_alu instid0(SALU_CYCLE_1)
	s_add_i32 s2, s0, 0
	s_set_inst_prefetch_distance 0x1
	.p2align	6
.LBB4_19:                               ; =>This Inner Loop Header: Depth=1
	global_load_b32 v4, v[0:1], off
	v_mov_b32_e32 v2, s2
	s_add_i32 s1, s1, -1
	s_add_i32 s2, s2, 8
	s_cmp_lg_u32 s1, 0
	ds_load_b64 v[2:3], v2
	s_waitcnt lgkmcnt(0)
	v_sub_f32_e32 v2, v2, v8
	s_delay_alu instid0(VALU_DEP_1) | instskip(NEXT) | instid1(VALU_DEP_1)
	v_mul_f32_e32 v5, 0x3fb8aa3b, v2
	v_fma_f32 v6, 0x3fb8aa3b, v2, -v5
	v_rndne_f32_e32 v11, v5
	s_delay_alu instid0(VALU_DEP_1) | instskip(NEXT) | instid1(VALU_DEP_1)
	v_dual_fmac_f32 v6, 0x32a5705f, v2 :: v_dual_sub_f32 v5, v5, v11
	v_add_f32_e32 v5, v5, v6
	v_cvt_i32_f32_e32 v6, v11
	v_cmp_ngt_f32_e32 vcc_lo, 0xc2ce8ed0, v2
	v_cmp_nlt_f32_e64 s0, 0x42b17218, v2
	s_delay_alu instid0(VALU_DEP_4) | instskip(SKIP_2) | instid1(VALU_DEP_1)
	v_exp_f32_e32 v5, v5
	s_waitcnt_depctr 0xfff
	v_ldexp_f32 v5, v5, v6
	v_cndmask_b32_e32 v5, 0, v5, vcc_lo
	v_add_co_u32 v0, vcc_lo, 0xa0, v0
	v_add_co_ci_u32_e32 v1, vcc_lo, 0, v1, vcc_lo
	s_delay_alu instid0(VALU_DEP_3) | instskip(SKIP_1) | instid1(VALU_DEP_1)
	v_cndmask_b32_e64 v2, 0x7f800000, v5, s0
	s_waitcnt vmcnt(0)
	v_dual_fmac_f32 v10, v2, v3 :: v_dual_fmac_f32 v9, v4, v2
	s_cbranch_scc1 .LBB4_19
.LBB4_20:
	s_set_inst_prefetch_distance 0x2
	s_delay_alu instid0(VALU_DEP_1) | instskip(NEXT) | instid1(VALU_DEP_1)
	v_div_scale_f32 v0, null, v10, v10, v9
	v_rcp_f32_e32 v1, v0
	s_waitcnt_depctr 0xfff
	v_fma_f32 v2, -v0, v1, 1.0
	s_delay_alu instid0(VALU_DEP_1) | instskip(SKIP_1) | instid1(VALU_DEP_1)
	v_fmac_f32_e32 v1, v2, v1
	v_div_scale_f32 v2, vcc_lo, v9, v10, v9
	v_mul_f32_e32 v3, v2, v1
	s_delay_alu instid0(VALU_DEP_1) | instskip(NEXT) | instid1(VALU_DEP_1)
	v_fma_f32 v4, -v0, v3, v2
	v_fmac_f32_e32 v3, v4, v1
	s_delay_alu instid0(VALU_DEP_1) | instskip(NEXT) | instid1(VALU_DEP_1)
	v_fma_f32 v0, -v0, v3, v2
	v_div_fmas_f32 v0, v0, v1, v3
	s_delay_alu instid0(VALU_DEP_1)
	v_div_fixup_f32 v0, v0, v10, v9
.LBB4_21:
	s_mul_i32 s0, s7, 40
	s_delay_alu instid0(SALU_CYCLE_1) | instskip(NEXT) | instid1(SALU_CYCLE_1)
	s_ashr_i32 s1, s0, 31
	s_lshl_b64 s[0:1], s[0:1], 2
	s_delay_alu instid0(SALU_CYCLE_1)
	s_add_u32 s0, s16, s0
	s_addc_u32 s1, s17, s1
	global_store_b32 v7, v0, s[0:1]
	s_nop 0
	s_sendmsg sendmsg(MSG_DEALLOC_VGPRS)
	s_endpgm
	.section	.rodata,"a",@progbits
	.p2align	6, 0x0
	.amdhsa_kernel _ZL26flash_attn_combine_resultsILi40EEvPKfPK15HIP_vector_typeIfLj2EEPfi
		.amdhsa_group_segment_fixed_size 0
		.amdhsa_private_segment_fixed_size 0
		.amdhsa_kernarg_size 288
		.amdhsa_user_sgpr_count 13
		.amdhsa_user_sgpr_dispatch_ptr 0
		.amdhsa_user_sgpr_queue_ptr 0
		.amdhsa_user_sgpr_kernarg_segment_ptr 1
		.amdhsa_user_sgpr_dispatch_id 0
		.amdhsa_user_sgpr_private_segment_size 0
		.amdhsa_wavefront_size32 1
		.amdhsa_uses_dynamic_stack 0
		.amdhsa_enable_private_segment 0
		.amdhsa_system_sgpr_workgroup_id_x 1
		.amdhsa_system_sgpr_workgroup_id_y 1
		.amdhsa_system_sgpr_workgroup_id_z 1
		.amdhsa_system_sgpr_workgroup_info 0
		.amdhsa_system_vgpr_workitem_id 0
		.amdhsa_next_free_vgpr 57
		.amdhsa_next_free_sgpr 20
		.amdhsa_reserve_vcc 1
		.amdhsa_float_round_mode_32 0
		.amdhsa_float_round_mode_16_64 0
		.amdhsa_float_denorm_mode_32 3
		.amdhsa_float_denorm_mode_16_64 3
		.amdhsa_dx10_clamp 1
		.amdhsa_ieee_mode 1
		.amdhsa_fp16_overflow 0
		.amdhsa_workgroup_processor_mode 1
		.amdhsa_memory_ordered 1
		.amdhsa_forward_progress 0
		.amdhsa_shared_vgpr_count 0
		.amdhsa_exception_fp_ieee_invalid_op 0
		.amdhsa_exception_fp_denorm_src 0
		.amdhsa_exception_fp_ieee_div_zero 0
		.amdhsa_exception_fp_ieee_overflow 0
		.amdhsa_exception_fp_ieee_underflow 0
		.amdhsa_exception_fp_ieee_inexact 0
		.amdhsa_exception_int_div_zero 0
	.end_amdhsa_kernel
	.section	.text._ZL26flash_attn_combine_resultsILi40EEvPKfPK15HIP_vector_typeIfLj2EEPfi,"axG",@progbits,_ZL26flash_attn_combine_resultsILi40EEvPKfPK15HIP_vector_typeIfLj2EEPfi,comdat
.Lfunc_end4:
	.size	_ZL26flash_attn_combine_resultsILi40EEvPKfPK15HIP_vector_typeIfLj2EEPfi, .Lfunc_end4-_ZL26flash_attn_combine_resultsILi40EEvPKfPK15HIP_vector_typeIfLj2EEPfi
                                        ; -- End function
	.section	.AMDGPU.csdata,"",@progbits
; Kernel info:
; codeLenInByte = 2360
; NumSgprs: 22
; NumVgprs: 57
; ScratchSize: 0
; MemoryBound: 0
; FloatMode: 240
; IeeeMode: 1
; LDSByteSize: 0 bytes/workgroup (compile time only)
; SGPRBlocks: 2
; VGPRBlocks: 7
; NumSGPRsForWavesPerEU: 22
; NumVGPRsForWavesPerEU: 57
; Occupancy: 16
; WaveLimiterHint : 1
; COMPUTE_PGM_RSRC2:SCRATCH_EN: 0
; COMPUTE_PGM_RSRC2:USER_SGPR: 13
; COMPUTE_PGM_RSRC2:TRAP_HANDLER: 0
; COMPUTE_PGM_RSRC2:TGID_X_EN: 1
; COMPUTE_PGM_RSRC2:TGID_Y_EN: 1
; COMPUTE_PGM_RSRC2:TGID_Z_EN: 1
; COMPUTE_PGM_RSRC2:TIDIG_COMP_CNT: 0
	.section	.text._ZL15flash_attn_tileILi40ELi40ELi4ELi8ELb0EEvPKcS1_S1_S1_S1_PKiPfP15HIP_vector_typeIfLj2EEffffjfiS5_IjLj3EEiiiiiiiiiiiliiliiiiil,"axG",@progbits,_ZL15flash_attn_tileILi40ELi40ELi4ELi8ELb0EEvPKcS1_S1_S1_S1_PKiPfP15HIP_vector_typeIfLj2EEffffjfiS5_IjLj3EEiiiiiiiiiiiliiliiiiil,comdat
	.globl	_ZL15flash_attn_tileILi40ELi40ELi4ELi8ELb0EEvPKcS1_S1_S1_S1_PKiPfP15HIP_vector_typeIfLj2EEffffjfiS5_IjLj3EEiiiiiiiiiiiliiliiiiil ; -- Begin function _ZL15flash_attn_tileILi40ELi40ELi4ELi8ELb0EEvPKcS1_S1_S1_S1_PKiPfP15HIP_vector_typeIfLj2EEffffjfiS5_IjLj3EEiiiiiiiiiiiliiliiiiil
	.p2align	8
	.type	_ZL15flash_attn_tileILi40ELi40ELi4ELi8ELb0EEvPKcS1_S1_S1_S1_PKiPfP15HIP_vector_typeIfLj2EEffffjfiS5_IjLj3EEiiiiiiiiiiiliiliiiiil,@function
_ZL15flash_attn_tileILi40ELi40ELi4ELi8ELb0EEvPKcS1_S1_S1_S1_PKiPfP15HIP_vector_typeIfLj2EEffffjfiS5_IjLj3EEiiiiiiiiiiiliiliiiiil: ; @_ZL15flash_attn_tileILi40ELi40ELi4ELi8ELb0EEvPKcS1_S1_S1_S1_PKiPfP15HIP_vector_typeIfLj2EEffffjfiS5_IjLj3EEiiiiiiiiiiiliiliiiiil
; %bb.0:
	s_clause 0x1
	s_load_b128 s[36:39], s[0:1], 0x5c
	s_load_b64 s[34:35], s[0:1], 0x80
	s_mov_b64 s[40:41], 0
	s_waitcnt lgkmcnt(0)
	s_ashr_i32 s2, s39, 31
	s_delay_alu instid0(SALU_CYCLE_1) | instskip(NEXT) | instid1(SALU_CYCLE_1)
	s_lshr_b32 s2, s2, 29
	s_add_i32 s2, s39, s2
	s_delay_alu instid0(SALU_CYCLE_1) | instskip(NEXT) | instid1(SALU_CYCLE_1)
	s_ashr_i32 s2, s2, 3
	v_cvt_f32_u32_e32 v1, s2
	s_sub_i32 s4, 0, s2
	s_delay_alu instid0(VALU_DEP_1) | instskip(SKIP_2) | instid1(VALU_DEP_1)
	v_rcp_iflag_f32_e32 v1, v1
	s_waitcnt_depctr 0xfff
	v_mul_f32_e32 v1, 0x4f7ffffe, v1
	v_cvt_u32_f32_e32 v1, v1
	s_delay_alu instid0(VALU_DEP_1) | instskip(NEXT) | instid1(VALU_DEP_1)
	v_readfirstlane_b32 s3, v1
	s_mul_i32 s4, s4, s3
	s_delay_alu instid0(SALU_CYCLE_1) | instskip(NEXT) | instid1(SALU_CYCLE_1)
	s_mul_hi_u32 s4, s3, s4
	s_add_i32 s3, s3, s4
	s_delay_alu instid0(SALU_CYCLE_1) | instskip(NEXT) | instid1(SALU_CYCLE_1)
	s_mul_hi_u32 s3, s15, s3
	s_mul_i32 s4, s3, s2
	s_add_i32 s5, s3, 1
	s_sub_i32 s4, s15, s4
	s_delay_alu instid0(SALU_CYCLE_1)
	s_sub_i32 s6, s4, s2
	s_cmp_ge_u32 s4, s2
	s_cselect_b32 s3, s5, s3
	s_cselect_b32 s4, s6, s4
	s_add_i32 s5, s3, 1
	s_cmp_ge_u32 s4, s2
	s_cselect_b32 s33, s5, s3
	s_abs_i32 s2, s35
	s_abs_i32 s5, s39
	v_cvt_f32_u32_e32 v1, s2
	s_sub_i32 s4, 0, s2
	s_xor_b32 s6, s39, s35
	s_delay_alu instid0(SALU_CYCLE_1) | instskip(NEXT) | instid1(VALU_DEP_1)
	s_ashr_i32 s6, s6, 31
	v_rcp_iflag_f32_e32 v1, v1
	s_waitcnt_depctr 0xfff
	v_mul_f32_e32 v1, 0x4f7ffffe, v1
	s_delay_alu instid0(VALU_DEP_1) | instskip(NEXT) | instid1(VALU_DEP_1)
	v_cvt_u32_f32_e32 v1, v1
	v_readfirstlane_b32 s3, v1
	s_delay_alu instid0(VALU_DEP_1) | instskip(NEXT) | instid1(SALU_CYCLE_1)
	s_mul_i32 s4, s4, s3
	s_mul_hi_u32 s4, s3, s4
	s_delay_alu instid0(SALU_CYCLE_1) | instskip(SKIP_2) | instid1(SALU_CYCLE_1)
	s_add_i32 s3, s3, s4
	s_lshl_b32 s4, s15, 3
	s_mul_hi_u32 s3, s5, s3
	s_mul_i32 s7, s3, s2
	s_delay_alu instid0(SALU_CYCLE_1)
	s_sub_i32 s5, s5, s7
	s_add_i32 s7, s3, 1
	s_sub_i32 s8, s5, s2
	s_cmp_ge_u32 s5, s2
	s_cselect_b32 s3, s7, s3
	s_cselect_b32 s5, s8, s5
	s_add_i32 s7, s3, 1
	s_cmp_ge_u32 s5, s2
	s_mul_i32 s5, s33, s39
	s_cselect_b32 s2, s7, s3
	s_delay_alu instid0(SALU_CYCLE_1) | instskip(NEXT) | instid1(SALU_CYCLE_1)
	s_xor_b32 s2, s2, s6
	s_sub_i32 s9, s2, s6
	s_clause 0x1
	s_load_b512 s[16:31], s[0:1], 0x0
	s_load_b64 s[2:3], s[0:1], 0xb8
	s_abs_i32 s8, s9
	s_delay_alu instid0(SALU_CYCLE_1) | instskip(NEXT) | instid1(VALU_DEP_1)
	v_cvt_f32_u32_e32 v1, s8
	v_rcp_iflag_f32_e32 v1, v1
	s_waitcnt_depctr 0xfff
	v_mul_f32_e32 v1, 0x4f7ffffe, v1
	s_waitcnt lgkmcnt(0)
	s_cmp_eq_u64 s[22:23], 0
	s_delay_alu instid0(VALU_DEP_1) | instskip(NEXT) | instid1(VALU_DEP_1)
	v_cvt_u32_f32_e32 v1, v1
	v_readfirstlane_b32 s10, v1
	s_cbranch_scc1 .LBB5_2
; %bb.1:
	s_abs_i32 s2, s2
	s_abs_i32 s11, s33
	v_cvt_f32_u32_e32 v1, s2
	s_sub_i32 s7, 0, s2
	s_delay_alu instid0(VALU_DEP_1) | instskip(SKIP_2) | instid1(VALU_DEP_1)
	v_rcp_iflag_f32_e32 v1, v1
	s_waitcnt_depctr 0xfff
	v_mul_f32_e32 v1, 0x4f7ffffe, v1
	v_cvt_u32_f32_e32 v1, v1
	s_delay_alu instid0(VALU_DEP_1) | instskip(NEXT) | instid1(VALU_DEP_1)
	v_readfirstlane_b32 s6, v1
	s_mul_i32 s7, s7, s6
	s_delay_alu instid0(SALU_CYCLE_1) | instskip(NEXT) | instid1(SALU_CYCLE_1)
	s_mul_hi_u32 s7, s6, s7
	s_add_i32 s12, s6, s7
	s_load_b64 s[6:7], s[0:1], 0xc8
	s_mul_hi_u32 s12, s11, s12
	s_delay_alu instid0(SALU_CYCLE_1) | instskip(NEXT) | instid1(SALU_CYCLE_1)
	s_mul_i32 s12, s12, s2
	s_sub_i32 s11, s11, s12
	s_ashr_i32 s12, s33, 31
	s_sub_i32 s15, s11, s2
	s_cmp_ge_u32 s11, s2
	s_cselect_b32 s11, s15, s11
	s_delay_alu instid0(SALU_CYCLE_1) | instskip(SKIP_2) | instid1(SALU_CYCLE_1)
	s_sub_i32 s15, s11, s2
	s_cmp_ge_u32 s11, s2
	s_cselect_b32 s2, s15, s11
	s_xor_b32 s2, s2, s12
	s_delay_alu instid0(SALU_CYCLE_1)
	s_sub_i32 s2, s2, s12
	s_waitcnt lgkmcnt(0)
	s_mul_i32 s7, s2, s7
	s_mul_hi_u32 s11, s2, s6
	s_ashr_i32 s12, s2, 31
	s_add_i32 s7, s11, s7
	s_mul_i32 s12, s12, s6
	s_mul_i32 s2, s2, s6
	s_add_i32 s7, s7, s12
	s_add_u32 s40, s22, s2
	s_addc_u32 s41, s23, s7
.LBB5_2:
	v_bfe_u32 v6, v0, 10, 10
	v_and_b32_e32 v13, 0x3ff, v0
	s_sub_i32 s15, s4, s5
	s_delay_alu instid0(VALU_DEP_2) | instskip(SKIP_1) | instid1(VALU_DEP_3)
	v_lshrrev_b32_e32 v1, 1, v6
	v_lshlrev_b32_e32 v0, 2, v6
	v_cmp_gt_u32_e64 s2, 20, v13
	v_lshlrev_b32_e32 v12, 1, v13
	s_delay_alu instid0(VALU_DEP_4) | instskip(NEXT) | instid1(VALU_DEP_4)
	v_lshl_add_u32 v14, s13, 2, v1
	v_and_b32_e32 v17, 4, v0
	s_delay_alu instid0(VALU_DEP_2) | instskip(NEXT) | instid1(VALU_DEP_1)
	v_mul_hi_u32 v1, s36, v14
	v_add_nc_u32_e32 v1, v14, v1
	s_delay_alu instid0(VALU_DEP_1) | instskip(NEXT) | instid1(VALU_DEP_1)
	v_lshrrev_b32_e32 v1, s37, v1
	v_mul_lo_u32 v1, v1, s38
	s_delay_alu instid0(VALU_DEP_1)
	v_sub_nc_u32_e32 v7, v14, v1
	s_and_saveexec_b32 s11, s2
	s_cbranch_execz .LBB5_4
; %bb.3:
	s_load_b128 s[4:7], s[0:1], 0x70
	v_or_b32_e32 v22, 1, v0
	v_or_b32_e32 v1, 2, v0
	;; [unrolled: 1-line block ×3, first 2 shown]
	s_delay_alu instid0(VALU_DEP_2) | instskip(NEXT) | instid1(VALU_DEP_2)
	v_and_b32_e32 v21, 6, v1
	v_and_b32_e32 v23, 7, v0
	s_waitcnt lgkmcnt(0)
	s_mul_i32 s6, s33, s6
	s_mul_i32 s7, s15, s5
	s_ashr_i32 s12, s6, 31
	s_add_u32 s6, s16, s6
	s_addc_u32 s12, s17, s12
	s_ashr_i32 s16, s7, 31
	s_add_u32 s6, s6, s7
	s_addc_u32 s7, s12, s16
	s_ashr_i32 s16, s5, 31
	s_ashr_i32 s12, s4, 31
	v_alignbit_b32 v15, s16, s5, 2
	v_alignbit_b32 v2, s12, s4, 2
	s_lshr_b32 s4, s12, 2
	s_lshr_b32 s5, s16, 2
	s_delay_alu instid0(VALU_DEP_2) | instskip(SKIP_3) | instid1(VALU_DEP_3)
	v_mad_u64_u32 v[8:9], null, v15, v23, 0
	v_and_b32_e32 v20, 5, v22
	v_mad_u64_u32 v[0:1], null, v2, v7, 0
	v_mad_u64_u32 v[4:5], null, v15, v21, 0
	;; [unrolled: 1-line block ×4, first 2 shown]
	v_mul_lo_u32 v24, s5, v17
	s_delay_alu instid0(VALU_DEP_3) | instskip(SKIP_3) | instid1(VALU_DEP_3)
	v_mad_u64_u32 v[15:16], null, s4, v7, v[1:2]
	v_mov_b32_e32 v1, v9
	v_mad_u64_u32 v[18:19], null, s5, v20, v[3:4]
	v_mad_u64_u32 v[19:20], null, s5, v21, v[5:6]
	;; [unrolled: 1-line block ×3, first 2 shown]
	v_mov_b32_e32 v1, v15
	v_or_b32_e32 v11, v11, v24
	v_lshlrev_b32_e32 v15, 2, v12
	v_mov_b32_e32 v3, v18
	v_mov_b32_e32 v5, v19
	v_lshlrev_b64 v[0:1], 2, v[0:1]
	v_lshlrev_b64 v[10:11], 2, v[10:11]
	v_mov_b32_e32 v9, v20
	v_lshlrev_b64 v[2:3], 2, v[2:3]
	s_load_b32 s4, s[0:1], 0x40
	s_delay_alu instid0(VALU_DEP_4) | instskip(SKIP_2) | instid1(VALU_DEP_3)
	v_add_co_u32 v16, vcc_lo, s6, v0
	v_add_co_ci_u32_e32 v18, vcc_lo, s7, v1, vcc_lo
	v_lshlrev_b64 v[0:1], 2, v[4:5]
	v_add_co_u32 v15, vcc_lo, v16, v15
	s_delay_alu instid0(VALU_DEP_3) | instskip(SKIP_1) | instid1(VALU_DEP_3)
	v_add_co_ci_u32_e32 v16, vcc_lo, 0, v18, vcc_lo
	v_lshlrev_b64 v[4:5], 2, v[8:9]
	v_add_co_u32 v8, vcc_lo, v15, v10
	s_delay_alu instid0(VALU_DEP_3)
	v_add_co_ci_u32_e32 v9, vcc_lo, v16, v11, vcc_lo
	v_add_co_u32 v2, vcc_lo, v15, v2
	v_add_co_ci_u32_e32 v3, vcc_lo, v16, v3, vcc_lo
	v_add_co_u32 v0, vcc_lo, v15, v0
	;; [unrolled: 2-line block ×3, first 2 shown]
	v_add_co_ci_u32_e32 v5, vcc_lo, v16, v5, vcc_lo
	s_clause 0x3
	global_load_b64 v[8:9], v[8:9], off
	global_load_b64 v[2:3], v[2:3], off
	;; [unrolled: 1-line block ×4, first 2 shown]
	v_mul_u32_u24_e32 v11, 20, v22
	v_mul_u32_u24_e32 v10, 0x50, v6
	s_delay_alu instid0(VALU_DEP_2) | instskip(NEXT) | instid1(VALU_DEP_2)
	v_add_lshl_u32 v11, v11, v13, 2
	v_add_lshl_u32 v10, v10, v13, 2
	s_delay_alu instid0(VALU_DEP_2)
	v_add_nc_u32_e32 v15, 0xc00, v11
	s_waitcnt vmcnt(3) lgkmcnt(0)
	v_fma_mixlo_f16 v8, v8, s4, 0
	s_waitcnt vmcnt(2)
	v_fma_mixlo_f16 v2, v2, s4, 0
	s_waitcnt vmcnt(1)
	;; [unrolled: 2-line block ×3, first 2 shown]
	v_fma_mixlo_f16 v4, v4, s4, 0
	v_fma_mixhi_f16 v8, v9, s4, 0
	v_fma_mixhi_f16 v2, v3, s4, 0
	;; [unrolled: 1-line block ×3, first 2 shown]
	s_delay_alu instid0(VALU_DEP_4)
	v_fma_mixhi_f16 v4, v5, s4, 0
	ds_store_b32 v10, v8 offset:3168
	ds_store_2addr_b32 v15, v2, v0 offset0:24 offset1:44
	ds_store_b32 v11, v4 offset:3328
.LBB5_4:
	s_or_b32 exec_lo, exec_lo, s11
	s_cmp_eq_u64 s[26:27], 0
	s_waitcnt lgkmcnt(0)
	s_barrier
	buffer_gl0_inv
	s_cbranch_scc1 .LBB5_6
; %bb.5:
	s_load_b32 s4, s[0:1], 0xd0
	s_mov_b32 s5, 0
	s_waitcnt lgkmcnt(0)
	s_mul_i32 s4, s4, s33
	s_delay_alu instid0(SALU_CYCLE_1) | instskip(NEXT) | instid1(SALU_CYCLE_1)
	s_add_i32 s4, s4, s13
	s_lshl_b64 s[4:5], s[4:5], 2
	s_delay_alu instid0(SALU_CYCLE_1)
	s_add_u32 s4, s26, s4
	s_addc_u32 s5, s27, s5
	s_load_b32 s34, s[4:5], 0x0
.LBB5_6:
	v_mbcnt_lo_u32_b32 v11, -1, 0
	s_lshl_b32 s13, s14, 5
	s_waitcnt lgkmcnt(0)
	s_cmp_lt_i32 s13, s34
	s_cbranch_scc1 .LBB5_8
; %bb.7:
	v_mbcnt_lo_u32_b32 v4, -1, 0
	v_mov_b32_e32 v22, 32
	s_mov_b32 s4, 0
	s_mov_b32 s5, 0xfeffffff
	s_delay_alu instid0(VALU_DEP_2)
	v_xor_b32_e32 v27, 16, v4
	v_xor_b32_e32 v26, 8, v4
	;; [unrolled: 1-line block ×5, first 2 shown]
	s_branch .LBB5_9
.LBB5_8:
	s_mov_b32 s4, -1
                                        ; implicit-def: $sgpr5
                                        ; implicit-def: $vgpr4
                                        ; implicit-def: $vgpr22
                                        ; implicit-def: $vgpr27
                                        ; implicit-def: $vgpr26
                                        ; implicit-def: $vgpr25
                                        ; implicit-def: $vgpr24
                                        ; implicit-def: $vgpr23
.LBB5_9:
	s_delay_alu instid0(SALU_CYCLE_1) | instskip(SKIP_2) | instid1(VALU_DEP_3)
	v_cndmask_b32_e64 v0, 0, 1, s4
	v_dual_mov_b32 v3, s5 :: v_dual_mov_b32 v46, s4
	v_dual_mov_b32 v21, s4 :: v_dual_mov_b32 v2, s5
	v_cmp_ne_u32_e32 vcc_lo, 1, v0
	v_dual_mov_b32 v1, s5 :: v_dual_mov_b32 v0, s5
	v_dual_mov_b32 v48, s4 :: v_dual_mov_b32 v47, s4
	;; [unrolled: 1-line block ×4, first 2 shown]
	s_cbranch_vccnz .LBB5_22
; %bb.10:
	s_clause 0x1
	s_load_b128 s[4:7], s[0:1], 0x98
	s_load_b64 s[16:17], s[0:1], 0x8c
	s_sub_i32 s11, 0, s8
	s_abs_i32 s12, s15
	s_mul_i32 s11, s11, s10
	s_ashr_i32 s35, s15, 31
	s_mul_hi_u32 s11, s10, s11
	s_ashr_i32 s9, s9, 31
	s_add_i32 s10, s10, s11
	s_ashr_i32 s11, s3, 1
	s_mul_hi_u32 s3, s12, s10
	s_ashr_i32 s10, s33, 31
	s_load_b64 s[26:27], s[0:1], 0xa8
	s_mul_i32 s36, s3, s8
	v_lshrrev_b32_e32 v0, 2, v13
	v_lshlrev_b32_e32 v28, 2, v13
	v_lshl_add_u32 v8, v6, 5, v13
	v_mov_b32_e32 v18, 0
	v_lshl_add_u32 v33, v6, 8, 0x1660
	v_lshl_add_u32 v16, v6, 3, v0
	s_waitcnt lgkmcnt(0)
	s_ashr_i32 s22, s6, 2
	s_mul_i32 s5, s33, s5
	s_mul_hi_u32 s6, s33, s4
	s_ashr_i32 s23, s16, 2
	s_mul_i32 s16, s10, s4
	s_add_i32 s5, s6, s5
	s_mul_i32 s4, s33, s4
	s_add_i32 s5, s5, s16
	s_add_u32 s4, s18, s4
	s_addc_u32 s5, s19, s5
	s_xor_b32 s6, s35, s9
	s_sub_i32 s9, s12, s36
	s_add_i32 s12, s3, 1
	s_sub_i32 s16, s9, s8
	s_cmp_ge_u32 s9, s8
	v_and_b32_e32 v19, 12, v28
	s_cselect_b32 s3, s12, s3
	s_cselect_b32 s9, s16, s9
	s_add_i32 s12, s3, 1
	s_cmp_ge_u32 s9, s8
	v_mul_lo_u32 v0, s23, v16
	s_cselect_b32 s3, s12, s3
	v_mul_lo_u32 v2, s23, v8
	s_xor_b32 s3, s3, s6
	v_mul_lo_u32 v9, s22, v8
	s_sub_i32 s3, s3, s6
	v_mul_lo_u32 v15, s22, v16
	s_mul_i32 s6, s3, s17
	s_mul_i32 s8, s33, s27
	s_mul_hi_u32 s9, s33, s26
	s_ashr_i32 s16, s6, 31
	s_add_u32 s18, s4, s6
	s_mul_i32 s10, s10, s26
	s_addc_u32 s19, s5, s16
	s_add_i32 s4, s9, s8
	v_lshlrev_b32_e32 v20, 2, v19
	v_dual_mov_b32 v42, 0xfeffffff :: v_dual_lshlrev_b32 v21, 3, v13
	s_mul_i32 s12, s33, s26
	s_mul_i32 s3, s3, s7
	s_add_i32 s4, s4, s10
	s_add_u32 s5, s20, s12
	s_addc_u32 s4, s21, s4
	s_ashr_i32 s6, s3, 31
	s_add_u32 s20, s5, s3
	v_cmp_gt_u32_e64 s3, 32, v16
	v_ashrrev_i32_e32 v1, 31, v0
	v_ashrrev_i32_e32 v3, 31, v2
	v_ashrrev_i32_e32 v10, 31, v9
	v_dual_mov_b32 v45, 0xfeffffff :: v_dual_add_nc_u32 v36, v33, v21
	v_mov_b32_e32 v21, 0
	v_mad_u32_u24 v31, 0x60, v16, v20
	v_mad_u32_u24 v35, 0x50, v16, v20
	v_ashrrev_i32_e32 v16, 31, v15
	v_mad_u64_u32 v[4:5], null, v7, s11, v[13:14]
	v_cmp_gt_u32_e32 vcc_lo, 32, v8
	v_mul_u32_u24_e32 v30, 0x140, v6
	v_mad_u32_u24 v32, 0x60, v8, 64
	v_mad_u32_u24 v34, 0x50, v8, 64
	v_lshlrev_b64 v[5:6], 2, v[2:3]
	v_lshlrev_b64 v[7:8], 2, v[0:1]
	;; [unrolled: 1-line block ×4, first 2 shown]
	v_mul_u32_u24_e32 v29, 0x60, v13
	v_dual_mov_b32 v22, 32 :: v_dual_lshlrev_b32 v37, 2, v19
	v_xor_b32_e32 v27, 16, v11
	v_xor_b32_e32 v26, 8, v11
	;; [unrolled: 1-line block ×5, first 2 shown]
	v_dual_mov_b32 v19, 0 :: v_dual_mov_b32 v20, 0
	v_dual_mov_b32 v43, 0xfeffffff :: v_dual_mov_b32 v44, 0xfeffffff
	;; [unrolled: 1-line block ×4, first 2 shown]
	s_addc_u32 s21, s4, s6
	s_add_u32 s16, s0, 0xd0
	s_addc_u32 s17, s1, 0
.LBB5_11:                               ; =>This Inner Loop Header: Depth=1
	s_mul_hi_i32 s5, s13, s23
	s_mul_i32 s4, s13, s23
	s_delay_alu instid0(SALU_CYCLE_1) | instskip(NEXT) | instid1(SALU_CYCLE_1)
	s_lshl_b64 s[6:7], s[4:5], 2
	s_add_u32 s5, s18, s6
	s_addc_u32 s6, s19, s7
	s_and_saveexec_b32 s7, vcc_lo
	s_cbranch_execz .LBB5_13
; %bb.12:                               ;   in Loop: Header=BB5_11 Depth=1
	v_add_co_u32 v0, s4, s5, v5
	s_delay_alu instid0(VALU_DEP_1)
	v_add_co_ci_u32_e64 v1, s4, s6, v6, s4
	global_load_b128 v[0:3], v[0:1], off offset:64
	s_waitcnt vmcnt(0)
	ds_store_b128 v32, v[0:3]
.LBB5_13:                               ;   in Loop: Header=BB5_11 Depth=1
	s_or_b32 exec_lo, exec_lo, s7
	s_and_saveexec_b32 s7, s3
	s_cbranch_execz .LBB5_15
; %bb.14:                               ;   in Loop: Header=BB5_11 Depth=1
	v_add_co_u32 v0, s4, s5, v7
	s_delay_alu instid0(VALU_DEP_1) | instskip(NEXT) | instid1(VALU_DEP_2)
	v_add_co_ci_u32_e64 v1, s4, s6, v8, s4
	v_add_co_u32 v0, s4, v0, v37
	s_delay_alu instid0(VALU_DEP_1)
	v_add_co_ci_u32_e64 v1, s4, 0, v1, s4
	global_load_b128 v[0:3], v[0:1], off
	s_waitcnt vmcnt(0)
	ds_store_b128 v31, v[0:3]
.LBB5_15:                               ;   in Loop: Header=BB5_11 Depth=1
	s_or_b32 exec_lo, exec_lo, s7
	s_waitcnt lgkmcnt(0)
	s_barrier
	buffer_gl0_inv
	ds_load_b128 v[0:3], v29
	ds_load_b128 v[46:49], v30 offset:3168
	ds_load_b128 v[50:53], v30 offset:3248
	;; [unrolled: 1-line block ×4, first 2 shown]
	v_dual_mov_b32 v64, 0 :: v_dual_mov_b32 v65, 0
	v_dual_mov_b32 v66, 0 :: v_dual_mov_b32 v67, 0
	s_mul_hi_i32 s27, s13, s22
	s_mul_i32 s26, s13, s22
	s_waitcnt lgkmcnt(3)
	;;#ASMSTART
	v_dot2_f32_f16 v64, v0, v46, v64
	;;#ASMEND
	;;#ASMSTART
	v_dot2_f32_f16 v64, v1, v47, v64
	;;#ASMEND
	;;#ASMSTART
	v_dot2_f32_f16 v64, v2, v48, v64
	;;#ASMEND
	;;#ASMSTART
	v_dot2_f32_f16 v64, v3, v49, v64
	;;#ASMEND
	s_waitcnt lgkmcnt(2)
	;;#ASMSTART
	v_dot2_f32_f16 v65, v0, v50, v65
	;;#ASMEND
	;;#ASMSTART
	v_dot2_f32_f16 v65, v1, v51, v65
	;;#ASMEND
	;;#ASMSTART
	v_dot2_f32_f16 v65, v2, v52, v65
	;;#ASMEND
	;;#ASMSTART
	v_dot2_f32_f16 v65, v3, v53, v65
	;;#ASMEND
	;; [unrolled: 13-line block ×4, first 2 shown]
	ds_load_b128 v[0:3], v29 offset:16
	ds_load_b128 v[46:49], v30 offset:3184
	;; [unrolled: 1-line block ×5, first 2 shown]
	s_lshl_b64 s[26:27], s[26:27], 2
	s_waitcnt lgkmcnt(3)
	;;#ASMSTART
	v_dot2_f32_f16 v64, v0, v46, v64
	;;#ASMEND
	;;#ASMSTART
	v_dot2_f32_f16 v64, v1, v47, v64
	;;#ASMEND
	;;#ASMSTART
	v_dot2_f32_f16 v64, v2, v48, v64
	;;#ASMEND
	;;#ASMSTART
	v_dot2_f32_f16 v64, v3, v49, v64
	;;#ASMEND
	s_waitcnt lgkmcnt(2)
	;;#ASMSTART
	v_dot2_f32_f16 v65, v0, v50, v65
	;;#ASMEND
	;;#ASMSTART
	v_dot2_f32_f16 v65, v1, v51, v65
	;;#ASMEND
	;;#ASMSTART
	v_dot2_f32_f16 v65, v2, v52, v65
	;;#ASMEND
	;;#ASMSTART
	v_dot2_f32_f16 v65, v3, v53, v65
	;;#ASMEND
	s_waitcnt lgkmcnt(1)
	;;#ASMSTART
	v_dot2_f32_f16 v66, v0, v54, v66
	;;#ASMEND
	;;#ASMSTART
	v_dot2_f32_f16 v66, v1, v55, v66
	;;#ASMEND
	;;#ASMSTART
	v_dot2_f32_f16 v66, v2, v56, v66
	;;#ASMEND
	;;#ASMSTART
	v_dot2_f32_f16 v66, v3, v57, v66
	;;#ASMEND
	s_waitcnt lgkmcnt(0)
	;;#ASMSTART
	v_dot2_f32_f16 v67, v0, v58, v67
	;;#ASMEND
	;;#ASMSTART
	v_dot2_f32_f16 v67, v1, v59, v67
	;;#ASMEND
	;;#ASMSTART
	v_dot2_f32_f16 v67, v2, v60, v67
	;;#ASMEND
	;;#ASMSTART
	v_dot2_f32_f16 v67, v3, v61, v67
	;;#ASMEND
	ds_load_b128 v[0:3], v29 offset:32
	ds_load_b128 v[46:49], v30 offset:3200
	ds_load_b128 v[50:53], v30 offset:3280
	ds_load_b128 v[54:57], v30 offset:3360
	ds_load_b128 v[58:61], v30 offset:3440
	s_add_u32 s26, s20, s26
	s_addc_u32 s27, s21, s27
	s_waitcnt lgkmcnt(3)
	;;#ASMSTART
	v_dot2_f32_f16 v64, v0, v46, v64
	;;#ASMEND
	;;#ASMSTART
	v_dot2_f32_f16 v64, v1, v47, v64
	;;#ASMEND
	;;#ASMSTART
	v_dot2_f32_f16 v64, v2, v48, v64
	;;#ASMEND
	;;#ASMSTART
	v_dot2_f32_f16 v64, v3, v49, v64
	;;#ASMEND
	s_waitcnt lgkmcnt(2)
	;;#ASMSTART
	v_dot2_f32_f16 v65, v0, v50, v65
	;;#ASMEND
	;;#ASMSTART
	v_dot2_f32_f16 v65, v1, v51, v65
	;;#ASMEND
	;;#ASMSTART
	v_dot2_f32_f16 v65, v2, v52, v65
	;;#ASMEND
	;;#ASMSTART
	v_dot2_f32_f16 v65, v3, v53, v65
	;;#ASMEND
	;; [unrolled: 13-line block ×4, first 2 shown]
	ds_load_b128 v[0:3], v29 offset:48
	ds_load_b128 v[46:49], v30 offset:3216
	;; [unrolled: 1-line block ×5, first 2 shown]
	s_waitcnt lgkmcnt(3)
	;;#ASMSTART
	v_dot2_f32_f16 v64, v0, v46, v64
	;;#ASMEND
	;;#ASMSTART
	v_dot2_f32_f16 v64, v1, v47, v64
	;;#ASMEND
	;;#ASMSTART
	v_dot2_f32_f16 v64, v2, v48, v64
	;;#ASMEND
	;;#ASMSTART
	v_dot2_f32_f16 v64, v3, v49, v64
	;;#ASMEND
	s_waitcnt lgkmcnt(2)
	;;#ASMSTART
	v_dot2_f32_f16 v65, v0, v50, v65
	;;#ASMEND
	;;#ASMSTART
	v_dot2_f32_f16 v65, v1, v51, v65
	;;#ASMEND
	;;#ASMSTART
	v_dot2_f32_f16 v65, v2, v52, v65
	;;#ASMEND
	;;#ASMSTART
	v_dot2_f32_f16 v65, v3, v53, v65
	;;#ASMEND
	;; [unrolled: 13-line block ×4, first 2 shown]
	ds_load_b128 v[0:3], v29 offset:64
	ds_load_b128 v[46:49], v30 offset:3232
	v_add_nc_u32_e32 v58, s13, v4
	ds_load_b128 v[50:53], v30 offset:3312
	ds_load_b128 v[54:57], v30 offset:3392
	v_ashrrev_i32_e32 v59, 31, v58
	s_delay_alu instid0(VALU_DEP_1)
	v_lshlrev_b64 v[62:63], 1, v[58:59]
	ds_load_b128 v[58:61], v30 offset:3472
	s_waitcnt lgkmcnt(3)
	;;#ASMSTART
	v_dot2_f32_f16 v64, v0, v46, v64
	;;#ASMEND
	;;#ASMSTART
	v_dot2_f32_f16 v64, v1, v47, v64
	;;#ASMEND
	;; [unrolled: 3-line block ×4, first 2 shown]
	s_waitcnt lgkmcnt(2)
	;;#ASMSTART
	v_dot2_f32_f16 v65, v0, v50, v65
	;;#ASMEND
	;;#ASMSTART
	v_dot2_f32_f16 v65, v1, v51, v65
	;;#ASMEND
	v_add_co_u32 v62, s4, s40, v62
	;;#ASMSTART
	v_dot2_f32_f16 v65, v2, v52, v65
	;;#ASMEND
	;;#ASMSTART
	v_dot2_f32_f16 v65, v3, v53, v65
	;;#ASMEND
	s_waitcnt lgkmcnt(1)
	;;#ASMSTART
	v_dot2_f32_f16 v66, v0, v54, v66
	;;#ASMEND
	v_add_co_ci_u32_e64 v63, s4, s41, v63, s4
	;;#ASMSTART
	v_dot2_f32_f16 v66, v1, v55, v66
	;;#ASMEND
	;;#ASMSTART
	v_dot2_f32_f16 v66, v2, v56, v66
	;;#ASMEND
	;; [unrolled: 3-line block ×3, first 2 shown]
	s_waitcnt lgkmcnt(0)
	;;#ASMSTART
	v_dot2_f32_f16 v67, v0, v58, v67
	;;#ASMEND
	;;#ASMSTART
	v_dot2_f32_f16 v67, v1, v59, v67
	;;#ASMEND
	;; [unrolled: 3-line block ×4, first 2 shown]
	flat_load_u16 v0, v[62:63]
	v_cmp_gt_i32_e64 s4, 32, v27
	v_max_f32_e32 v3, v42, v42
	s_waitcnt vmcnt(0) lgkmcnt(0)
	s_barrier
	buffer_gl0_inv
	v_cndmask_b32_e64 v1, v11, v27, s4
	v_max_f32_e32 v2, v44, v44
	v_cmp_gt_i32_e64 s4, 32, v26
	s_delay_alu instid0(VALU_DEP_3) | instskip(SKIP_2) | instid1(VALU_DEP_2)
	v_lshlrev_b32_e32 v1, 2, v1
	v_cvt_f32_f16_e32 v0, v0
	v_max_f32_e32 v46, v43, v43
	v_dual_max_f32 v48, v45, v45 :: v_dual_add_f32 v51, v67, v0
	v_add_f32_e32 v47, v64, v0
	v_add_f32_e32 v49, v65, v0
	s_delay_alu instid0(VALU_DEP_3) | instskip(NEXT) | instid1(VALU_DEP_3)
	v_dual_add_f32 v52, v66, v0 :: v_dual_add_f32 v53, 0x40051340, v51
	v_add_f32_e32 v0, 0x40051340, v47
	s_delay_alu instid0(VALU_DEP_3) | instskip(NEXT) | instid1(VALU_DEP_3)
	v_add_f32_e32 v50, 0x40051340, v49
	v_add_f32_e32 v54, 0x40051340, v52
	s_delay_alu instid0(VALU_DEP_3) | instskip(NEXT) | instid1(VALU_DEP_3)
	v_dual_max_f32 v0, v3, v0 :: v_dual_max_f32 v3, v46, v53
	v_max_f32_e32 v2, v2, v50
	ds_bpermute_b32 v53, v1, v3
	ds_bpermute_b32 v50, v1, v2
	s_waitcnt lgkmcnt(1)
	v_dual_max_f32 v53, v53, v53 :: v_dual_max_f32 v46, v48, v54
	ds_bpermute_b32 v48, v1, v0
	v_cndmask_b32_e64 v54, v11, v26, s4
	v_cmp_gt_i32_e64 s4, 32, v25
	v_max_f32_e32 v3, v3, v53
	ds_bpermute_b32 v1, v1, v46
	s_waitcnt lgkmcnt(0)
	v_dual_max_f32 v1, v1, v1 :: v_dual_lshlrev_b32 v54, 2, v54
	s_delay_alu instid0(VALU_DEP_1) | instskip(SKIP_3) | instid1(VALU_DEP_1)
	v_dual_max_f32 v48, v48, v48 :: v_dual_max_f32 v1, v46, v1
	ds_bpermute_b32 v53, v54, v1
	s_waitcnt lgkmcnt(0)
	v_dual_max_f32 v53, v53, v53 :: v_dual_max_f32 v50, v50, v50
	v_dual_max_f32 v1, v1, v53 :: v_dual_max_f32 v2, v2, v50
	ds_bpermute_b32 v50, v54, v3
	s_waitcnt lgkmcnt(0)
	v_max_f32_e32 v50, v50, v50
	v_max_f32_e32 v0, v0, v48
	ds_bpermute_b32 v48, v54, v2
	v_max_f32_e32 v3, v3, v50
	ds_bpermute_b32 v46, v54, v0
	v_cndmask_b32_e64 v54, v11, v25, s4
	v_cmp_gt_i32_e64 s4, 32, v24
	s_delay_alu instid0(VALU_DEP_2)
	v_lshlrev_b32_e32 v54, 2, v54
	ds_bpermute_b32 v50, v54, v3
	ds_bpermute_b32 v53, v54, v1
	s_waitcnt lgkmcnt(1)
	v_max_f32_e32 v50, v50, v50
	s_waitcnt lgkmcnt(0)
	v_dual_max_f32 v48, v48, v48 :: v_dual_max_f32 v53, v53, v53
	v_max_f32_e32 v46, v46, v46
	s_delay_alu instid0(VALU_DEP_2) | instskip(NEXT) | instid1(VALU_DEP_2)
	v_dual_max_f32 v3, v3, v50 :: v_dual_max_f32 v2, v2, v48
	v_dual_max_f32 v1, v1, v53 :: v_dual_max_f32 v0, v0, v46
	ds_bpermute_b32 v48, v54, v2
	ds_bpermute_b32 v46, v54, v0
	v_cndmask_b32_e64 v54, v11, v24, s4
	v_cmp_gt_i32_e64 s4, 32, v23
	s_delay_alu instid0(VALU_DEP_2) | instskip(SKIP_4) | instid1(VALU_DEP_1)
	v_lshlrev_b32_e32 v54, 2, v54
	ds_bpermute_b32 v50, v54, v3
	ds_bpermute_b32 v53, v54, v1
	s_waitcnt lgkmcnt(2)
	v_max_f32_e32 v46, v46, v46
	v_max_f32_e32 v0, v0, v46
	ds_bpermute_b32 v46, v54, v0
	s_waitcnt lgkmcnt(1)
	v_dual_max_f32 v50, v50, v50 :: v_dual_max_f32 v53, v53, v53
	s_delay_alu instid0(VALU_DEP_1) | instskip(NEXT) | instid1(VALU_DEP_1)
	v_dual_max_f32 v3, v3, v50 :: v_dual_max_f32 v48, v48, v48
	v_max_f32_e32 v2, v2, v48
	ds_bpermute_b32 v48, v54, v2
	v_cndmask_b32_e64 v54, v11, v23, s4
	s_waitcnt lgkmcnt(1)
	v_max_f32_e32 v46, v46, v46
	s_delay_alu instid0(VALU_DEP_2) | instskip(NEXT) | instid1(VALU_DEP_2)
	v_lshlrev_b32_e32 v54, 2, v54
	v_max_f32_e32 v0, v0, v46
	v_max_f32_e32 v46, v1, v53
	ds_bpermute_b32 v50, v54, v3
	ds_bpermute_b32 v1, v54, v0
	;; [unrolled: 1-line block ×3, first 2 shown]
	s_waitcnt lgkmcnt(3)
	v_max_f32_e32 v48, v48, v48
	s_delay_alu instid0(VALU_DEP_1)
	v_max_f32_e32 v2, v2, v48
	ds_bpermute_b32 v48, v54, v2
	s_waitcnt lgkmcnt(2)
	v_dual_max_f32 v50, v50, v50 :: v_dual_max_f32 v1, v1, v1
	s_waitcnt lgkmcnt(1)
	v_max_f32_e32 v53, v53, v53
	s_delay_alu instid0(VALU_DEP_2) | instskip(NEXT) | instid1(VALU_DEP_1)
	v_dual_max_f32 v3, v3, v50 :: v_dual_max_f32 v0, v0, v1
	v_dual_sub_f32 v43, v43, v3 :: v_dual_sub_f32 v50, v42, v0
	s_delay_alu instid0(VALU_DEP_1) | instskip(SKIP_1) | instid1(VALU_DEP_3)
	v_cmp_ngt_f32_e64 s11, 0xc2ce8ed0, v43
	v_cmp_nlt_f32_e64 s10, 0x42b17218, v43
	v_cmp_ngt_f32_e64 s4, 0xc2ce8ed0, v50
	v_cmp_nlt_f32_e64 s5, 0x42b17218, v50
	s_waitcnt lgkmcnt(0)
	v_max_f32_e32 v48, v48, v48
	s_delay_alu instid0(VALU_DEP_1) | instskip(SKIP_1) | instid1(VALU_DEP_2)
	v_max_f32_e32 v1, v2, v48
	v_dual_max_f32 v2, v46, v53 :: v_dual_sub_f32 v53, v47, v0
	v_sub_f32_e32 v46, v49, v1
	s_delay_alu instid0(VALU_DEP_2) | instskip(NEXT) | instid1(VALU_DEP_3)
	v_dual_sub_f32 v42, v45, v2 :: v_dual_sub_f32 v45, v51, v3
	v_dual_mul_f32 v49, 0x3fb8aa3b, v53 :: v_dual_sub_f32 v48, v52, v2
	s_delay_alu instid0(VALU_DEP_3) | instskip(SKIP_1) | instid1(VALU_DEP_4)
	v_mul_f32_e32 v47, 0x3fb8aa3b, v46
	v_cmp_ngt_f32_e64 s8, 0xc2ce8ed0, v46
	v_mul_f32_e32 v51, 0x3fb8aa3b, v45
	s_delay_alu instid0(VALU_DEP_4)
	v_fma_f32 v56, 0x3fb8aa3b, v53, -v49
	v_rndne_f32_e32 v57, v49
	v_fma_f32 v54, 0x3fb8aa3b, v46, -v47
	v_rndne_f32_e32 v55, v47
	v_mul_f32_e32 v52, 0x3fb8aa3b, v48
	v_fma_f32 v58, 0x3fb8aa3b, v45, -v51
	v_rndne_f32_e32 v59, v51
	s_delay_alu instid0(VALU_DEP_4)
	v_dual_fmac_f32 v54, 0x32a5705f, v46 :: v_dual_sub_f32 v47, v47, v55
	v_fmac_f32_e32 v56, 0x32a5705f, v53
	v_sub_f32_e32 v49, v49, v57
	v_fma_f32 v60, 0x3fb8aa3b, v48, -v52
	v_rndne_f32_e32 v61, v52
	v_dual_add_f32 v47, v47, v54 :: v_dual_fmac_f32 v58, 0x32a5705f, v45
	v_sub_f32_e32 v51, v51, v59
	v_add_f32_e32 v49, v49, v56
	v_fmac_f32_e32 v60, 0x32a5705f, v48
	s_delay_alu instid0(VALU_DEP_4) | instskip(NEXT) | instid1(VALU_DEP_3)
	v_exp_f32_e32 v47, v47
	v_dual_sub_f32 v52, v52, v61 :: v_dual_add_f32 v51, v51, v58
	s_delay_alu instid0(VALU_DEP_3) | instskip(SKIP_2) | instid1(VALU_DEP_3)
	v_exp_f32_e32 v49, v49
	v_cvt_i32_f32_e32 v54, v55
	v_cvt_i32_f32_e32 v55, v57
	v_add_f32_e32 v52, v52, v60
	v_exp_f32_e32 v51, v51
	v_cvt_i32_f32_e32 v56, v59
	v_cvt_i32_f32_e32 v57, v61
	s_delay_alu instid0(TRANS32_DEP_3)
	v_ldexp_f32 v47, v47, v54
	v_exp_f32_e32 v52, v52
	v_sub_f32_e32 v44, v44, v1
	v_ldexp_f32 v49, v49, v55
	v_cmp_nlt_f32_e64 s9, 0x42b17218, v42
	v_cndmask_b32_e64 v47, 0, v47, s8
	v_cmp_ngt_f32_e64 s8, 0xc2ce8ed0, v53
	v_ldexp_f32 v51, v51, v56
	v_cmp_ngt_f32_e64 s6, 0xc2ce8ed0, v44
	v_cmp_nlt_f32_e64 s7, 0x42b17218, v44
	s_delay_alu instid0(VALU_DEP_4) | instskip(SKIP_2) | instid1(VALU_DEP_2)
	v_cndmask_b32_e64 v49, 0, v49, s8
	v_cmp_ngt_f32_e64 s8, 0xc2ce8ed0, v45
	v_ldexp_f32 v52, v52, v57
	v_cndmask_b32_e64 v51, 0, v51, s8
	v_cmp_ngt_f32_e64 s8, 0xc2ce8ed0, v48
	s_delay_alu instid0(VALU_DEP_1) | instskip(SKIP_1) | instid1(VALU_DEP_1)
	v_cndmask_b32_e64 v52, 0, v52, s8
	v_cmp_nlt_f32_e64 s8, 0x42b17218, v46
	v_cndmask_b32_e64 v47, 0x7f800000, v47, s8
	v_cmp_nlt_f32_e64 s8, 0x42b17218, v45
	s_delay_alu instid0(VALU_DEP_2) | instskip(NEXT) | instid1(VALU_DEP_2)
	v_cvt_f16_f32_e32 v45, v47
	v_cndmask_b32_e64 v46, 0x7f800000, v51, s8
	v_cmp_nlt_f32_e64 s8, 0x42b17218, v48
	s_delay_alu instid0(VALU_DEP_2) | instskip(NEXT) | instid1(VALU_DEP_2)
	v_cvt_f16_f32_e32 v51, v46
	;; [unrolled: 4-line block ×3, first 2 shown]
	v_cndmask_b32_e64 v49, 0x7f800000, v49, s8
	v_cmp_ngt_f32_e64 s8, 0xc2ce8ed0, v42
	s_delay_alu instid0(VALU_DEP_3) | instskip(NEXT) | instid1(VALU_DEP_3)
	v_pack_b32_f16 v52, v52, v51
	v_cvt_f16_f32_e32 v53, v49
	s_delay_alu instid0(VALU_DEP_1)
	v_pack_b32_f16 v51, v53, v45
	ds_store_b64 v36, v[51:52]
	s_and_saveexec_b32 s35, vcc_lo
	s_cbranch_execz .LBB5_17
; %bb.16:                               ;   in Loop: Header=BB5_11 Depth=1
	v_add_co_u32 v51, s12, s26, v9
	s_delay_alu instid0(VALU_DEP_1)
	v_add_co_ci_u32_e64 v52, s12, s27, v10, s12
	global_load_b128 v[51:54], v[51:52], off offset:64
	s_waitcnt vmcnt(0)
	ds_store_b128 v34, v[51:54]
.LBB5_17:                               ;   in Loop: Header=BB5_11 Depth=1
	s_or_b32 exec_lo, exec_lo, s35
	s_and_saveexec_b32 s35, s3
	s_cbranch_execz .LBB5_19
; %bb.18:                               ;   in Loop: Header=BB5_11 Depth=1
	v_add_co_u32 v45, s12, s26, v15
	s_delay_alu instid0(VALU_DEP_1) | instskip(NEXT) | instid1(VALU_DEP_2)
	v_add_co_ci_u32_e64 v52, s12, s27, v16, s12
	v_add_co_u32 v51, s12, v45, v37
	s_delay_alu instid0(VALU_DEP_1)
	v_add_co_ci_u32_e64 v52, s12, 0, v52, s12
	global_load_b128 v[51:54], v[51:52], off
	s_waitcnt vmcnt(0)
	ds_store_b128 v35, v[51:54]
.LBB5_19:                               ;   in Loop: Header=BB5_11 Depth=1
	s_or_b32 exec_lo, exec_lo, s35
	v_mul_f32_e32 v45, 0x3fb8aa3b, v50
	v_dual_mul_f32 v51, 0x3fb8aa3b, v44 :: v_dual_mul_f32 v52, 0x3fb8aa3b, v42
	s_waitcnt lgkmcnt(0)
	s_barrier
	s_delay_alu instid0(VALU_DEP_2) | instskip(SKIP_4) | instid1(VALU_DEP_4)
	v_fma_f32 v54, 0x3fb8aa3b, v50, -v45
	v_rndne_f32_e32 v55, v45
	v_fma_f32 v56, 0x3fb8aa3b, v44, -v51
	v_rndne_f32_e32 v57, v51
	v_fma_f32 v58, 0x3fb8aa3b, v42, -v52
	v_dual_fmac_f32 v54, 0x32a5705f, v50 :: v_dual_sub_f32 v45, v45, v55
	v_mul_f32_e32 v53, 0x3fb8aa3b, v43
	v_rndne_f32_e32 v50, v52
	v_fmac_f32_e32 v56, 0x32a5705f, v44
	buffer_gl0_inv
	v_dual_add_f32 v44, v45, v54 :: v_dual_sub_f32 v45, v51, v57
	v_fma_f32 v59, 0x3fb8aa3b, v43, -v53
	v_rndne_f32_e32 v60, v53
	v_fmac_f32_e32 v58, 0x32a5705f, v42
	v_sub_f32_e32 v42, v52, v50
	v_exp_f32_e32 v51, v44
	v_fmac_f32_e32 v59, 0x32a5705f, v43
	v_sub_f32_e32 v43, v53, v60
	s_delay_alu instid0(VALU_DEP_3) | instskip(SKIP_2) | instid1(VALU_DEP_4)
	v_dual_add_f32 v45, v45, v56 :: v_dual_add_f32 v42, v42, v58
	v_cvt_i32_f32_e32 v52, v55
	v_cvt_i32_f32_e32 v54, v57
	v_add_f32_e32 v43, v43, v59
	s_delay_alu instid0(VALU_DEP_4)
	v_exp_f32_e32 v53, v45
	v_exp_f32_e32 v55, v42
	v_cvt_i32_f32_e32 v57, v60
	v_cvt_i32_f32_e32 v50, v50
	v_exp_f32_e32 v56, v43
	ds_load_2addr_b32 v[58:59], v28 offset1:20
	ds_load_b128 v[42:45], v33
	v_ldexp_f32 v51, v51, v52
	v_ldexp_f32 v52, v53, v54
	;; [unrolled: 1-line block ×3, first 2 shown]
	s_delay_alu instid0(VALU_DEP_3) | instskip(SKIP_1) | instid1(VALU_DEP_4)
	v_cndmask_b32_e64 v51, 0, v51, s4
	v_ldexp_f32 v53, v56, v57
	v_cndmask_b32_e64 v52, 0, v52, s6
	s_delay_alu instid0(VALU_DEP_4) | instskip(NEXT) | instid1(VALU_DEP_4)
	v_cndmask_b32_e64 v50, 0, v50, s8
	v_cndmask_b32_e64 v64, 0x7f800000, v51, s5
	s_delay_alu instid0(VALU_DEP_4) | instskip(NEXT) | instid1(VALU_DEP_4)
	v_cndmask_b32_e64 v53, 0, v53, s11
	v_cndmask_b32_e64 v65, 0x7f800000, v52, s7
	s_delay_alu instid0(VALU_DEP_4) | instskip(NEXT) | instid1(VALU_DEP_4)
	v_cndmask_b32_e64 v67, 0x7f800000, v50, s9
	v_cvt_f16_f32_e32 v54, v64
	v_fmac_f32_e32 v49, v41, v64
	v_cndmask_b32_e64 v66, 0x7f800000, v53, s10
	ds_load_b128 v[50:53], v33 offset:16
	ds_load_2addr_b32 v[60:61], v28 offset0:40 offset1:60
	s_waitcnt lgkmcnt(2)
	v_pk_mul_f16 v56, v58, v42 op_sel_hi:[1,0]
	v_cvt_f16_f32_e32 v57, v65
	v_pk_mul_f16 v42, v58, v42 op_sel:[0,1]
	v_cvt_f16_f32_e32 v55, v66
	v_cvt_f16_f32_e32 v68, v67
	v_pk_mul_f16 v69, v58, v43 op_sel_hi:[1,0]
	v_pk_fma_f16 v21, v54, v21, v56 op_sel_hi:[0,1,1]
	v_pk_fma_f16 v20, v57, v20, v42 op_sel_hi:[0,1,1]
	v_pk_mul_f16 v18, v55, v18 op_sel_hi:[0,1]
	ds_load_2addr_b32 v[62:63], v28 offset0:80 offset1:100
	ds_load_b128 v[54:57], v33 offset:32
	v_pk_fma_f16 v42, v68, v19, v69 op_sel_hi:[0,1,1]
	v_dual_fmac_f32 v48, v39, v67 :: v_dual_fmac_f32 v47, v40, v65
	v_pk_fma_f16 v43, v58, v43, v18 op_sel:[0,1,0]
	v_pk_fma_f16 v58, v59, v44, v21 op_sel_hi:[1,0,1]
	v_pk_fma_f16 v44, v59, v44, v20 op_sel:[0,1,0]
	v_pk_fma_f16 v42, v59, v45, v42 op_sel_hi:[1,0,1]
	ds_load_b128 v[18:21], v33 offset:48
	v_pk_fma_f16 v43, v59, v45, v43 op_sel:[0,1,0]
	s_waitcnt lgkmcnt(3)
	v_pk_fma_f16 v45, v60, v50, v58 op_sel_hi:[1,0,1]
	v_pk_fma_f16 v44, v60, v50, v44 op_sel:[0,1,0]
	ds_load_2addr_b32 v[58:59], v28 offset0:120 offset1:140
	v_pk_fma_f16 v42, v60, v51, v42 op_sel_hi:[1,0,1]
	v_pk_fma_f16 v43, v60, v51, v43 op_sel:[0,1,0]
	v_pk_fma_f16 v45, v61, v52, v45 op_sel_hi:[1,0,1]
	v_pk_fma_f16 v44, v61, v52, v44 op_sel:[0,1,0]
	v_fmac_f32_e32 v46, v38, v66
	v_pk_fma_f16 v50, v61, v53, v42 op_sel_hi:[1,0,1]
	v_pk_fma_f16 v51, v61, v53, v43 op_sel:[0,1,0]
	s_waitcnt lgkmcnt(2)
	v_pk_fma_f16 v52, v62, v54, v45 op_sel_hi:[1,0,1]
	v_pk_fma_f16 v53, v62, v54, v44 op_sel:[0,1,0]
	ds_load_2addr_b32 v[60:61], v28 offset0:160 offset1:180
	ds_load_b128 v[42:45], v33 offset:64
	v_pk_fma_f16 v50, v62, v55, v50 op_sel_hi:[1,0,1]
	v_pk_fma_f16 v51, v62, v55, v51 op_sel:[0,1,0]
	v_pk_fma_f16 v52, v63, v56, v52 op_sel_hi:[1,0,1]
	v_pk_fma_f16 v53, v63, v56, v53 op_sel:[0,1,0]
	s_delay_alu instid0(VALU_DEP_4) | instskip(NEXT) | instid1(VALU_DEP_4)
	v_pk_fma_f16 v56, v63, v57, v50 op_sel_hi:[1,0,1]
	v_pk_fma_f16 v57, v63, v57, v51 op_sel:[0,1,0]
	s_waitcnt lgkmcnt(2)
	v_pk_fma_f16 v62, v58, v18, v52 op_sel_hi:[1,0,1]
	v_pk_fma_f16 v18, v58, v18, v53 op_sel:[0,1,0]
	ds_load_2addr_b32 v[54:55], v28 offset0:200 offset1:220
	ds_load_b128 v[50:53], v33 offset:80
	v_pk_fma_f16 v56, v58, v19, v56 op_sel_hi:[1,0,1]
	v_pk_fma_f16 v19, v58, v19, v57 op_sel:[0,1,0]
	v_pk_fma_f16 v57, v59, v20, v62 op_sel_hi:[1,0,1]
	v_pk_fma_f16 v18, v59, v20, v18 op_sel:[0,1,0]
	v_add_nc_u32_e32 v20, 0x200, v28
	v_pk_fma_f16 v58, v59, v21, v56 op_sel_hi:[1,0,1]
	v_pk_fma_f16 v59, v59, v21, v19 op_sel:[0,1,0]
	s_waitcnt lgkmcnt(2)
	v_pk_fma_f16 v62, v60, v42, v57 op_sel_hi:[1,0,1]
	v_pk_fma_f16 v42, v60, v42, v18 op_sel:[0,1,0]
	ds_load_2addr_b32 v[56:57], v20 offset0:112 offset1:132
	ds_load_b128 v[18:21], v33 offset:96
	v_pk_fma_f16 v58, v60, v43, v58 op_sel_hi:[1,0,1]
	v_pk_fma_f16 v43, v60, v43, v59 op_sel:[0,1,0]
	v_pk_fma_f16 v59, v61, v44, v62 op_sel_hi:[1,0,1]
	v_pk_fma_f16 v42, v61, v44, v42 op_sel:[0,1,0]
	v_add_nc_u32_e32 v60, 0x400, v28
	v_pk_fma_f16 v62, v61, v45, v58 op_sel_hi:[1,0,1]
	v_pk_fma_f16 v61, v61, v45, v43 op_sel:[0,1,0]
	s_waitcnt lgkmcnt(2)
	v_pk_fma_f16 v63, v54, v50, v59 op_sel_hi:[1,0,1]
	v_pk_fma_f16 v50, v54, v50, v42 op_sel:[0,1,0]
	ds_load_2addr_b32 v[58:59], v60 offset0:24 offset1:44
	ds_load_b128 v[42:45], v33 offset:112
	v_pk_fma_f16 v62, v54, v51, v62 op_sel_hi:[1,0,1]
	v_pk_fma_f16 v51, v54, v51, v61 op_sel:[0,1,0]
	v_pk_fma_f16 v54, v55, v52, v63 op_sel_hi:[1,0,1]
	v_pk_fma_f16 v50, v55, v52, v50 op_sel:[0,1,0]
	s_delay_alu instid0(VALU_DEP_4) | instskip(NEXT) | instid1(VALU_DEP_4)
	v_pk_fma_f16 v61, v55, v53, v62 op_sel_hi:[1,0,1]
	v_pk_fma_f16 v62, v55, v53, v51 op_sel:[0,1,0]
	s_waitcnt lgkmcnt(2)
	v_pk_fma_f16 v63, v56, v18, v54 op_sel_hi:[1,0,1]
	v_pk_fma_f16 v18, v56, v18, v50 op_sel:[0,1,0]
	ds_load_2addr_b32 v[54:55], v60 offset0:64 offset1:84
	ds_load_b128 v[50:53], v33 offset:128
	v_pk_fma_f16 v61, v56, v19, v61 op_sel_hi:[1,0,1]
	v_pk_fma_f16 v19, v56, v19, v62 op_sel:[0,1,0]
	v_pk_fma_f16 v56, v57, v20, v63 op_sel_hi:[1,0,1]
	v_pk_fma_f16 v18, v57, v20, v18 op_sel:[0,1,0]
	s_delay_alu instid0(VALU_DEP_4) | instskip(NEXT) | instid1(VALU_DEP_4)
	v_pk_fma_f16 v61, v57, v21, v61 op_sel_hi:[1,0,1]
	v_pk_fma_f16 v62, v57, v21, v19 op_sel:[0,1,0]
	s_waitcnt lgkmcnt(2)
	v_pk_fma_f16 v63, v58, v42, v56 op_sel_hi:[1,0,1]
	v_pk_fma_f16 v42, v58, v42, v18 op_sel:[0,1,0]
	ds_load_2addr_b32 v[56:57], v60 offset0:104 offset1:124
	ds_load_b128 v[18:21], v33 offset:144
	v_pk_fma_f16 v61, v58, v43, v61 op_sel_hi:[1,0,1]
	v_pk_fma_f16 v43, v58, v43, v62 op_sel:[0,1,0]
	v_pk_fma_f16 v58, v59, v44, v63 op_sel_hi:[1,0,1]
	v_pk_fma_f16 v42, v59, v44, v42 op_sel:[0,1,0]
	s_delay_alu instid0(VALU_DEP_4) | instskip(NEXT) | instid1(VALU_DEP_4)
	v_pk_fma_f16 v61, v59, v45, v61 op_sel_hi:[1,0,1]
	v_pk_fma_f16 v62, v59, v45, v43 op_sel:[0,1,0]
	s_waitcnt lgkmcnt(2)
	v_pk_fma_f16 v63, v54, v50, v58 op_sel_hi:[1,0,1]
	v_pk_fma_f16 v50, v54, v50, v42 op_sel:[0,1,0]
	ds_load_2addr_b32 v[58:59], v60 offset0:144 offset1:164
	ds_load_b128 v[42:45], v33 offset:160
	v_pk_fma_f16 v61, v54, v51, v61 op_sel_hi:[1,0,1]
	v_pk_fma_f16 v51, v54, v51, v62 op_sel:[0,1,0]
	v_pk_fma_f16 v54, v55, v52, v63 op_sel_hi:[1,0,1]
	v_pk_fma_f16 v50, v55, v52, v50 op_sel:[0,1,0]
	s_delay_alu instid0(VALU_DEP_4) | instskip(NEXT) | instid1(VALU_DEP_4)
	v_pk_fma_f16 v61, v55, v53, v61 op_sel_hi:[1,0,1]
	v_pk_fma_f16 v62, v55, v53, v51 op_sel:[0,1,0]
	s_waitcnt lgkmcnt(2)
	v_pk_fma_f16 v63, v56, v18, v54 op_sel_hi:[1,0,1]
	v_pk_fma_f16 v18, v56, v18, v50 op_sel:[0,1,0]
	ds_load_2addr_b32 v[54:55], v60 offset0:184 offset1:204
	ds_load_b128 v[50:53], v33 offset:176
	v_pk_fma_f16 v61, v56, v19, v61 op_sel_hi:[1,0,1]
	v_pk_fma_f16 v19, v56, v19, v62 op_sel:[0,1,0]
	v_pk_fma_f16 v56, v57, v20, v63 op_sel_hi:[1,0,1]
	v_pk_fma_f16 v18, v57, v20, v18 op_sel:[0,1,0]
	s_delay_alu instid0(VALU_DEP_4) | instskip(NEXT) | instid1(VALU_DEP_4)
	v_pk_fma_f16 v61, v57, v21, v61 op_sel_hi:[1,0,1]
	v_pk_fma_f16 v62, v57, v21, v19 op_sel:[0,1,0]
	s_waitcnt lgkmcnt(2)
	v_pk_fma_f16 v63, v58, v42, v56 op_sel_hi:[1,0,1]
	v_pk_fma_f16 v42, v58, v42, v18 op_sel:[0,1,0]
	ds_load_2addr_b32 v[56:57], v60 offset0:224 offset1:244
	ds_load_b128 v[18:21], v33 offset:192
	v_pk_fma_f16 v60, v58, v43, v61 op_sel_hi:[1,0,1]
	v_pk_fma_f16 v43, v58, v43, v62 op_sel:[0,1,0]
	v_pk_fma_f16 v58, v59, v44, v63 op_sel_hi:[1,0,1]
	v_pk_fma_f16 v42, v59, v44, v42 op_sel:[0,1,0]
	v_add_nc_u32_e32 v61, 0x800, v28
	v_pk_fma_f16 v60, v59, v45, v60 op_sel_hi:[1,0,1]
	v_pk_fma_f16 v62, v59, v45, v43 op_sel:[0,1,0]
	s_waitcnt lgkmcnt(2)
	v_pk_fma_f16 v63, v54, v50, v58 op_sel_hi:[1,0,1]
	v_pk_fma_f16 v50, v54, v50, v42 op_sel:[0,1,0]
	ds_load_2addr_b32 v[58:59], v61 offset0:8 offset1:28
	ds_load_b128 v[42:45], v33 offset:208
	v_pk_fma_f16 v60, v54, v51, v60 op_sel_hi:[1,0,1]
	v_pk_fma_f16 v51, v54, v51, v62 op_sel:[0,1,0]
	v_pk_fma_f16 v54, v55, v52, v63 op_sel_hi:[1,0,1]
	v_pk_fma_f16 v50, v55, v52, v50 op_sel:[0,1,0]
	s_delay_alu instid0(VALU_DEP_4) | instskip(NEXT) | instid1(VALU_DEP_4)
	v_pk_fma_f16 v52, v55, v53, v60 op_sel_hi:[1,0,1]
	v_pk_fma_f16 v51, v55, v53, v51 op_sel:[0,1,0]
	s_waitcnt lgkmcnt(2)
	v_pk_fma_f16 v54, v56, v18, v54 op_sel_hi:[1,0,1]
	v_pk_fma_f16 v55, v56, v18, v50 op_sel:[0,1,0]
	v_pk_fma_f16 v60, v56, v19, v52 op_sel_hi:[1,0,1]
	v_pk_fma_f16 v56, v56, v19, v51 op_sel:[0,1,0]
	ds_load_2addr_b32 v[18:19], v61 offset0:48 offset1:68
	ds_load_b128 v[50:53], v33 offset:224
	v_pk_fma_f16 v54, v57, v20, v54 op_sel_hi:[1,0,1]
	v_pk_fma_f16 v20, v57, v20, v55 op_sel:[0,1,0]
	v_pk_fma_f16 v55, v57, v21, v60 op_sel_hi:[1,0,1]
	v_pk_fma_f16 v21, v57, v21, v56 op_sel:[0,1,0]
	s_waitcnt lgkmcnt(2)
	v_pk_fma_f16 v60, v58, v42, v54 op_sel_hi:[1,0,1]
	v_pk_fma_f16 v20, v58, v42, v20 op_sel:[0,1,0]
	v_pk_fma_f16 v62, v58, v43, v55 op_sel_hi:[1,0,1]
	ds_load_2addr_b32 v[41:42], v61 offset0:88 offset1:108
	ds_load_b128 v[54:57], v33 offset:240
	v_pk_fma_f16 v21, v58, v43, v21 op_sel:[0,1,0]
	s_waitcnt lgkmcnt(0)
	s_barrier
	buffer_gl0_inv
	s_load_b32 s4, s[16:17], 0x4
	v_pk_fma_f16 v43, v59, v44, v60 op_sel_hi:[1,0,1]
	v_pk_fma_f16 v20, v59, v44, v20 op_sel:[0,1,0]
	v_pk_fma_f16 v44, v59, v45, v62 op_sel_hi:[1,0,1]
	v_pk_fma_f16 v21, v59, v45, v21 op_sel:[0,1,0]
	s_delay_alu instid0(VALU_DEP_4) | instskip(NEXT) | instid1(VALU_DEP_4)
	v_pk_fma_f16 v43, v18, v50, v43 op_sel_hi:[1,0,1]
	v_pk_fma_f16 v20, v18, v50, v20 op_sel:[0,1,0]
	s_delay_alu instid0(VALU_DEP_4) | instskip(NEXT) | instid1(VALU_DEP_4)
	;; [unrolled: 3-line block ×6, first 2 shown]
	v_pk_fma_f16 v39, v41, v55, v40 op_sel_hi:[1,0,1]
	v_pk_fma_f16 v18, v41, v55, v18 op_sel:[0,1,0]
	s_waitcnt lgkmcnt(0)
	s_lshl_b32 s4, s4, 5
	v_pk_fma_f16 v21, v42, v56, v19 op_sel_hi:[1,0,1]
	v_pk_fma_f16 v20, v42, v56, v20 op_sel:[0,1,0]
	v_pk_fma_f16 v19, v42, v57, v39 op_sel_hi:[1,0,1]
	v_pk_fma_f16 v18, v42, v57, v18 op_sel:[0,1,0]
	s_add_i32 s13, s4, s13
	s_delay_alu instid0(SALU_CYCLE_1)
	s_cmp_ge_i32 s13, s34
	s_cbranch_scc1 .LBB5_21
; %bb.20:                               ;   in Loop: Header=BB5_11 Depth=1
	v_dual_mov_b32 v42, v0 :: v_dual_mov_b32 v45, v2
	v_dual_mov_b32 v44, v1 :: v_dual_mov_b32 v43, v3
	;; [unrolled: 1-line block ×4, first 2 shown]
	s_branch .LBB5_11
.LBB5_21:
	v_mov_b32_e32 v4, v11
.LBB5_22:
	v_cmp_lt_i32_e32 vcc_lo, v27, v22
	s_cmp_lg_u64 s[24:25], 0
	s_cselect_b32 s3, -1, 0
	s_cmp_eq_u32 s14, 0
	v_cndmask_b32_e32 v5, v4, v27, vcc_lo
	v_cmp_lt_i32_e32 vcc_lo, v26, v22
	s_cselect_b32 s4, -1, 0
	s_delay_alu instid0(SALU_CYCLE_1) | instskip(NEXT) | instid1(VALU_DEP_2)
	s_and_b32 s3, s4, s3
	v_lshlrev_b32_e32 v5, 2, v5
	v_cndmask_b32_e32 v9, v4, v26, vcc_lo
	v_cmp_lt_i32_e32 vcc_lo, v25, v22
	ds_bpermute_b32 v8, v5, v48
	v_cndmask_b32_e32 v16, v4, v25, vcc_lo
	v_cmp_lt_i32_e32 vcc_lo, v24, v22
	s_delay_alu instid0(VALU_DEP_2)
	v_lshlrev_b32_e32 v16, 2, v16
	s_waitcnt lgkmcnt(0)
	v_add_f32_e32 v8, v48, v8
	ds_bpermute_b32 v7, v5, v47
	ds_bpermute_b32 v6, v5, v49
	;; [unrolled: 1-line block ×3, first 2 shown]
	s_waitcnt lgkmcnt(1)
	v_dual_add_f32 v7, v47, v7 :: v_dual_add_f32 v6, v49, v6
	v_lshlrev_b32_e32 v9, 2, v9
	ds_bpermute_b32 v10, v9, v6
	s_waitcnt lgkmcnt(0)
	v_add_f32_e32 v6, v6, v10
	ds_bpermute_b32 v15, v9, v8
	v_add_f32_e32 v5, v46, v5
	ds_bpermute_b32 v11, v9, v7
	s_waitcnt lgkmcnt(1)
	v_add_f32_e32 v8, v8, v15
	ds_bpermute_b32 v9, v9, v5
	s_waitcnt lgkmcnt(1)
	v_add_f32_e32 v7, v7, v11
	ds_bpermute_b32 v11, v16, v8
	ds_bpermute_b32 v10, v16, v7
	s_waitcnt lgkmcnt(2)
	v_add_f32_e32 v5, v5, v9
	ds_bpermute_b32 v9, v16, v6
	ds_bpermute_b32 v15, v16, v5
	v_cndmask_b32_e32 v16, v4, v24, vcc_lo
	v_cmp_lt_i32_e32 vcc_lo, v23, v22
	s_waitcnt lgkmcnt(2)
	s_delay_alu instid0(VALU_DEP_2)
	v_dual_add_f32 v7, v7, v10 :: v_dual_lshlrev_b32 v16, 2, v16
	ds_bpermute_b32 v10, v16, v7
	v_add_f32_e32 v8, v8, v11
	s_waitcnt lgkmcnt(2)
	v_add_f32_e32 v6, v6, v9
	ds_bpermute_b32 v9, v16, v6
	s_waitcnt lgkmcnt(1)
	v_dual_add_f32 v7, v7, v10 :: v_dual_cndmask_b32 v4, v4, v23
	v_add_f32_e32 v5, v5, v15
	ds_bpermute_b32 v11, v16, v8
	s_and_b32 vcc_lo, exec_lo, s3
	v_lshlrev_b32_e32 v4, 2, v4
	ds_bpermute_b32 v15, v16, v5
	s_waitcnt lgkmcnt(2)
	v_add_f32_e32 v6, v6, v9
	ds_bpermute_b32 v10, v4, v7
	s_waitcnt lgkmcnt(2)
	v_add_f32_e32 v8, v8, v11
	s_waitcnt lgkmcnt(1)
	v_add_f32_e32 v9, v5, v15
	ds_bpermute_b32 v5, v4, v6
	ds_bpermute_b32 v11, v4, v8
	;; [unrolled: 1-line block ×3, first 2 shown]
	s_waitcnt lgkmcnt(2)
	v_dual_add_f32 v4, v6, v5 :: v_dual_add_f32 v5, v7, v10
	s_waitcnt lgkmcnt(1)
	v_add_f32_e32 v6, v8, v11
	s_waitcnt lgkmcnt(0)
	v_add_f32_e32 v7, v9, v15
	s_cbranch_vccz .LBB5_25
; %bb.23:
	v_dual_max_f32 v15, v0, v0 :: v_dual_add_nc_u32 v8, s15, v17
	v_dual_max_f32 v16, v1, v1 :: v_dual_max_f32 v25, v3, v3
	s_delay_alu instid0(VALU_DEP_2) | instskip(NEXT) | instid1(VALU_DEP_1)
	v_ashrrev_i32_e32 v9, 31, v8
	v_lshlrev_b64 v[8:9], 2, v[8:9]
	s_delay_alu instid0(VALU_DEP_1) | instskip(NEXT) | instid1(VALU_DEP_2)
	v_add_co_u32 v8, vcc_lo, s24, v8
	v_add_co_ci_u32_e32 v9, vcc_lo, s25, v9, vcc_lo
	global_load_b128 v[8:11], v[8:9], off
	s_waitcnt vmcnt(0)
	v_dual_max_f32 v24, v2, v2 :: v_dual_max_f32 v23, v9, v9
	v_dual_max_f32 v22, v8, v8 :: v_dual_max_f32 v27, v11, v11
	s_delay_alu instid0(VALU_DEP_2) | instskip(NEXT) | instid1(VALU_DEP_2)
	v_dual_max_f32 v26, v10, v10 :: v_dual_max_f32 v23, v16, v23
	v_dual_max_f32 v22, v15, v22 :: v_dual_max_f32 v25, v25, v27
	s_delay_alu instid0(VALU_DEP_2) | instskip(NEXT) | instid1(VALU_DEP_2)
	v_dual_max_f32 v24, v24, v26 :: v_dual_sub_f32 v9, v9, v23
	v_dual_sub_f32 v15, v0, v22 :: v_dual_sub_f32 v16, v1, v23
	s_delay_alu instid0(VALU_DEP_2) | instskip(NEXT) | instid1(VALU_DEP_4)
	v_sub_f32_e32 v10, v10, v24
	v_dual_sub_f32 v8, v8, v22 :: v_dual_sub_f32 v27, v3, v25
	v_dual_sub_f32 v26, v2, v24 :: v_dual_sub_f32 v11, v11, v25
	v_dual_mov_b32 v0, v22 :: v_dual_mov_b32 v3, v25
	v_dual_mov_b32 v1, v23 :: v_dual_mov_b32 v2, v24
	s_delay_alu instid0(VALU_DEP_4) | instskip(SKIP_2) | instid1(VALU_DEP_3)
	v_mul_f32_e32 v23, 0x3fb8aa3b, v8
	v_dual_mul_f32 v24, 0x3fb8aa3b, v16 :: v_dual_mul_f32 v29, 0x3fb8aa3b, v10
	v_dual_mul_f32 v22, 0x3fb8aa3b, v15 :: v_dual_mul_f32 v25, 0x3fb8aa3b, v9
	v_fma_f32 v34, 0x3fb8aa3b, v8, -v23
	s_delay_alu instid0(VALU_DEP_3) | instskip(NEXT) | instid1(VALU_DEP_4)
	v_fma_f32 v36, 0x3fb8aa3b, v16, -v24
	v_fma_f32 v42, 0x3fb8aa3b, v10, -v29
	v_rndne_f32_e32 v43, v29
	v_fma_f32 v32, 0x3fb8aa3b, v15, -v22
	v_rndne_f32_e32 v33, v22
	;; [unrolled: 2-line block ×3, first 2 shown]
	v_dual_fmac_f32 v36, 0x32a5705f, v16 :: v_dual_sub_f32 v29, v29, v43
	v_fmac_f32_e32 v42, 0x32a5705f, v10
	v_rndne_f32_e32 v35, v23
	v_sub_f32_e32 v22, v22, v33
	v_dual_fmac_f32 v34, 0x32a5705f, v8 :: v_dual_sub_f32 v25, v25, v39
	s_delay_alu instid0(VALU_DEP_4) | instskip(SKIP_3) | instid1(VALU_DEP_3)
	v_dual_fmac_f32 v38, 0x32a5705f, v9 :: v_dual_add_f32 v29, v29, v42
	v_fmac_f32_e32 v32, 0x32a5705f, v15
	v_dual_sub_f32 v23, v23, v35 :: v_dual_mul_f32 v28, 0x3fb8aa3b, v26
	v_mul_f32_e32 v31, 0x3fb8aa3b, v11
	v_dual_add_f32 v25, v25, v38 :: v_dual_add_f32 v22, v22, v32
	s_delay_alu instid0(VALU_DEP_3) | instskip(SKIP_2) | instid1(VALU_DEP_4)
	v_dual_mul_f32 v30, 0x3fb8aa3b, v27 :: v_dual_add_f32 v23, v23, v34
	v_rndne_f32_e32 v37, v24
	v_cvt_i32_f32_e32 v33, v33
	v_exp_f32_e32 v22, v22
	v_rndne_f32_e32 v47, v31
	v_exp_f32_e32 v23, v23
	v_sub_f32_e32 v24, v24, v37
	v_cmp_ngt_f32_e32 vcc_lo, 0xc2ce8ed0, v15
	v_fma_f32 v40, 0x3fb8aa3b, v26, -v28
	v_rndne_f32_e32 v41, v28
	v_fma_f32 v46, 0x3fb8aa3b, v11, -v31
	v_sub_f32_e32 v31, v31, v47
	v_cvt_i32_f32_e32 v35, v35
	v_ldexp_f32 v22, v22, v33
	v_cvt_i32_f32_e32 v37, v37
	v_fmac_f32_e32 v46, 0x32a5705f, v11
	v_sub_f32_e32 v28, v28, v41
	v_ldexp_f32 v23, v23, v35
	v_cndmask_b32_e32 v22, 0, v22, vcc_lo
	v_add_f32_e32 v24, v24, v36
	v_cmp_ngt_f32_e32 vcc_lo, 0xc2ce8ed0, v8
	v_fmac_f32_e32 v40, 0x32a5705f, v26
	v_add_f32_e32 v31, v31, v46
	v_exp_f32_e32 v25, v25
	v_exp_f32_e32 v24, v24
	s_delay_alu instid0(VALU_DEP_2)
	v_dual_cndmask_b32 v23, 0, v23 :: v_dual_add_f32 v28, v28, v40
	v_cvt_i32_f32_e32 v39, v39
	v_cmp_ngt_f32_e32 vcc_lo, 0xc2ce8ed0, v16
	v_cvt_i32_f32_e32 v41, v41
	v_exp_f32_e32 v29, v29
	v_exp_f32_e32 v28, v28
	;; [unrolled: 1-line block ×3, first 2 shown]
	v_ldexp_f32 v25, v25, v39
	v_ldexp_f32 v24, v24, v37
	v_fma_f32 v44, 0x3fb8aa3b, v27, -v30
	v_rndne_f32_e32 v45, v30
	v_cvt_i32_f32_e32 v43, v43
	v_cvt_i32_f32_e32 v34, v47
	v_cndmask_b32_e32 v24, 0, v24, vcc_lo
	v_cmp_ngt_f32_e32 vcc_lo, 0xc2ce8ed0, v9
	v_ldexp_f32 v28, v28, v41
	v_ldexp_f32 v29, v29, v43
	;; [unrolled: 1-line block ×3, first 2 shown]
	v_sub_f32_e32 v30, v30, v45
	v_cndmask_b32_e32 v25, 0, v25, vcc_lo
	v_cmp_ngt_f32_e32 vcc_lo, 0xc2ce8ed0, v26
	v_cvt_i32_f32_e32 v32, v45
	v_cndmask_b32_e32 v28, 0, v28, vcc_lo
	v_cmp_ngt_f32_e32 vcc_lo, 0xc2ce8ed0, v10
	v_dual_fmac_f32 v44, 0x32a5705f, v27 :: v_dual_cndmask_b32 v29, 0, v29
	s_delay_alu instid0(VALU_DEP_1) | instskip(SKIP_1) | instid1(VALU_DEP_2)
	v_add_f32_e32 v30, v30, v44
	v_cmp_ngt_f32_e32 vcc_lo, 0xc2ce8ed0, v27
	v_exp_f32_e32 v30, v30
	s_waitcnt_depctr 0xfff
	v_ldexp_f32 v30, v30, v32
	s_delay_alu instid0(VALU_DEP_1)
	v_cndmask_b32_e32 v30, 0, v30, vcc_lo
	v_cmp_ngt_f32_e32 vcc_lo, 0xc2ce8ed0, v11
	v_cndmask_b32_e32 v31, 0, v31, vcc_lo
	v_cmp_nlt_f32_e32 vcc_lo, 0x42b17218, v15
	v_cndmask_b32_e32 v15, 0x7f800000, v22, vcc_lo
	v_cmp_nlt_f32_e32 vcc_lo, 0x42b17218, v8
	;; [unrolled: 2-line block ×3, first 2 shown]
	s_delay_alu instid0(VALU_DEP_2)
	v_fmac_f32_e32 v8, v4, v15
	v_cndmask_b32_e32 v16, 0x7f800000, v24, vcc_lo
	v_cmp_nlt_f32_e32 vcc_lo, 0x42b17218, v9
	v_cvt_f16_f32_e32 v4, v15
	v_cndmask_b32_e32 v9, 0x7f800000, v25, vcc_lo
	v_cmp_nlt_f32_e32 vcc_lo, 0x42b17218, v26
	s_delay_alu instid0(VALU_DEP_3) | instskip(NEXT) | instid1(VALU_DEP_3)
	v_pk_mul_f16 v21, v21, v4 op_sel_hi:[1,0]
	v_dual_mov_b32 v4, v8 :: v_dual_fmac_f32 v9, v5, v16
	v_cndmask_b32_e32 v22, 0x7f800000, v28, vcc_lo
	v_cmp_nlt_f32_e32 vcc_lo, 0x42b17218, v10
	v_cvt_f16_f32_e32 v5, v16
	v_cndmask_b32_e32 v10, 0x7f800000, v29, vcc_lo
	v_cmp_nlt_f32_e32 vcc_lo, 0x42b17218, v27
	s_delay_alu instid0(VALU_DEP_3) | instskip(NEXT) | instid1(VALU_DEP_3)
	v_pk_mul_f16 v20, v20, v5 op_sel_hi:[1,0]
	v_dual_mov_b32 v5, v9 :: v_dual_fmac_f32 v10, v6, v22
	v_cndmask_b32_e32 v23, 0x7f800000, v30, vcc_lo
	v_cmp_nlt_f32_e32 vcc_lo, 0x42b17218, v11
	v_cvt_f16_f32_e32 v6, v22
	s_delay_alu instid0(VALU_DEP_3) | instskip(SKIP_1) | instid1(VALU_DEP_3)
	v_cvt_f16_f32_e32 v15, v23
	v_cndmask_b32_e32 v11, 0x7f800000, v31, vcc_lo
	v_pk_mul_f16 v19, v19, v6 op_sel_hi:[1,0]
	v_mov_b32_e32 v6, v10
	s_delay_alu instid0(VALU_DEP_4) | instskip(NEXT) | instid1(VALU_DEP_4)
	v_pk_mul_f16 v18, v18, v15 op_sel_hi:[1,0]
	v_fmac_f32_e32 v11, v7, v23
	s_delay_alu instid0(VALU_DEP_1)
	v_mov_b32_e32 v7, v11
	s_mov_b32 s3, exec_lo
	v_cmpx_gt_i32_e64 s38, v14
	s_cbranch_execnz .LBB5_26
.LBB5_24:
	s_nop 0
	s_sendmsg sendmsg(MSG_DEALLOC_VGPRS)
	s_endpgm
.LBB5_25:
	s_delay_alu instid0(VALU_DEP_1)
	v_dual_mov_b32 v11, v7 :: v_dual_mov_b32 v10, v6
	v_dual_mov_b32 v9, v5 :: v_dual_mov_b32 v8, v4
	s_mov_b32 s3, exec_lo
	v_cmpx_gt_i32_e64 s38, v14
	s_cbranch_execz .LBB5_24
.LBB5_26:
	s_load_b32 s0, s[0:1], 0xd4
	v_mov_b32_e32 v15, 1.0
	s_waitcnt lgkmcnt(0)
	s_cmp_lg_u32 s0, 1
	s_cselect_b32 s1, -1, 0
	s_cmp_eq_u32 s0, 1
	s_cselect_b32 s3, -1, 0
	s_and_b32 vcc_lo, exec_lo, s1
	s_cbranch_vccnz .LBB5_28
; %bb.27:
	v_div_scale_f32 v15, null, v4, v4, 1.0
	s_delay_alu instid0(VALU_DEP_1) | instskip(SKIP_2) | instid1(VALU_DEP_1)
	v_rcp_f32_e32 v16, v15
	s_waitcnt_depctr 0xfff
	v_fma_f32 v22, -v15, v16, 1.0
	v_fmac_f32_e32 v16, v22, v16
	v_div_scale_f32 v22, vcc_lo, 1.0, v4, 1.0
	s_delay_alu instid0(VALU_DEP_1) | instskip(NEXT) | instid1(VALU_DEP_1)
	v_mul_f32_e32 v23, v22, v16
	v_fma_f32 v24, -v15, v23, v22
	s_delay_alu instid0(VALU_DEP_1) | instskip(NEXT) | instid1(VALU_DEP_1)
	v_fmac_f32_e32 v23, v24, v16
	v_fma_f32 v15, -v15, v23, v22
	s_delay_alu instid0(VALU_DEP_1) | instskip(NEXT) | instid1(VALU_DEP_1)
	v_div_fmas_f32 v15, v15, v16, v23
	v_div_fixup_f32 v15, v15, v4, 1.0
.LBB5_28:
	s_delay_alu instid0(VALU_DEP_1) | instskip(NEXT) | instid1(VALU_DEP_1)
	v_mad_u64_u32 v[22:23], null, s33, s38, v[14:15]
	v_mul_lo_u32 v4, v22, s39
	s_delay_alu instid0(VALU_DEP_1) | instskip(NEXT) | instid1(VALU_DEP_1)
	v_add3_u32 v4, s15, v17, v4
	v_mul_lo_u32 v4, s0, v4
	s_delay_alu instid0(VALU_DEP_1)
	v_add_nc_u32_e32 v14, s14, v4
	s_and_saveexec_b32 s4, s2
	s_cbranch_execz .LBB5_30
; %bb.29:
	v_lshrrev_b32_e32 v22, 16, v21
	s_delay_alu instid0(VALU_DEP_2) | instskip(SKIP_1) | instid1(VALU_DEP_3)
	v_mad_u64_u32 v[16:17], null, v14, 40, v[12:13]
	v_cvt_f32_f16_e32 v21, v21
	v_cvt_f32_f16_e32 v22, v22
	v_mov_b32_e32 v17, 0
	s_delay_alu instid0(VALU_DEP_3) | instskip(NEXT) | instid1(VALU_DEP_3)
	v_mul_f32_e32 v21, v15, v21
	v_mul_f32_e32 v22, v15, v22
	s_delay_alu instid0(VALU_DEP_3) | instskip(NEXT) | instid1(VALU_DEP_1)
	v_lshlrev_b64 v[16:17], 2, v[16:17]
	v_add_co_u32 v15, vcc_lo, s28, v16
	s_delay_alu instid0(VALU_DEP_2)
	v_add_co_ci_u32_e32 v16, vcc_lo, s29, v17, vcc_lo
	global_store_b64 v[15:16], v[21:22], off
.LBB5_30:
	s_or_b32 exec_lo, exec_lo, s4
	v_cmp_eq_u32_e32 vcc_lo, 0, v13
	s_and_b32 s1, vcc_lo, s1
	s_delay_alu instid0(SALU_CYCLE_1)
	s_and_saveexec_b32 s4, s1
	s_cbranch_execz .LBB5_32
; %bb.31:
	v_ashrrev_i32_e32 v15, 31, v14
	v_mov_b32_e32 v16, v8
	s_delay_alu instid0(VALU_DEP_2) | instskip(SKIP_1) | instid1(VALU_DEP_2)
	v_lshlrev_b64 v[13:14], 3, v[14:15]
	v_mov_b32_e32 v15, v0
	v_add_co_u32 v13, vcc_lo, s30, v13
	s_delay_alu instid0(VALU_DEP_3)
	v_add_co_ci_u32_e32 v14, vcc_lo, s31, v14, vcc_lo
	global_store_b64 v[13:14], v[15:16], off
.LBB5_32:
	s_or_b32 exec_lo, exec_lo, s4
	v_cndmask_b32_e64 v13, 0, 1, s3
	v_mov_b32_e32 v8, 1.0
	s_and_not1_b32 vcc_lo, exec_lo, s3
	s_cbranch_vccz .LBB5_43
; %bb.33:
	v_add_nc_u32_e32 v0, s0, v4
	s_delay_alu instid0(VALU_DEP_1)
	v_add_nc_u32_e32 v4, s14, v0
	s_and_saveexec_b32 s3, s2
	s_cbranch_execnz .LBB5_44
.LBB5_34:
	s_or_b32 exec_lo, exec_lo, s3
	s_and_saveexec_b32 s3, s1
	s_cbranch_execz .LBB5_36
.LBB5_35:
	v_ashrrev_i32_e32 v5, 31, v4
	v_mov_b32_e32 v8, v1
	s_delay_alu instid0(VALU_DEP_2) | instskip(NEXT) | instid1(VALU_DEP_1)
	v_lshlrev_b64 v[4:5], 3, v[4:5]
	v_add_co_u32 v4, vcc_lo, s30, v4
	s_delay_alu instid0(VALU_DEP_2)
	v_add_co_ci_u32_e32 v5, vcc_lo, s31, v5, vcc_lo
	global_store_b64 v[4:5], v[8:9], off
.LBB5_36:
	s_or_b32 exec_lo, exec_lo, s3
	v_cmp_ne_u32_e32 vcc_lo, 1, v13
	v_mov_b32_e32 v1, 1.0
	s_cbranch_vccz .LBB5_45
; %bb.37:
	v_add_nc_u32_e32 v4, s0, v0
	s_delay_alu instid0(VALU_DEP_1)
	v_add_nc_u32_e32 v0, s14, v4
	s_and_saveexec_b32 s3, s2
	s_cbranch_execnz .LBB5_46
.LBB5_38:
	s_or_b32 exec_lo, exec_lo, s3
	s_and_saveexec_b32 s3, s1
	s_cbranch_execz .LBB5_40
.LBB5_39:
	v_ashrrev_i32_e32 v1, 31, v0
	v_mov_b32_e32 v9, v2
	s_delay_alu instid0(VALU_DEP_2) | instskip(NEXT) | instid1(VALU_DEP_1)
	v_lshlrev_b64 v[0:1], 3, v[0:1]
	v_add_co_u32 v0, vcc_lo, s30, v0
	s_delay_alu instid0(VALU_DEP_2)
	v_add_co_ci_u32_e32 v1, vcc_lo, s31, v1, vcc_lo
	global_store_b64 v[0:1], v[9:10], off
.LBB5_40:
	s_or_b32 exec_lo, exec_lo, s3
	v_cmp_ne_u32_e32 vcc_lo, 1, v13
	v_mov_b32_e32 v1, 1.0
	s_cbranch_vccz .LBB5_47
; %bb.41:
	v_add3_u32 v0, s14, s0, v4
	s_and_saveexec_b32 s0, s2
	s_cbranch_execnz .LBB5_48
.LBB5_42:
	s_or_b32 exec_lo, exec_lo, s0
	s_delay_alu instid0(SALU_CYCLE_1)
	s_and_b32 exec_lo, exec_lo, s1
	s_cbranch_execz .LBB5_24
	s_branch .LBB5_49
.LBB5_43:
	v_div_scale_f32 v0, null, v5, v5, 1.0
	s_delay_alu instid0(VALU_DEP_1) | instskip(SKIP_2) | instid1(VALU_DEP_1)
	v_rcp_f32_e32 v8, v0
	s_waitcnt_depctr 0xfff
	v_fma_f32 v14, -v0, v8, 1.0
	v_fmac_f32_e32 v8, v14, v8
	v_div_scale_f32 v14, vcc_lo, 1.0, v5, 1.0
	s_delay_alu instid0(VALU_DEP_1) | instskip(NEXT) | instid1(VALU_DEP_1)
	v_mul_f32_e32 v15, v14, v8
	v_fma_f32 v16, -v0, v15, v14
	s_delay_alu instid0(VALU_DEP_1) | instskip(NEXT) | instid1(VALU_DEP_1)
	v_fmac_f32_e32 v15, v16, v8
	v_fma_f32 v0, -v0, v15, v14
	s_delay_alu instid0(VALU_DEP_1) | instskip(NEXT) | instid1(VALU_DEP_1)
	v_div_fmas_f32 v0, v0, v8, v15
	v_div_fixup_f32 v8, v0, v5, 1.0
	v_add_nc_u32_e32 v0, s0, v4
	s_delay_alu instid0(VALU_DEP_1)
	v_add_nc_u32_e32 v4, s14, v0
	s_and_saveexec_b32 s3, s2
	s_cbranch_execz .LBB5_34
.LBB5_44:
	s_delay_alu instid0(VALU_DEP_1) | instskip(SKIP_3) | instid1(VALU_DEP_3)
	v_mad_u64_u32 v[14:15], null, v4, 40, v[12:13]
	v_cvt_f32_f16_e32 v16, v20
	v_mov_b32_e32 v15, 0
	v_lshrrev_b32_e32 v5, 16, v20
	v_mul_f32_e32 v16, v8, v16
	s_delay_alu instid0(VALU_DEP_3) | instskip(NEXT) | instid1(VALU_DEP_3)
	v_lshlrev_b64 v[14:15], 2, v[14:15]
	v_cvt_f32_f16_e32 v5, v5
	s_delay_alu instid0(VALU_DEP_1) | instskip(NEXT) | instid1(VALU_DEP_3)
	v_mul_f32_e32 v17, v8, v5
	v_add_co_u32 v14, vcc_lo, s28, v14
	s_delay_alu instid0(VALU_DEP_4)
	v_add_co_ci_u32_e32 v15, vcc_lo, s29, v15, vcc_lo
	global_store_b64 v[14:15], v[16:17], off
	s_or_b32 exec_lo, exec_lo, s3
	s_and_saveexec_b32 s3, s1
	s_cbranch_execnz .LBB5_35
	s_branch .LBB5_36
.LBB5_45:
	v_div_scale_f32 v1, null, v6, v6, 1.0
	s_delay_alu instid0(VALU_DEP_1) | instskip(SKIP_2) | instid1(VALU_DEP_1)
	v_rcp_f32_e32 v4, v1
	s_waitcnt_depctr 0xfff
	v_fma_f32 v5, -v1, v4, 1.0
	v_fmac_f32_e32 v4, v5, v4
	v_div_scale_f32 v5, vcc_lo, 1.0, v6, 1.0
	s_delay_alu instid0(VALU_DEP_1) | instskip(NEXT) | instid1(VALU_DEP_1)
	v_mul_f32_e32 v8, v5, v4
	v_fma_f32 v9, -v1, v8, v5
	s_delay_alu instid0(VALU_DEP_1) | instskip(NEXT) | instid1(VALU_DEP_1)
	v_fmac_f32_e32 v8, v9, v4
	v_fma_f32 v1, -v1, v8, v5
	s_delay_alu instid0(VALU_DEP_1) | instskip(NEXT) | instid1(VALU_DEP_1)
	v_div_fmas_f32 v1, v1, v4, v8
	v_div_fixup_f32 v1, v1, v6, 1.0
	v_add_nc_u32_e32 v4, s0, v0
	s_delay_alu instid0(VALU_DEP_1)
	v_add_nc_u32_e32 v0, s14, v4
	s_and_saveexec_b32 s3, s2
	s_cbranch_execz .LBB5_38
.LBB5_46:
	v_lshrrev_b32_e32 v8, 16, v19
	s_delay_alu instid0(VALU_DEP_2) | instskip(SKIP_1) | instid1(VALU_DEP_3)
	v_mad_u64_u32 v[5:6], null, v0, 40, v[12:13]
	v_cvt_f32_f16_e32 v9, v19
	v_cvt_f32_f16_e32 v14, v8
	v_mov_b32_e32 v6, 0
	s_delay_alu instid0(VALU_DEP_3) | instskip(NEXT) | instid1(VALU_DEP_3)
	v_mul_f32_e32 v8, v1, v9
	v_mul_f32_e32 v9, v1, v14
	s_delay_alu instid0(VALU_DEP_3) | instskip(NEXT) | instid1(VALU_DEP_1)
	v_lshlrev_b64 v[5:6], 2, v[5:6]
	v_add_co_u32 v5, vcc_lo, s28, v5
	s_delay_alu instid0(VALU_DEP_2)
	v_add_co_ci_u32_e32 v6, vcc_lo, s29, v6, vcc_lo
	global_store_b64 v[5:6], v[8:9], off
	s_or_b32 exec_lo, exec_lo, s3
	s_and_saveexec_b32 s3, s1
	s_cbranch_execnz .LBB5_39
	s_branch .LBB5_40
.LBB5_47:
	v_div_scale_f32 v0, null, v7, v7, 1.0
	s_delay_alu instid0(VALU_DEP_1) | instskip(SKIP_2) | instid1(VALU_DEP_1)
	v_rcp_f32_e32 v1, v0
	s_waitcnt_depctr 0xfff
	v_fma_f32 v2, -v0, v1, 1.0
	v_fmac_f32_e32 v1, v2, v1
	v_div_scale_f32 v2, vcc_lo, 1.0, v7, 1.0
	s_delay_alu instid0(VALU_DEP_1) | instskip(NEXT) | instid1(VALU_DEP_1)
	v_mul_f32_e32 v5, v2, v1
	v_fma_f32 v6, -v0, v5, v2
	s_delay_alu instid0(VALU_DEP_1) | instskip(NEXT) | instid1(VALU_DEP_1)
	v_fmac_f32_e32 v5, v6, v1
	v_fma_f32 v0, -v0, v5, v2
	s_delay_alu instid0(VALU_DEP_1) | instskip(NEXT) | instid1(VALU_DEP_1)
	v_div_fmas_f32 v0, v0, v1, v5
	v_div_fixup_f32 v1, v0, v7, 1.0
	v_add3_u32 v0, s14, s0, v4
	s_and_saveexec_b32 s0, s2
	s_cbranch_execz .LBB5_42
.LBB5_48:
	s_delay_alu instid0(VALU_DEP_1) | instskip(SKIP_3) | instid1(VALU_DEP_3)
	v_mad_u64_u32 v[4:5], null, v0, 40, v[12:13]
	v_cvt_f32_f16_e32 v6, v18
	v_mov_b32_e32 v5, 0
	v_lshrrev_b32_e32 v2, 16, v18
	v_mul_f32_e32 v6, v1, v6
	s_delay_alu instid0(VALU_DEP_3) | instskip(NEXT) | instid1(VALU_DEP_3)
	v_lshlrev_b64 v[4:5], 2, v[4:5]
	v_cvt_f32_f16_e32 v2, v2
	s_delay_alu instid0(VALU_DEP_1) | instskip(NEXT) | instid1(VALU_DEP_3)
	v_mul_f32_e32 v7, v1, v2
	v_add_co_u32 v1, vcc_lo, s28, v4
	s_delay_alu instid0(VALU_DEP_4) | instskip(SKIP_2) | instid1(SALU_CYCLE_1)
	v_add_co_ci_u32_e32 v2, vcc_lo, s29, v5, vcc_lo
	global_store_b64 v[1:2], v[6:7], off
	s_or_b32 exec_lo, exec_lo, s0
	s_and_b32 exec_lo, exec_lo, s1
	s_cbranch_execz .LBB5_24
.LBB5_49:
	v_ashrrev_i32_e32 v1, 31, v0
	v_mov_b32_e32 v10, v3
	s_delay_alu instid0(VALU_DEP_2) | instskip(NEXT) | instid1(VALU_DEP_1)
	v_lshlrev_b64 v[0:1], 3, v[0:1]
	v_add_co_u32 v0, vcc_lo, s30, v0
	s_delay_alu instid0(VALU_DEP_2)
	v_add_co_ci_u32_e32 v1, vcc_lo, s31, v1, vcc_lo
	global_store_b64 v[0:1], v[10:11], off
	s_nop 0
	s_sendmsg sendmsg(MSG_DEALLOC_VGPRS)
	s_endpgm
	.section	.rodata,"a",@progbits
	.p2align	6, 0x0
	.amdhsa_kernel _ZL15flash_attn_tileILi40ELi40ELi4ELi8ELb0EEvPKcS1_S1_S1_S1_PKiPfP15HIP_vector_typeIfLj2EEffffjfiS5_IjLj3EEiiiiiiiiiiiliiliiiiil
		.amdhsa_group_segment_fixed_size 7776
		.amdhsa_private_segment_fixed_size 0
		.amdhsa_kernarg_size 464
		.amdhsa_user_sgpr_count 13
		.amdhsa_user_sgpr_dispatch_ptr 0
		.amdhsa_user_sgpr_queue_ptr 0
		.amdhsa_user_sgpr_kernarg_segment_ptr 1
		.amdhsa_user_sgpr_dispatch_id 0
		.amdhsa_user_sgpr_private_segment_size 0
		.amdhsa_wavefront_size32 1
		.amdhsa_uses_dynamic_stack 0
		.amdhsa_enable_private_segment 0
		.amdhsa_system_sgpr_workgroup_id_x 1
		.amdhsa_system_sgpr_workgroup_id_y 1
		.amdhsa_system_sgpr_workgroup_id_z 1
		.amdhsa_system_sgpr_workgroup_info 0
		.amdhsa_system_vgpr_workitem_id 1
		.amdhsa_next_free_vgpr 70
		.amdhsa_next_free_sgpr 42
		.amdhsa_reserve_vcc 1
		.amdhsa_float_round_mode_32 0
		.amdhsa_float_round_mode_16_64 0
		.amdhsa_float_denorm_mode_32 3
		.amdhsa_float_denorm_mode_16_64 3
		.amdhsa_dx10_clamp 1
		.amdhsa_ieee_mode 1
		.amdhsa_fp16_overflow 0
		.amdhsa_workgroup_processor_mode 1
		.amdhsa_memory_ordered 1
		.amdhsa_forward_progress 0
		.amdhsa_shared_vgpr_count 0
		.amdhsa_exception_fp_ieee_invalid_op 0
		.amdhsa_exception_fp_denorm_src 0
		.amdhsa_exception_fp_ieee_div_zero 0
		.amdhsa_exception_fp_ieee_overflow 0
		.amdhsa_exception_fp_ieee_underflow 0
		.amdhsa_exception_fp_ieee_inexact 0
		.amdhsa_exception_int_div_zero 0
	.end_amdhsa_kernel
	.section	.text._ZL15flash_attn_tileILi40ELi40ELi4ELi8ELb0EEvPKcS1_S1_S1_S1_PKiPfP15HIP_vector_typeIfLj2EEffffjfiS5_IjLj3EEiiiiiiiiiiiliiliiiiil,"axG",@progbits,_ZL15flash_attn_tileILi40ELi40ELi4ELi8ELb0EEvPKcS1_S1_S1_S1_PKiPfP15HIP_vector_typeIfLj2EEffffjfiS5_IjLj3EEiiiiiiiiiiiliiliiiiil,comdat
.Lfunc_end5:
	.size	_ZL15flash_attn_tileILi40ELi40ELi4ELi8ELb0EEvPKcS1_S1_S1_S1_PKiPfP15HIP_vector_typeIfLj2EEffffjfiS5_IjLj3EEiiiiiiiiiiiliiliiiiil, .Lfunc_end5-_ZL15flash_attn_tileILi40ELi40ELi4ELi8ELb0EEvPKcS1_S1_S1_S1_PKiPfP15HIP_vector_typeIfLj2EEffffjfiS5_IjLj3EEiiiiiiiiiiiliiliiiiil
                                        ; -- End function
	.section	.AMDGPU.csdata,"",@progbits
; Kernel info:
; codeLenInByte = 10036
; NumSgprs: 44
; NumVgprs: 70
; ScratchSize: 0
; MemoryBound: 0
; FloatMode: 240
; IeeeMode: 1
; LDSByteSize: 7776 bytes/workgroup (compile time only)
; SGPRBlocks: 5
; VGPRBlocks: 8
; NumSGPRsForWavesPerEU: 44
; NumVGPRsForWavesPerEU: 70
; Occupancy: 16
; WaveLimiterHint : 1
; COMPUTE_PGM_RSRC2:SCRATCH_EN: 0
; COMPUTE_PGM_RSRC2:USER_SGPR: 13
; COMPUTE_PGM_RSRC2:TRAP_HANDLER: 0
; COMPUTE_PGM_RSRC2:TGID_X_EN: 1
; COMPUTE_PGM_RSRC2:TGID_Y_EN: 1
; COMPUTE_PGM_RSRC2:TGID_Z_EN: 1
; COMPUTE_PGM_RSRC2:TIDIG_COMP_CNT: 1
	.section	.text._ZL25flash_attn_mask_to_KV_maxILi4EEvPK7__half2Piiii,"axG",@progbits,_ZL25flash_attn_mask_to_KV_maxILi4EEvPK7__half2Piiii,comdat
	.globl	_ZL25flash_attn_mask_to_KV_maxILi4EEvPK7__half2Piiii ; -- Begin function _ZL25flash_attn_mask_to_KV_maxILi4EEvPK7__half2Piiii
	.p2align	8
	.type	_ZL25flash_attn_mask_to_KV_maxILi4EEvPK7__half2Piiii,@function
_ZL25flash_attn_mask_to_KV_maxILi4EEvPK7__half2Piiii: ; @_ZL25flash_attn_mask_to_KV_maxILi4EEvPK7__half2Piiii
; %bb.0:
	s_load_b128 s[4:7], s[0:1], 0x0
	s_mov_b32 s2, exec_lo
	v_cmpx_gt_u32_e32 32, v0
	s_cbranch_execz .LBB6_2
; %bb.1:
	v_dual_mov_b32 v2, 1 :: v_dual_lshlrev_b32 v1, 2, v0
	ds_store_b32 v1, v2
.LBB6_2:
	s_or_b32 exec_lo, exec_lo, s2
	s_clause 0x1
	s_load_b128 s[8:11], s[0:1], 0x10
	s_load_b32 s1, s[0:1], 0x20
	v_dual_mov_b32 v2, 0 :: v_dual_and_b32 v1, 31, v0
	v_lshrrev_b32_e32 v5, 3, v0
	s_waitcnt lgkmcnt(0)
	s_barrier
	s_delay_alu instid0(VALU_DEP_2) | instskip(SKIP_4) | instid1(SALU_CYCLE_1)
	v_lshlrev_b32_e32 v6, 2, v1
	buffer_gl0_inv
	s_mul_i32 s0, s14, s9
	s_mul_i32 s2, s15, s10
	s_lshl_b32 s0, s0, 2
	s_add_i32 s2, s2, s0
	v_cmp_eq_u32_e64 s0, 0, v1
	s_ashr_i32 s3, s2, 31
	s_delay_alu instid0(SALU_CYCLE_1) | instskip(NEXT) | instid1(SALU_CYCLE_1)
	s_lshl_b64 s[10:11], s[2:3], 2
	s_add_u32 s3, s4, s10
	s_addc_u32 s4, s5, s11
	s_lshl_b32 s5, s8, 8
	s_branch .LBB6_4
.LBB6_3:                                ;   in Loop: Header=BB6_4 Depth=1
	s_or_b32 exec_lo, exec_lo, s10
	s_waitcnt lgkmcnt(0)
	s_barrier
	buffer_gl0_inv
	ds_load_b32 v1, v6
	s_waitcnt lgkmcnt(0)
	s_barrier
	buffer_gl0_inv
	;;#ASMSTART
	;;#ASMEND
	v_cmp_ne_u32_e32 vcc_lo, 0, v1
	s_cmp_lg_u32 vcc_lo, exec_lo
	s_cselect_b32 s8, -1, 0
	s_delay_alu instid0(SALU_CYCLE_1)
	s_and_b32 vcc_lo, exec_lo, s8
	s_cbranch_vccnz .LBB6_20
.LBB6_4:                                ; =>This Inner Loop Header: Depth=1
	s_mov_b32 s2, s5
	s_addk_i32 s5, 0xff00
	s_delay_alu instid0(SALU_CYCLE_1)
	s_cmp_lt_i32 s5, 0
	s_cbranch_scc1 .LBB6_19
; %bb.5:                                ;   in Loop: Header=BB6_4 Depth=1
	s_lshr_b32 s8, s5, 1
	s_mov_b32 s10, 0
	v_add_nc_u32_e32 v1, s8, v0
	s_delay_alu instid0(VALU_DEP_1) | instskip(NEXT) | instid1(VALU_DEP_1)
	v_lshlrev_b64 v[3:4], 2, v[1:2]
	v_add_co_u32 v3, vcc_lo, s3, v3
	s_delay_alu instid0(VALU_DEP_2) | instskip(SKIP_4) | instid1(VALU_DEP_2)
	v_add_co_ci_u32_e32 v4, vcc_lo, s4, v4, vcc_lo
	global_load_b32 v3, v[3:4], off
	s_waitcnt vmcnt(0)
	v_lshrrev_b32_e32 v4, 16, v3
	v_cmp_class_f16_e64 s8, v3, 0x204
	v_and_b32_e32 v4, 0x7fff, v4
	s_delay_alu instid0(VALU_DEP_1) | instskip(NEXT) | instid1(VALU_DEP_3)
	v_cmp_eq_f16_e32 vcc_lo, 0x7c00, v4
	s_and_b32 s11, s8, vcc_lo
	s_delay_alu instid0(SALU_CYCLE_1)
	s_and_saveexec_b32 s8, s11
	s_cbranch_execz .LBB6_17
; %bb.6:                                ;   in Loop: Header=BB6_4 Depth=1
	v_add_nc_u32_e32 v3, s9, v1
	s_mov_b32 s11, 0
	s_delay_alu instid0(VALU_DEP_1) | instskip(NEXT) | instid1(VALU_DEP_1)
	v_ashrrev_i32_e32 v4, 31, v3
	v_lshlrev_b64 v[7:8], 2, v[3:4]
	s_delay_alu instid0(VALU_DEP_1) | instskip(NEXT) | instid1(VALU_DEP_2)
	v_add_co_u32 v7, vcc_lo, s3, v7
	v_add_co_ci_u32_e32 v8, vcc_lo, s4, v8, vcc_lo
	global_load_b32 v1, v[7:8], off
	s_waitcnt vmcnt(0)
	v_cmp_class_f16_e64 s12, v1, 0x204
	s_delay_alu instid0(VALU_DEP_1)
	s_and_saveexec_b32 s10, s12
	s_cbranch_execz .LBB6_16
; %bb.7:                                ;   in Loop: Header=BB6_4 Depth=1
	v_lshrrev_b32_e32 v1, 16, v1
	s_mov_b32 s12, 0
	s_delay_alu instid0(VALU_DEP_1) | instskip(NEXT) | instid1(VALU_DEP_1)
	v_cmp_class_f16_e64 s13, v1, 0x204
	s_and_saveexec_b32 s11, s13
	s_cbranch_execz .LBB6_15
; %bb.8:                                ;   in Loop: Header=BB6_4 Depth=1
	v_add_nc_u32_e32 v3, s9, v3
	s_mov_b32 s13, 0
	s_delay_alu instid0(VALU_DEP_1) | instskip(NEXT) | instid1(VALU_DEP_1)
	v_ashrrev_i32_e32 v4, 31, v3
	v_lshlrev_b64 v[7:8], 2, v[3:4]
	s_delay_alu instid0(VALU_DEP_1) | instskip(NEXT) | instid1(VALU_DEP_2)
	v_add_co_u32 v7, vcc_lo, s3, v7
	v_add_co_ci_u32_e32 v8, vcc_lo, s4, v8, vcc_lo
	global_load_b32 v1, v[7:8], off
	s_waitcnt vmcnt(0)
	v_cmp_class_f16_e64 s16, v1, 0x204
	s_delay_alu instid0(VALU_DEP_1)
	s_and_saveexec_b32 s12, s16
	s_cbranch_execz .LBB6_14
; %bb.9:                                ;   in Loop: Header=BB6_4 Depth=1
	v_lshrrev_b32_e32 v1, 16, v1
	s_mov_b32 s16, 0
	s_delay_alu instid0(VALU_DEP_1) | instskip(NEXT) | instid1(VALU_DEP_1)
	v_cmp_class_f16_e64 s17, v1, 0x204
	s_and_saveexec_b32 s13, s17
	s_cbranch_execz .LBB6_13
; %bb.10:                               ;   in Loop: Header=BB6_4 Depth=1
	v_add_nc_u32_e32 v3, s9, v3
	s_delay_alu instid0(VALU_DEP_1) | instskip(NEXT) | instid1(VALU_DEP_1)
	v_ashrrev_i32_e32 v4, 31, v3
	v_lshlrev_b64 v[3:4], 2, v[3:4]
	s_delay_alu instid0(VALU_DEP_1) | instskip(NEXT) | instid1(VALU_DEP_2)
	v_add_co_u32 v3, vcc_lo, s3, v3
	v_add_co_ci_u32_e32 v4, vcc_lo, s4, v4, vcc_lo
	global_load_b32 v1, v[3:4], off
	s_waitcnt vmcnt(0)
	v_cmp_class_f16_e64 s18, v1, 0x204
	s_delay_alu instid0(VALU_DEP_1)
	s_and_saveexec_b32 s17, s18
; %bb.11:                               ;   in Loop: Header=BB6_4 Depth=1
	v_lshrrev_b32_e32 v1, 16, v1
	s_delay_alu instid0(VALU_DEP_1) | instskip(NEXT) | instid1(VALU_DEP_1)
	v_cmp_class_f16_e64 s16, v1, 0x204
	s_and_b32 s16, s16, exec_lo
; %bb.12:                               ;   in Loop: Header=BB6_4 Depth=1
	s_or_b32 exec_lo, exec_lo, s17
	s_delay_alu instid0(SALU_CYCLE_1)
	s_and_b32 s16, s16, exec_lo
.LBB6_13:                               ;   in Loop: Header=BB6_4 Depth=1
	s_or_b32 exec_lo, exec_lo, s13
	s_delay_alu instid0(SALU_CYCLE_1)
	s_and_b32 s13, s16, exec_lo
.LBB6_14:                               ;   in Loop: Header=BB6_4 Depth=1
	s_or_b32 exec_lo, exec_lo, s12
	s_delay_alu instid0(SALU_CYCLE_1)
	s_and_b32 s12, s13, exec_lo
.LBB6_15:                               ;   in Loop: Header=BB6_4 Depth=1
	s_or_b32 exec_lo, exec_lo, s11
	s_delay_alu instid0(SALU_CYCLE_1)
	s_and_b32 s11, s12, exec_lo
.LBB6_16:                               ;   in Loop: Header=BB6_4 Depth=1
	s_or_b32 exec_lo, exec_lo, s10
	s_delay_alu instid0(SALU_CYCLE_1)
	s_and_b32 s10, s11, exec_lo
.LBB6_17:                               ;   in Loop: Header=BB6_4 Depth=1
	s_or_b32 exec_lo, exec_lo, s8
	v_cndmask_b32_e64 v1, 0, 1, s10
	;;#ASMSTART
	;;#ASMEND
	s_delay_alu instid0(VALU_DEP_1)
	v_cmp_ne_u32_e32 vcc_lo, 0, v1
	s_mov_b32 s8, exec_lo
	s_and_saveexec_b32 s10, s0
	s_cbranch_execz .LBB6_3
; %bb.18:                               ;   in Loop: Header=BB6_4 Depth=1
	s_cmp_eq_u32 vcc_lo, s8
	s_cselect_b32 s8, -1, 0
	s_delay_alu instid0(SALU_CYCLE_1)
	v_cndmask_b32_e64 v1, 0, 1, s8
	ds_store_b32 v5, v1
	s_branch .LBB6_3
.LBB6_19:                               ;   in Loop: Header=BB6_4 Depth=1
                                        ; implicit-def: $sgpr5
	s_cbranch_execz .LBB6_4
.LBB6_20:
	s_mov_b32 s0, exec_lo
	v_cmpx_eq_u32_e32 0, v0
	s_cbranch_execz .LBB6_22
; %bb.21:
	s_mul_i32 s0, s1, s15
	v_dual_mov_b32 v0, 0 :: v_dual_mov_b32 v1, s2
	s_add_i32 s0, s0, s14
	s_delay_alu instid0(SALU_CYCLE_1) | instskip(NEXT) | instid1(SALU_CYCLE_1)
	s_ashr_i32 s1, s0, 31
	s_lshl_b64 s[0:1], s[0:1], 2
	s_delay_alu instid0(SALU_CYCLE_1)
	s_add_u32 s0, s6, s0
	s_addc_u32 s1, s7, s1
	global_store_b32 v0, v1, s[0:1]
.LBB6_22:
	s_nop 0
	s_sendmsg sendmsg(MSG_DEALLOC_VGPRS)
	s_endpgm
	.section	.rodata,"a",@progbits
	.p2align	6, 0x0
	.amdhsa_kernel _ZL25flash_attn_mask_to_KV_maxILi4EEvPK7__half2Piiii
		.amdhsa_group_segment_fixed_size 128
		.amdhsa_private_segment_fixed_size 0
		.amdhsa_kernarg_size 288
		.amdhsa_user_sgpr_count 14
		.amdhsa_user_sgpr_dispatch_ptr 0
		.amdhsa_user_sgpr_queue_ptr 0
		.amdhsa_user_sgpr_kernarg_segment_ptr 1
		.amdhsa_user_sgpr_dispatch_id 0
		.amdhsa_user_sgpr_private_segment_size 0
		.amdhsa_wavefront_size32 1
		.amdhsa_uses_dynamic_stack 0
		.amdhsa_enable_private_segment 0
		.amdhsa_system_sgpr_workgroup_id_x 1
		.amdhsa_system_sgpr_workgroup_id_y 1
		.amdhsa_system_sgpr_workgroup_id_z 0
		.amdhsa_system_sgpr_workgroup_info 0
		.amdhsa_system_vgpr_workitem_id 0
		.amdhsa_next_free_vgpr 9
		.amdhsa_next_free_sgpr 19
		.amdhsa_reserve_vcc 1
		.amdhsa_float_round_mode_32 0
		.amdhsa_float_round_mode_16_64 0
		.amdhsa_float_denorm_mode_32 3
		.amdhsa_float_denorm_mode_16_64 3
		.amdhsa_dx10_clamp 1
		.amdhsa_ieee_mode 1
		.amdhsa_fp16_overflow 0
		.amdhsa_workgroup_processor_mode 1
		.amdhsa_memory_ordered 1
		.amdhsa_forward_progress 0
		.amdhsa_shared_vgpr_count 0
		.amdhsa_exception_fp_ieee_invalid_op 0
		.amdhsa_exception_fp_denorm_src 0
		.amdhsa_exception_fp_ieee_div_zero 0
		.amdhsa_exception_fp_ieee_overflow 0
		.amdhsa_exception_fp_ieee_underflow 0
		.amdhsa_exception_fp_ieee_inexact 0
		.amdhsa_exception_int_div_zero 0
	.end_amdhsa_kernel
	.section	.text._ZL25flash_attn_mask_to_KV_maxILi4EEvPK7__half2Piiii,"axG",@progbits,_ZL25flash_attn_mask_to_KV_maxILi4EEvPK7__half2Piiii,comdat
.Lfunc_end6:
	.size	_ZL25flash_attn_mask_to_KV_maxILi4EEvPK7__half2Piiii, .Lfunc_end6-_ZL25flash_attn_mask_to_KV_maxILi4EEvPK7__half2Piiii
                                        ; -- End function
	.section	.AMDGPU.csdata,"",@progbits
; Kernel info:
; codeLenInByte = 848
; NumSgprs: 21
; NumVgprs: 9
; ScratchSize: 0
; MemoryBound: 0
; FloatMode: 240
; IeeeMode: 1
; LDSByteSize: 128 bytes/workgroup (compile time only)
; SGPRBlocks: 2
; VGPRBlocks: 1
; NumSGPRsForWavesPerEU: 21
; NumVGPRsForWavesPerEU: 9
; Occupancy: 16
; WaveLimiterHint : 0
; COMPUTE_PGM_RSRC2:SCRATCH_EN: 0
; COMPUTE_PGM_RSRC2:USER_SGPR: 14
; COMPUTE_PGM_RSRC2:TRAP_HANDLER: 0
; COMPUTE_PGM_RSRC2:TGID_X_EN: 1
; COMPUTE_PGM_RSRC2:TGID_Y_EN: 1
; COMPUTE_PGM_RSRC2:TGID_Z_EN: 0
; COMPUTE_PGM_RSRC2:TIDIG_COMP_CNT: 0
	.section	.text._ZL33flash_attn_stream_k_fixup_uniformILi40ELi4ELi8EEvPfPK15HIP_vector_typeIfLj2EEiiiiiiS1_IjLj3EES5_S5_,"axG",@progbits,_ZL33flash_attn_stream_k_fixup_uniformILi40ELi4ELi8EEvPfPK15HIP_vector_typeIfLj2EEiiiiiiS1_IjLj3EES5_S5_,comdat
	.globl	_ZL33flash_attn_stream_k_fixup_uniformILi40ELi4ELi8EEvPfPK15HIP_vector_typeIfLj2EEiiiiiiS1_IjLj3EES5_S5_ ; -- Begin function _ZL33flash_attn_stream_k_fixup_uniformILi40ELi4ELi8EEvPfPK15HIP_vector_typeIfLj2EEiiiiiiS1_IjLj3EES5_S5_
	.p2align	8
	.type	_ZL33flash_attn_stream_k_fixup_uniformILi40ELi4ELi8EEvPfPK15HIP_vector_typeIfLj2EEiiiiiiS1_IjLj3EES5_S5_,@function
_ZL33flash_attn_stream_k_fixup_uniformILi40ELi4ELi8EEvPfPK15HIP_vector_typeIfLj2EEiiiiiiS1_IjLj3EES5_S5_: ; @_ZL33flash_attn_stream_k_fixup_uniformILi40ELi4ELi8EEvPfPK15HIP_vector_typeIfLj2EEiiiiiiS1_IjLj3EES5_S5_
; %bb.0:
	s_clause 0x1
	s_load_b256 s[4:11], s[0:1], 0x1c
	s_load_b128 s[16:19], s[0:1], 0x3c
	s_waitcnt lgkmcnt(0)
	s_mul_hi_u32 s2, s7, s13
	s_delay_alu instid0(SALU_CYCLE_1) | instskip(NEXT) | instid1(SALU_CYCLE_1)
	s_add_i32 s2, s13, s2
	s_lshr_b32 s2, s2, s8
	s_delay_alu instid0(SALU_CYCLE_1) | instskip(SKIP_2) | instid1(SALU_CYCLE_1)
	s_mul_i32 s3, s2, s9
	s_load_b64 s[8:9], s[0:1], 0x10
	s_sub_i32 s3, s13, s3
	s_mul_hi_u32 s7, s3, s10
	s_delay_alu instid0(SALU_CYCLE_1) | instskip(NEXT) | instid1(SALU_CYCLE_1)
	s_add_i32 s7, s3, s7
	s_lshr_b32 s7, s7, s11
	s_delay_alu instid0(SALU_CYCLE_1) | instskip(NEXT) | instid1(SALU_CYCLE_1)
	s_mul_i32 s10, s7, s16
	s_sub_i32 s3, s3, s10
	s_delay_alu instid0(SALU_CYCLE_1) | instskip(NEXT) | instid1(SALU_CYCLE_1)
	s_mul_hi_u32 s10, s3, s17
	s_add_i32 s10, s3, s10
	s_delay_alu instid0(SALU_CYCLE_1) | instskip(NEXT) | instid1(SALU_CYCLE_1)
	s_lshr_b32 s11, s10, s18
	s_mul_i32 s10, s11, s19
	s_lshl_b32 s11, s11, 3
	s_sub_i32 s10, s3, s10
	s_delay_alu instid0(SALU_CYCLE_1) | instskip(NEXT) | instid1(SALU_CYCLE_1)
	s_lshl_b32 s3, s10, 2
	s_add_i32 s3, s3, s14
	s_waitcnt lgkmcnt(0)
	s_cmp_lt_i32 s3, s8
	s_cselect_b32 s3, -1, 0
	s_add_i32 s11, s11, s15
	s_delay_alu instid0(SALU_CYCLE_1) | instskip(SKIP_1) | instid1(SALU_CYCLE_1)
	s_cmp_lt_i32 s11, s5
	s_cselect_b32 s12, -1, 0
	s_and_b32 s3, s3, s12
	s_delay_alu instid0(SALU_CYCLE_1)
	s_and_not1_b32 vcc_lo, exec_lo, s3
	s_cbranch_vccnz .LBB7_6
; %bb.1:
	s_mul_i32 s8, s2, s8
	s_mul_i32 s7, s7, s5
	s_add_i32 s8, s8, s14
	s_add_i32 s5, s11, s7
	s_mul_i32 s8, s8, s9
	s_load_b128 s[0:3], s[0:1], 0x0
	s_mul_i32 s7, s9, s10
	s_add_i32 s5, s5, s8
	s_mulk_i32 s7, 0xa0
	s_mul_i32 s5, s5, 40
	s_lshl_b32 s9, s14, 3
	v_add3_u32 v1, s5, s7, v0
	s_mul_i32 s5, s13, s6
	s_delay_alu instid0(SALU_CYCLE_1) | instskip(NEXT) | instid1(VALU_DEP_1)
	s_add_i32 s10, s5, s6
	v_ashrrev_i32_e32 v2, 31, v1
	s_delay_alu instid0(VALU_DEP_1) | instskip(SKIP_1) | instid1(VALU_DEP_1)
	v_lshlrev_b64 v[1:2], 2, v[1:2]
	s_waitcnt lgkmcnt(0)
	v_add_co_u32 v1, vcc_lo, s0, v1
	s_delay_alu instid0(VALU_DEP_2) | instskip(SKIP_4) | instid1(SALU_CYCLE_1)
	v_add_co_ci_u32_e32 v2, vcc_lo, s1, v2, vcc_lo
	s_add_i32 s0, s9, s15
	s_lshl_b32 s1, s10, 5
	global_load_b32 v5, v[1:2], off
	s_add_i32 s0, s0, s1
	s_sub_i32 s0, s0, 32
	s_delay_alu instid0(SALU_CYCLE_1) | instskip(NEXT) | instid1(SALU_CYCLE_1)
	s_ashr_i32 s1, s0, 31
	s_lshl_b64 s[0:1], s[0:1], 3
	s_delay_alu instid0(SALU_CYCLE_1)
	s_add_u32 s0, s2, s0
	s_addc_u32 s1, s3, s1
	s_add_i32 s7, s10, -2
	s_load_b32 s11, s[0:1], 0x4
	s_cmp_lt_i32 s7, s5
	s_cbranch_scc1 .LBB7_4
; %bb.2:
	s_load_b32 s12, s[0:1], 0x0
	s_lshl_b32 s16, s4, 7
	s_mulk_i32 s14, 0x140
	s_ashr_i32 s17, s16, 31
	s_waitcnt lgkmcnt(0)
	v_mov_b32_e32 v6, s11
	s_lshl_b64 s[0:1], s[16:17], 2
	s_delay_alu instid0(SALU_CYCLE_1)
	s_add_u32 s7, s2, s0
	s_addc_u32 s8, s3, s1
	s_add_i32 s13, s13, 1
	s_lshl_b32 s4, s4, 5
	s_mul_i32 s0, s6, s13
	s_mul_i32 s6, s15, 40
	s_lshl_b32 s1, s0, 5
	s_mulk_i32 s0, 0x500
	s_add_i32 s6, s6, s14
	s_add_i32 s1, s15, s1
	s_add_i32 s6, s6, s0
	s_add_i32 s0, s1, s4
	v_add3_u32 v3, s6, v0, 0xfffff600
	v_mov_b32_e32 v0, s12
	s_add_i32 s0, s0, s9
	s_add_i32 s4, s10, -1
	s_sub_i32 s0, s0, 64
.LBB7_3:                                ; =>This Inner Loop Header: Depth=1
	s_delay_alu instid0(VALU_DEP_2) | instskip(SKIP_1) | instid1(SALU_CYCLE_1)
	v_ashrrev_i32_e32 v4, 31, v3
	s_ashr_i32 s1, s0, 31
	s_lshl_b64 s[10:11], s[0:1], 3
	s_delay_alu instid0(SALU_CYCLE_1) | instskip(NEXT) | instid1(VALU_DEP_1)
	s_add_u32 s10, s2, s10
	v_lshlrev_b64 v[7:8], 2, v[3:4]
	s_addc_u32 s11, s3, s11
	s_add_i32 s4, s4, -1
	s_sub_i32 s0, s0, 32
	s_cmp_le_i32 s4, s5
	s_load_b64 s[10:11], s[10:11], 0x0
	v_add_co_u32 v7, vcc_lo, s7, v7
	v_add_co_ci_u32_e32 v8, vcc_lo, s8, v8, vcc_lo
	global_load_b32 v4, v[7:8], off
	v_max_f32_e32 v7, v0, v0
	s_waitcnt lgkmcnt(0)
	v_max_f32_e64 v8, s10, s10
	s_delay_alu instid0(VALU_DEP_1) | instskip(NEXT) | instid1(VALU_DEP_1)
	v_max_f32_e32 v7, v7, v8
	v_sub_f32_e32 v8, s10, v7
	s_delay_alu instid0(VALU_DEP_1) | instskip(NEXT) | instid1(VALU_DEP_1)
	v_dual_sub_f32 v0, v0, v7 :: v_dual_mul_f32 v9, 0x3fb8aa3b, v8
	v_fma_f32 v10, 0x3fb8aa3b, v8, -v9
	v_rndne_f32_e32 v11, v9
	s_delay_alu instid0(VALU_DEP_3) | instskip(NEXT) | instid1(VALU_DEP_2)
	v_mul_f32_e32 v12, 0x3fb8aa3b, v0
	v_dual_fmac_f32 v10, 0x32a5705f, v8 :: v_dual_sub_f32 v9, v9, v11
	v_cvt_i32_f32_e32 v11, v11
	s_delay_alu instid0(VALU_DEP_3) | instskip(SKIP_1) | instid1(VALU_DEP_4)
	v_fma_f32 v13, 0x3fb8aa3b, v0, -v12
	v_rndne_f32_e32 v14, v12
	v_add_f32_e32 v9, v9, v10
	v_cmp_ngt_f32_e32 vcc_lo, 0xc2ce8ed0, v8
	s_delay_alu instid0(VALU_DEP_3) | instskip(NEXT) | instid1(VALU_DEP_3)
	v_sub_f32_e32 v10, v12, v14
	v_exp_f32_e32 v9, v9
	s_waitcnt_depctr 0xfff
	v_ldexp_f32 v9, v9, v11
	v_cvt_i32_f32_e32 v11, v14
	s_delay_alu instid0(VALU_DEP_2) | instskip(SKIP_1) | instid1(VALU_DEP_2)
	v_cndmask_b32_e32 v9, 0, v9, vcc_lo
	v_cmp_nlt_f32_e32 vcc_lo, 0x42b17218, v8
	v_cndmask_b32_e32 v9, 0x7f800000, v9, vcc_lo
	v_cmp_ngt_f32_e32 vcc_lo, 0xc2ce8ed0, v0
	v_fmac_f32_e32 v13, 0x32a5705f, v0
	s_delay_alu instid0(VALU_DEP_1) | instskip(NEXT) | instid1(VALU_DEP_1)
	v_add_f32_e32 v10, v10, v13
	v_exp_f32_e32 v10, v10
	s_waitcnt_depctr 0xfff
	v_ldexp_f32 v10, v10, v11
	s_delay_alu instid0(VALU_DEP_1)
	v_dual_mov_b32 v11, v6 :: v_dual_cndmask_b32 v10, 0, v10
	v_cmp_le_f32_e32 vcc_lo, 0xc1a00000, v8
	s_waitcnt vmcnt(1)
	v_dual_cndmask_b32 v8, 0, v9 :: v_dual_mov_b32 v9, v5
	v_cmp_nlt_f32_e32 vcc_lo, 0x42b17218, v0
	v_cndmask_b32_e32 v5, 0x7f800000, v10, vcc_lo
	s_delay_alu instid0(VALU_DEP_3) | instskip(SKIP_2) | instid1(VALU_DEP_3)
	v_mul_f32_e32 v10, s11, v8
	v_cmp_le_f32_e32 vcc_lo, 0xc1a00000, v0
	v_mov_b32_e32 v0, v7
	v_mov_b32_e32 v6, v10
	s_waitcnt vmcnt(0)
	v_dual_cndmask_b32 v12, 0, v5 :: v_dual_mul_f32 v5, v4, v8
	s_delay_alu instid0(VALU_DEP_1) | instskip(NEXT) | instid1(VALU_DEP_2)
	v_dual_fmac_f32 v6, v11, v12 :: v_dual_add_nc_u32 v3, 0xfffffb00, v3
	v_fmac_f32_e32 v5, v9, v12
	s_cbranch_scc0 .LBB7_3
	s_branch .LBB7_5
.LBB7_4:
	s_waitcnt lgkmcnt(0)
	v_mov_b32_e32 v6, s11
.LBB7_5:
	s_waitcnt vmcnt(0)
	s_delay_alu instid0(VALU_DEP_1) | instskip(NEXT) | instid1(VALU_DEP_1)
	v_div_scale_f32 v0, null, v6, v6, v5
	v_rcp_f32_e32 v3, v0
	s_waitcnt_depctr 0xfff
	v_fma_f32 v4, -v0, v3, 1.0
	s_delay_alu instid0(VALU_DEP_1) | instskip(SKIP_1) | instid1(VALU_DEP_1)
	v_fmac_f32_e32 v3, v4, v3
	v_div_scale_f32 v4, vcc_lo, v5, v6, v5
	v_mul_f32_e32 v7, v4, v3
	s_delay_alu instid0(VALU_DEP_1) | instskip(NEXT) | instid1(VALU_DEP_1)
	v_fma_f32 v8, -v0, v7, v4
	v_fmac_f32_e32 v7, v8, v3
	s_delay_alu instid0(VALU_DEP_1) | instskip(NEXT) | instid1(VALU_DEP_1)
	v_fma_f32 v0, -v0, v7, v4
	v_div_fmas_f32 v0, v0, v3, v7
	s_delay_alu instid0(VALU_DEP_1)
	v_div_fixup_f32 v0, v0, v6, v5
	global_store_b32 v[1:2], v0, off
.LBB7_6:
	s_nop 0
	s_sendmsg sendmsg(MSG_DEALLOC_VGPRS)
	s_endpgm
	.section	.rodata,"a",@progbits
	.p2align	6, 0x0
	.amdhsa_kernel _ZL33flash_attn_stream_k_fixup_uniformILi40ELi4ELi8EEvPfPK15HIP_vector_typeIfLj2EEiiiiiiS1_IjLj3EES5_S5_
		.amdhsa_group_segment_fixed_size 0
		.amdhsa_private_segment_fixed_size 0
		.amdhsa_kernarg_size 76
		.amdhsa_user_sgpr_count 13
		.amdhsa_user_sgpr_dispatch_ptr 0
		.amdhsa_user_sgpr_queue_ptr 0
		.amdhsa_user_sgpr_kernarg_segment_ptr 1
		.amdhsa_user_sgpr_dispatch_id 0
		.amdhsa_user_sgpr_private_segment_size 0
		.amdhsa_wavefront_size32 1
		.amdhsa_uses_dynamic_stack 0
		.amdhsa_enable_private_segment 0
		.amdhsa_system_sgpr_workgroup_id_x 1
		.amdhsa_system_sgpr_workgroup_id_y 1
		.amdhsa_system_sgpr_workgroup_id_z 1
		.amdhsa_system_sgpr_workgroup_info 0
		.amdhsa_system_vgpr_workitem_id 0
		.amdhsa_next_free_vgpr 15
		.amdhsa_next_free_sgpr 20
		.amdhsa_reserve_vcc 1
		.amdhsa_float_round_mode_32 0
		.amdhsa_float_round_mode_16_64 0
		.amdhsa_float_denorm_mode_32 3
		.amdhsa_float_denorm_mode_16_64 3
		.amdhsa_dx10_clamp 1
		.amdhsa_ieee_mode 1
		.amdhsa_fp16_overflow 0
		.amdhsa_workgroup_processor_mode 1
		.amdhsa_memory_ordered 1
		.amdhsa_forward_progress 0
		.amdhsa_shared_vgpr_count 0
		.amdhsa_exception_fp_ieee_invalid_op 0
		.amdhsa_exception_fp_denorm_src 0
		.amdhsa_exception_fp_ieee_div_zero 0
		.amdhsa_exception_fp_ieee_overflow 0
		.amdhsa_exception_fp_ieee_underflow 0
		.amdhsa_exception_fp_ieee_inexact 0
		.amdhsa_exception_int_div_zero 0
	.end_amdhsa_kernel
	.section	.text._ZL33flash_attn_stream_k_fixup_uniformILi40ELi4ELi8EEvPfPK15HIP_vector_typeIfLj2EEiiiiiiS1_IjLj3EES5_S5_,"axG",@progbits,_ZL33flash_attn_stream_k_fixup_uniformILi40ELi4ELi8EEvPfPK15HIP_vector_typeIfLj2EEiiiiiiS1_IjLj3EES5_S5_,comdat
.Lfunc_end7:
	.size	_ZL33flash_attn_stream_k_fixup_uniformILi40ELi4ELi8EEvPfPK15HIP_vector_typeIfLj2EEiiiiiiS1_IjLj3EES5_S5_, .Lfunc_end7-_ZL33flash_attn_stream_k_fixup_uniformILi40ELi4ELi8EEvPfPK15HIP_vector_typeIfLj2EEiiiiiiS1_IjLj3EES5_S5_
                                        ; -- End function
	.section	.AMDGPU.csdata,"",@progbits
; Kernel info:
; codeLenInByte = 988
; NumSgprs: 22
; NumVgprs: 15
; ScratchSize: 0
; MemoryBound: 0
; FloatMode: 240
; IeeeMode: 1
; LDSByteSize: 0 bytes/workgroup (compile time only)
; SGPRBlocks: 2
; VGPRBlocks: 1
; NumSGPRsForWavesPerEU: 22
; NumVGPRsForWavesPerEU: 15
; Occupancy: 16
; WaveLimiterHint : 0
; COMPUTE_PGM_RSRC2:SCRATCH_EN: 0
; COMPUTE_PGM_RSRC2:USER_SGPR: 13
; COMPUTE_PGM_RSRC2:TRAP_HANDLER: 0
; COMPUTE_PGM_RSRC2:TGID_X_EN: 1
; COMPUTE_PGM_RSRC2:TGID_Y_EN: 1
; COMPUTE_PGM_RSRC2:TGID_Z_EN: 1
; COMPUTE_PGM_RSRC2:TIDIG_COMP_CNT: 0
	.section	.text._ZL33flash_attn_stream_k_fixup_generalILi40ELi4ELi8EEvPfPK15HIP_vector_typeIfLj2EEiiiiS1_IjLj3EES5_S5_S5_,"axG",@progbits,_ZL33flash_attn_stream_k_fixup_generalILi40ELi4ELi8EEvPfPK15HIP_vector_typeIfLj2EEiiiiS1_IjLj3EES5_S5_S5_,comdat
	.globl	_ZL33flash_attn_stream_k_fixup_generalILi40ELi4ELi8EEvPfPK15HIP_vector_typeIfLj2EEiiiiS1_IjLj3EES5_S5_S5_ ; -- Begin function _ZL33flash_attn_stream_k_fixup_generalILi40ELi4ELi8EEvPfPK15HIP_vector_typeIfLj2EEiiiiS1_IjLj3EES5_S5_S5_
	.p2align	8
	.type	_ZL33flash_attn_stream_k_fixup_generalILi40ELi4ELi8EEvPfPK15HIP_vector_typeIfLj2EEiiiiS1_IjLj3EES5_S5_S5_,@function
_ZL33flash_attn_stream_k_fixup_generalILi40ELi4ELi8EEvPfPK15HIP_vector_typeIfLj2EEiiiiS1_IjLj3EES5_S5_S5_: ; @_ZL33flash_attn_stream_k_fixup_generalILi40ELi4ELi8EEvPfPK15HIP_vector_typeIfLj2EEiiiiS1_IjLj3EES5_S5_S5_
; %bb.0:
	s_clause 0x1
	s_load_b128 s[4:7], s[0:1], 0x10
	s_load_b32 s20, s[0:1], 0x50
	s_mov_b32 s2, 0
	s_waitcnt lgkmcnt(0)
	s_mul_hi_i32 s3, s7, s13
	s_mul_i32 s12, s7, s13
	s_cmp_lg_u64 s[2:3], 0
	s_cbranch_scc0 .LBB8_21
; %bb.1:
	v_cvt_f32_ubyte0_e32 v1, 0
	v_cvt_f32_u32_e32 v2, s20
	s_sub_u32 s10, 0, s20
	s_subb_u32 s11, 0, 0
	s_delay_alu instid0(VALU_DEP_1) | instskip(NEXT) | instid1(VALU_DEP_1)
	v_fmamk_f32 v1, v1, 0x4f800000, v2
	v_rcp_f32_e32 v1, v1
	s_waitcnt_depctr 0xfff
	v_mul_f32_e32 v1, 0x5f7ffffc, v1
	s_delay_alu instid0(VALU_DEP_1) | instskip(NEXT) | instid1(VALU_DEP_1)
	v_mul_f32_e32 v2, 0x2f800000, v1
	v_trunc_f32_e32 v2, v2
	s_delay_alu instid0(VALU_DEP_1) | instskip(SKIP_1) | instid1(VALU_DEP_2)
	v_fmamk_f32 v1, v2, 0xcf800000, v1
	v_cvt_u32_f32_e32 v2, v2
	v_cvt_u32_f32_e32 v1, v1
	s_delay_alu instid0(VALU_DEP_2) | instskip(NEXT) | instid1(VALU_DEP_2)
	v_readfirstlane_b32 s8, v2
	v_readfirstlane_b32 s9, v1
	s_delay_alu instid0(VALU_DEP_2) | instskip(NEXT) | instid1(VALU_DEP_1)
	s_mul_i32 s16, s10, s8
	s_mul_hi_u32 s18, s10, s9
	s_mul_i32 s17, s11, s9
	s_add_i32 s16, s18, s16
	s_mul_i32 s19, s10, s9
	s_add_i32 s16, s16, s17
	s_mul_hi_u32 s18, s9, s19
	s_mul_hi_u32 s21, s8, s19
	s_mul_i32 s17, s8, s19
	s_mul_hi_u32 s19, s9, s16
	s_mul_i32 s9, s9, s16
	s_mul_hi_u32 s22, s8, s16
	s_add_u32 s9, s18, s9
	s_addc_u32 s18, 0, s19
	s_add_u32 s9, s9, s17
	s_mul_i32 s16, s8, s16
	s_addc_u32 s9, s18, s21
	s_addc_u32 s17, s22, 0
	s_add_u32 s9, s9, s16
	s_addc_u32 s16, 0, s17
	v_add_co_u32 v1, s9, v1, s9
	s_delay_alu instid0(VALU_DEP_1) | instskip(SKIP_1) | instid1(VALU_DEP_1)
	s_cmp_lg_u32 s9, 0
	s_addc_u32 s8, s8, s16
	v_readfirstlane_b32 s9, v1
	s_mul_i32 s16, s10, s8
	s_delay_alu instid0(VALU_DEP_1)
	s_mul_hi_u32 s17, s10, s9
	s_mul_i32 s11, s11, s9
	s_add_i32 s16, s17, s16
	s_mul_i32 s10, s10, s9
	s_add_i32 s16, s16, s11
	s_mul_hi_u32 s17, s8, s10
	s_mul_i32 s18, s8, s10
	s_mul_hi_u32 s10, s9, s10
	s_mul_hi_u32 s19, s9, s16
	s_mul_i32 s9, s9, s16
	s_mul_hi_u32 s11, s8, s16
	s_add_u32 s9, s10, s9
	s_addc_u32 s10, 0, s19
	s_add_u32 s9, s9, s18
	s_mul_i32 s16, s8, s16
	s_addc_u32 s9, s10, s17
	s_addc_u32 s10, s11, 0
	s_add_u32 s9, s9, s16
	s_addc_u32 s10, 0, s10
	v_add_co_u32 v1, s9, v1, s9
	s_delay_alu instid0(VALU_DEP_1) | instskip(SKIP_2) | instid1(SALU_CYCLE_1)
	s_cmp_lg_u32 s9, 0
	s_addc_u32 s16, s8, s10
	s_ashr_i32 s8, s3, 31
	s_add_u32 s10, s12, s8
	s_addc_u32 s11, s3, s8
	v_readfirstlane_b32 s3, v1
	s_mov_b32 s9, s8
	s_delay_alu instid0(SALU_CYCLE_1) | instskip(NEXT) | instid1(SALU_CYCLE_1)
	s_xor_b64 s[10:11], s[10:11], s[8:9]
	s_mul_i32 s18, s10, s16
	s_delay_alu instid0(VALU_DEP_1)
	s_mul_hi_u32 s19, s10, s3
	s_mul_hi_u32 s17, s10, s16
	;; [unrolled: 1-line block ×3, first 2 shown]
	s_mul_i32 s3, s11, s3
	s_add_u32 s18, s19, s18
	s_addc_u32 s17, 0, s17
	s_mul_hi_u32 s21, s11, s16
	s_add_u32 s3, s18, s3
	s_mul_i32 s16, s11, s16
	s_addc_u32 s3, s17, s22
	s_addc_u32 s17, s21, 0
	s_add_u32 s3, s3, s16
	s_addc_u32 s16, 0, s17
	s_mul_i32 s18, s20, s3
	s_add_u32 s17, s3, 1
	v_sub_co_u32 v1, s10, s10, s18
	s_mul_hi_u32 s18, s20, s3
	s_addc_u32 s19, s16, 0
	s_mul_i32 s21, s20, s16
	s_delay_alu instid0(VALU_DEP_1)
	v_sub_co_u32 v2, s22, v1, s20
	s_add_u32 s23, s3, 2
	s_addc_u32 s24, s16, 0
	s_add_i32 s18, s18, s21
	s_cmp_lg_u32 s10, 0
	v_readfirstlane_b32 s10, v2
	s_subb_u32 s11, s11, s18
	s_cmp_lg_u32 s22, 0
	s_subb_u32 s18, s11, 0
	s_delay_alu instid0(VALU_DEP_1) | instskip(SKIP_4) | instid1(SALU_CYCLE_1)
	s_cmp_ge_u32 s10, s20
	s_cselect_b32 s10, -1, 0
	s_cmp_eq_u32 s18, 0
	v_readfirstlane_b32 s18, v1
	s_cselect_b32 s10, s10, -1
	s_cmp_lg_u32 s10, 0
	s_cselect_b32 s10, s23, s17
	s_cselect_b32 s17, s24, s19
	s_cmp_ge_u32 s18, s20
	s_cselect_b32 s18, -1, 0
	s_cmp_eq_u32 s11, 0
	s_cselect_b32 s11, s18, -1
	s_delay_alu instid0(SALU_CYCLE_1) | instskip(SKIP_2) | instid1(SALU_CYCLE_1)
	s_cmp_lg_u32 s11, 0
	s_cselect_b32 s11, s17, s16
	s_cselect_b32 s10, s10, s3
	s_xor_b64 s[10:11], s[10:11], s[8:9]
	s_delay_alu instid0(SALU_CYCLE_1)
	s_sub_u32 s16, s10, s8
	s_load_b128 s[8:11], s[0:1], 0x44
	s_and_not1_b32 vcc_lo, exec_lo, s2
	s_cbranch_vccnz .LBB8_3
.LBB8_2:
	v_cvt_f32_u32_e32 v1, s20
	s_sub_i32 s3, 0, s20
	s_delay_alu instid0(VALU_DEP_1) | instskip(SKIP_2) | instid1(VALU_DEP_1)
	v_rcp_iflag_f32_e32 v1, v1
	s_waitcnt_depctr 0xfff
	v_mul_f32_e32 v1, 0x4f7ffffe, v1
	v_cvt_u32_f32_e32 v1, v1
	s_delay_alu instid0(VALU_DEP_1) | instskip(NEXT) | instid1(VALU_DEP_1)
	v_readfirstlane_b32 s2, v1
	s_mul_i32 s3, s3, s2
	s_delay_alu instid0(SALU_CYCLE_1) | instskip(NEXT) | instid1(SALU_CYCLE_1)
	s_mul_hi_u32 s3, s2, s3
	s_add_i32 s2, s2, s3
	s_delay_alu instid0(SALU_CYCLE_1) | instskip(NEXT) | instid1(SALU_CYCLE_1)
	s_mul_hi_u32 s2, s12, s2
	s_mul_i32 s3, s2, s20
	s_waitcnt lgkmcnt(0)
	s_add_i32 s11, s2, 1
	s_sub_i32 s3, s12, s3
	s_delay_alu instid0(SALU_CYCLE_1)
	s_sub_i32 s12, s3, s20
	s_cmp_ge_u32 s3, s20
	s_cselect_b32 s2, s11, s2
	s_cselect_b32 s3, s12, s3
	s_add_i32 s11, s2, 1
	s_cmp_ge_u32 s3, s20
	s_cselect_b32 s16, s11, s2
.LBB8_3:
	s_waitcnt lgkmcnt(0)
	s_add_i32 s11, s13, 1
	s_mov_b32 s2, 0
	s_mul_hi_i32 s3, s7, s11
	s_mul_i32 s11, s7, s11
	s_cmp_lg_u64 s[2:3], 0
	s_cbranch_scc0 .LBB8_22
; %bb.4:
	v_cvt_f32_ubyte0_e32 v1, 0
	v_cvt_f32_u32_e32 v2, s20
	s_sub_u32 s18, 0, s20
	s_subb_u32 s19, 0, 0
	s_delay_alu instid0(VALU_DEP_1) | instskip(NEXT) | instid1(VALU_DEP_1)
	v_fmamk_f32 v1, v1, 0x4f800000, v2
	v_rcp_f32_e32 v1, v1
	s_waitcnt_depctr 0xfff
	v_mul_f32_e32 v1, 0x5f7ffffc, v1
	s_delay_alu instid0(VALU_DEP_1) | instskip(NEXT) | instid1(VALU_DEP_1)
	v_mul_f32_e32 v2, 0x2f800000, v1
	v_trunc_f32_e32 v2, v2
	s_delay_alu instid0(VALU_DEP_1) | instskip(SKIP_1) | instid1(VALU_DEP_2)
	v_fmamk_f32 v1, v2, 0xcf800000, v1
	v_cvt_u32_f32_e32 v2, v2
	v_cvt_u32_f32_e32 v1, v1
	s_delay_alu instid0(VALU_DEP_2) | instskip(NEXT) | instid1(VALU_DEP_2)
	v_readfirstlane_b32 s12, v2
	v_readfirstlane_b32 s17, v1
	s_delay_alu instid0(VALU_DEP_2) | instskip(NEXT) | instid1(VALU_DEP_1)
	s_mul_i32 s21, s18, s12
	s_mul_hi_u32 s23, s18, s17
	s_mul_i32 s22, s19, s17
	s_add_i32 s21, s23, s21
	s_mul_i32 s24, s18, s17
	s_add_i32 s21, s21, s22
	s_mul_hi_u32 s23, s17, s24
	s_mul_hi_u32 s25, s12, s24
	s_mul_i32 s22, s12, s24
	s_mul_hi_u32 s24, s17, s21
	s_mul_i32 s17, s17, s21
	s_mul_hi_u32 s26, s12, s21
	s_add_u32 s17, s23, s17
	s_addc_u32 s23, 0, s24
	s_add_u32 s17, s17, s22
	s_mul_i32 s21, s12, s21
	s_addc_u32 s17, s23, s25
	s_addc_u32 s22, s26, 0
	s_add_u32 s17, s17, s21
	s_addc_u32 s21, 0, s22
	v_add_co_u32 v1, s17, v1, s17
	s_delay_alu instid0(VALU_DEP_1) | instskip(SKIP_1) | instid1(VALU_DEP_1)
	s_cmp_lg_u32 s17, 0
	s_addc_u32 s12, s12, s21
	v_readfirstlane_b32 s17, v1
	s_mul_i32 s21, s18, s12
	s_delay_alu instid0(VALU_DEP_1)
	s_mul_hi_u32 s22, s18, s17
	s_mul_i32 s19, s19, s17
	s_add_i32 s21, s22, s21
	s_mul_i32 s18, s18, s17
	s_add_i32 s21, s21, s19
	s_mul_hi_u32 s22, s12, s18
	s_mul_i32 s23, s12, s18
	s_mul_hi_u32 s18, s17, s18
	s_mul_hi_u32 s24, s17, s21
	s_mul_i32 s17, s17, s21
	s_mul_hi_u32 s19, s12, s21
	s_add_u32 s17, s18, s17
	s_addc_u32 s18, 0, s24
	s_add_u32 s17, s17, s23
	s_mul_i32 s21, s12, s21
	s_addc_u32 s17, s18, s22
	s_addc_u32 s18, s19, 0
	s_add_u32 s17, s17, s21
	s_addc_u32 s18, 0, s18
	v_add_co_u32 v1, s17, v1, s17
	s_delay_alu instid0(VALU_DEP_1) | instskip(SKIP_2) | instid1(SALU_CYCLE_1)
	s_cmp_lg_u32 s17, 0
	s_addc_u32 s12, s12, s18
	s_ashr_i32 s18, s3, 31
	s_add_u32 s22, s11, s18
	s_addc_u32 s23, s3, s18
	v_readfirstlane_b32 s3, v1
	s_mov_b32 s19, s18
	s_delay_alu instid0(SALU_CYCLE_1) | instskip(NEXT) | instid1(SALU_CYCLE_1)
	s_xor_b64 s[22:23], s[22:23], s[18:19]
	s_mul_i32 s21, s22, s12
	s_delay_alu instid0(VALU_DEP_1)
	s_mul_hi_u32 s24, s22, s3
	s_mul_hi_u32 s17, s22, s12
	;; [unrolled: 1-line block ×3, first 2 shown]
	s_mul_i32 s3, s23, s3
	s_add_u32 s21, s24, s21
	s_addc_u32 s17, 0, s17
	s_mul_hi_u32 s25, s23, s12
	s_add_u32 s3, s21, s3
	s_mul_i32 s12, s23, s12
	s_addc_u32 s3, s17, s26
	s_addc_u32 s17, s25, 0
	s_add_u32 s3, s3, s12
	s_addc_u32 s12, 0, s17
	s_mul_i32 s21, s20, s3
	s_add_u32 s17, s3, 1
	v_sub_co_u32 v1, s21, s22, s21
	s_mul_hi_u32 s22, s20, s3
	s_addc_u32 s24, s12, 0
	s_mul_i32 s25, s20, s12
	s_delay_alu instid0(VALU_DEP_1)
	v_sub_co_u32 v2, s26, v1, s20
	s_add_u32 s27, s3, 2
	s_addc_u32 s28, s12, 0
	s_add_i32 s22, s22, s25
	s_cmp_lg_u32 s21, 0
	v_readfirstlane_b32 s21, v2
	s_subb_u32 s22, s23, s22
	s_cmp_lg_u32 s26, 0
	s_subb_u32 s23, s22, 0
	s_delay_alu instid0(VALU_DEP_1) | instskip(SKIP_4) | instid1(SALU_CYCLE_1)
	s_cmp_ge_u32 s21, s20
	s_cselect_b32 s21, -1, 0
	s_cmp_eq_u32 s23, 0
	v_readfirstlane_b32 s23, v1
	s_cselect_b32 s21, s21, -1
	s_cmp_lg_u32 s21, 0
	s_cselect_b32 s17, s27, s17
	s_cselect_b32 s21, s28, s24
	s_cmp_ge_u32 s23, s20
	s_cselect_b32 s23, -1, 0
	s_cmp_eq_u32 s22, 0
	s_cselect_b32 s22, s23, -1
	s_delay_alu instid0(SALU_CYCLE_1) | instskip(SKIP_2) | instid1(SALU_CYCLE_1)
	s_cmp_lg_u32 s22, 0
	s_cselect_b32 s23, s21, s12
	s_cselect_b32 s22, s17, s3
	s_xor_b64 s[22:23], s[22:23], s[18:19]
	s_delay_alu instid0(SALU_CYCLE_1)
	s_sub_u32 s18, s22, s18
	s_and_not1_b32 vcc_lo, exec_lo, s2
	s_cbranch_vccnz .LBB8_6
.LBB8_5:
	v_cvt_f32_u32_e32 v1, s20
	s_sub_i32 s3, 0, s20
	s_delay_alu instid0(VALU_DEP_1) | instskip(SKIP_2) | instid1(VALU_DEP_1)
	v_rcp_iflag_f32_e32 v1, v1
	s_waitcnt_depctr 0xfff
	v_mul_f32_e32 v1, 0x4f7ffffe, v1
	v_cvt_u32_f32_e32 v1, v1
	s_delay_alu instid0(VALU_DEP_1) | instskip(NEXT) | instid1(VALU_DEP_1)
	v_readfirstlane_b32 s2, v1
	s_mul_i32 s3, s3, s2
	s_delay_alu instid0(SALU_CYCLE_1) | instskip(NEXT) | instid1(SALU_CYCLE_1)
	s_mul_hi_u32 s3, s2, s3
	s_add_i32 s2, s2, s3
	s_delay_alu instid0(SALU_CYCLE_1) | instskip(NEXT) | instid1(SALU_CYCLE_1)
	s_mul_hi_u32 s2, s11, s2
	s_mul_i32 s3, s2, s20
	s_delay_alu instid0(SALU_CYCLE_1)
	s_sub_i32 s3, s11, s3
	s_add_i32 s11, s2, 1
	s_sub_i32 s12, s3, s20
	s_cmp_ge_u32 s3, s20
	s_cselect_b32 s2, s11, s2
	s_cselect_b32 s3, s12, s3
	s_add_i32 s11, s2, 1
	s_cmp_ge_u32 s3, s20
	s_cselect_b32 s18, s11, s2
.LBB8_6:
	s_delay_alu instid0(SALU_CYCLE_1) | instskip(SKIP_3) | instid1(SALU_CYCLE_1)
	s_cmp_eq_u32 s16, s18
	s_mul_hi_u32 s2, s16, s8
	s_cselect_b32 s3, -1, 0
	s_add_i32 s2, s2, s16
	s_lshr_b32 s11, s2, s9
	s_delay_alu instid0(SALU_CYCLE_1) | instskip(NEXT) | instid1(SALU_CYCLE_1)
	s_mul_i32 s2, s11, s10
	s_cmp_eq_u32 s2, s16
	s_mul_hi_u32 s2, s18, s8
	s_cselect_b32 s12, -1, 0
	s_add_i32 s2, s2, s18
	s_delay_alu instid0(SALU_CYCLE_1) | instskip(NEXT) | instid1(SALU_CYCLE_1)
	s_lshr_b32 s2, s2, s9
	s_cmp_eq_u32 s11, s2
	s_mul_i32 s2, s2, s10
	s_cselect_b32 s17, -1, 0
	s_cmp_lg_u32 s2, s18
	s_cselect_b32 s2, -1, 0
	s_or_b32 s3, s3, s12
	s_and_b32 s2, s17, s2
	s_delay_alu instid0(SALU_CYCLE_1) | instskip(NEXT) | instid1(SALU_CYCLE_1)
	s_or_b32 s2, s3, s2
	s_and_b32 vcc_lo, exec_lo, s2
	s_cbranch_vccnz .LBB8_24
; %bb.7:
	s_load_b256 s[24:31], s[0:1], 0x20
	s_waitcnt lgkmcnt(0)
	s_mul_hi_u32 s2, s16, s24
	s_delay_alu instid0(SALU_CYCLE_1) | instskip(NEXT) | instid1(SALU_CYCLE_1)
	s_add_i32 s2, s2, s16
	s_lshr_b32 s17, s2, s25
	s_load_b32 s2, s[0:1], 0x40
	s_mul_i32 s3, s17, s26
	s_delay_alu instid0(SALU_CYCLE_1) | instskip(NEXT) | instid1(SALU_CYCLE_1)
	s_sub_i32 s3, s16, s3
	s_mul_hi_u32 s12, s3, s27
	s_delay_alu instid0(SALU_CYCLE_1) | instskip(NEXT) | instid1(SALU_CYCLE_1)
	s_add_i32 s12, s3, s12
	s_lshr_b32 s19, s12, s28
	s_delay_alu instid0(SALU_CYCLE_1) | instskip(NEXT) | instid1(SALU_CYCLE_1)
	s_mul_i32 s12, s19, s29
	s_sub_i32 s3, s3, s12
	s_delay_alu instid0(SALU_CYCLE_1) | instskip(NEXT) | instid1(SALU_CYCLE_1)
	s_mul_hi_u32 s12, s3, s30
	s_add_i32 s12, s3, s12
	s_delay_alu instid0(SALU_CYCLE_1)
	s_lshr_b32 s12, s12, s31
	s_waitcnt lgkmcnt(0)
	s_mul_i32 s2, s12, s2
	s_lshl_b32 s21, s12, 3
	s_sub_i32 s2, s3, s2
	s_mov_b32 s12, 0
	s_mul_hi_u32 s3, s2, s8
	s_delay_alu instid0(SALU_CYCLE_1) | instskip(NEXT) | instid1(SALU_CYCLE_1)
	s_add_i32 s2, s2, s3
	s_lshr_b32 s18, s2, s9
	s_delay_alu instid0(SALU_CYCLE_1) | instskip(NEXT) | instid1(SALU_CYCLE_1)
	s_lshl_b32 s2, s18, 2
	s_add_i32 s2, s2, s14
	s_delay_alu instid0(SALU_CYCLE_1) | instskip(SKIP_2) | instid1(SALU_CYCLE_1)
	s_cmp_lt_i32 s2, s4
	s_cselect_b32 s2, -1, 0
	s_add_i32 s21, s21, s15
	s_cmp_lt_i32 s21, s6
	s_cselect_b32 s3, -1, 0
	s_delay_alu instid0(SALU_CYCLE_1) | instskip(NEXT) | instid1(SALU_CYCLE_1)
	s_and_b32 s2, s2, s3
	s_and_not1_b32 vcc_lo, exec_lo, s2
	s_cbranch_vccnz .LBB8_24
; %bb.8:
	s_load_b128 s[0:3], s[0:1], 0x0
	s_lshl_b32 s22, s20, 7
	s_mov_b32 s23, s12
	s_lshl_b32 s24, s14, 3
	s_lshl_b64 s[22:23], s[22:23], 2
	s_mul_i32 s19, s19, s6
	s_mul_i32 s4, s17, s4
	s_add_i32 s6, s24, s15
	v_cvt_f32_ubyte0_e32 v3, 0
	v_cvt_f32_u32_e32 v4, s20
	s_waitcnt lgkmcnt(0)
	s_add_u32 s15, s2, s22
	s_addc_u32 s17, s3, s23
	s_add_i32 s4, s4, s14
	s_add_i32 s14, s21, s19
	s_mul_i32 s4, s4, s5
	s_mul_i32 s5, s5, s18
	s_add_i32 s4, s14, s4
	s_mulk_i32 s5, 0xa0
	s_mul_i32 s4, s4, 40
	s_delay_alu instid0(SALU_CYCLE_1) | instskip(NEXT) | instid1(VALU_DEP_1)
	v_add3_u32 v1, s5, s4, v0
	v_ashrrev_i32_e32 v2, 31, v1
	s_delay_alu instid0(VALU_DEP_1) | instskip(NEXT) | instid1(VALU_DEP_1)
	v_lshlrev_b64 v[1:2], 2, v[1:2]
	v_add_co_u32 v1, vcc_lo, s0, v1
	s_delay_alu instid0(VALU_DEP_2) | instskip(SKIP_1) | instid1(SALU_CYCLE_1)
	v_add_co_ci_u32_e32 v2, vcc_lo, s1, v2, vcc_lo
	s_lshl_b32 s0, s13, 5
	s_add_i32 s0, s6, s0
	global_load_b32 v5, v[1:2], off
	s_ashr_i32 s1, s0, 31
	s_delay_alu instid0(SALU_CYCLE_1) | instskip(NEXT) | instid1(SALU_CYCLE_1)
	s_lshl_b64 s[0:1], s[0:1], 3
	s_add_u32 s0, s2, s0
	s_addc_u32 s1, s3, s1
	s_add_i32 s18, s13, -1
	s_load_b64 s[0:1], s[0:1], 0x0
	v_fmac_f32_e32 v4, 0x4f800000, v3
	s_sub_i32 s14, 0, s20
	s_delay_alu instid0(VALU_DEP_1)
	v_rcp_f32_e32 v3, v4
	s_waitcnt_depctr 0xfff
	v_mul_f32_e32 v6, 0x5f7ffffc, v3
	v_cvt_f32_u32_e32 v3, s20
	s_waitcnt lgkmcnt(0)
	v_mov_b32_e32 v8, s0
	s_delay_alu instid0(VALU_DEP_3) | instskip(NEXT) | instid1(VALU_DEP_3)
	v_mul_f32_e32 v4, 0x2f800000, v6
	v_rcp_iflag_f32_e32 v7, v3
	s_delay_alu instid0(VALU_DEP_1) | instskip(SKIP_1) | instid1(VALU_DEP_2)
	v_trunc_f32_e32 v9, v4
	v_mad_u64_u32 v[3:4], null, s6, 40, v[0:1]
	v_fmac_f32_e32 v6, 0xcf800000, v9
	s_waitcnt_depctr 0xfff
	v_dual_mul_f32 v10, 0x4f7ffffe, v7 :: v_dual_mov_b32 v7, s1
	v_cvt_u32_f32_e32 v4, v9
	v_cvt_u32_f32_e32 v0, v6
	s_delay_alu instid0(VALU_DEP_3)
	v_cvt_u32_f32_e32 v6, v10
.LBB8_9:                                ; =>This Inner Loop Header: Depth=1
	s_mul_hi_i32 s13, s18, s7
	s_mul_i32 s4, s18, s7
	s_cmp_lg_u64 s[12:13], 0
	s_mov_b32 s5, -1
                                        ; implicit-def: $sgpr0_sgpr1
	s_cbranch_scc0 .LBB8_11
; %bb.10:                               ;   in Loop: Header=BB8_9 Depth=1
	v_readfirstlane_b32 s0, v0
	v_readfirstlane_b32 s1, v4
	s_sub_u32 s5, 0, s20
	s_subb_u32 s19, 0, 0
	s_delay_alu instid0(VALU_DEP_2) | instskip(NEXT) | instid1(VALU_DEP_1)
	s_mul_hi_u32 s21, s5, s0
	s_mul_i32 s22, s5, s1
	s_mul_i32 s23, s19, s0
	s_add_i32 s21, s21, s22
	s_mul_i32 s22, s5, s0
	s_add_i32 s21, s21, s23
	s_mul_hi_u32 s23, s0, s22
	s_mul_i32 s24, s0, s21
	s_mul_hi_u32 s0, s0, s21
	s_add_u32 s23, s23, s24
	s_mul_i32 s25, s1, s22
	s_addc_u32 s0, 0, s0
	s_mul_hi_u32 s22, s1, s22
	s_mul_hi_u32 s24, s1, s21
	s_add_u32 s23, s23, s25
	s_addc_u32 s0, s0, s22
	s_mul_i32 s21, s1, s21
	s_addc_u32 s22, s24, 0
	s_add_u32 s0, s0, s21
	s_addc_u32 s21, 0, s22
	v_add_co_u32 v9, s0, v0, s0
	s_delay_alu instid0(VALU_DEP_1) | instskip(SKIP_1) | instid1(VALU_DEP_1)
	s_cmp_lg_u32 s0, 0
	s_addc_u32 s1, s1, s21
	v_readfirstlane_b32 s0, v9
	s_mul_i32 s21, s5, s1
	s_delay_alu instid0(VALU_DEP_1)
	s_mul_hi_u32 s22, s5, s0
	s_mul_i32 s19, s19, s0
	s_add_i32 s21, s22, s21
	s_mul_i32 s5, s5, s0
	s_add_i32 s21, s21, s19
	s_mul_hi_u32 s19, s1, s5
	s_mul_i32 s23, s1, s5
	s_mul_i32 s24, s0, s21
	s_mul_hi_u32 s5, s0, s5
	s_mul_hi_u32 s0, s0, s21
	s_add_u32 s5, s5, s24
	s_addc_u32 s0, 0, s0
	s_mul_hi_u32 s22, s1, s21
	s_add_u32 s5, s5, s23
	s_addc_u32 s0, s0, s19
	s_mul_i32 s5, s1, s21
	s_addc_u32 s19, s22, 0
	s_add_u32 s0, s0, s5
	s_addc_u32 s5, 0, s19
	v_add_co_u32 v9, s0, v9, s0
	s_delay_alu instid0(VALU_DEP_1) | instskip(SKIP_2) | instid1(SALU_CYCLE_1)
	s_cmp_lg_u32 s0, 0
	s_addc_u32 s5, s1, s5
	s_ashr_i32 s0, s13, 31
	s_add_u32 s22, s4, s0
	s_addc_u32 s23, s13, s0
	v_readfirstlane_b32 s13, v9
	s_mov_b32 s1, s0
	s_delay_alu instid0(SALU_CYCLE_1) | instskip(NEXT) | instid1(SALU_CYCLE_1)
	s_xor_b64 s[22:23], s[22:23], s[0:1]
	s_mul_i32 s19, s22, s5
	s_delay_alu instid0(VALU_DEP_1)
	s_mul_hi_u32 s21, s22, s13
	s_mul_hi_u32 s24, s22, s5
	s_add_u32 s19, s21, s19
	s_mul_i32 s25, s23, s13
	s_addc_u32 s21, 0, s24
	s_mul_hi_u32 s13, s23, s13
	s_mul_hi_u32 s24, s23, s5
	s_add_u32 s19, s19, s25
	s_addc_u32 s13, s21, s13
	s_mul_i32 s5, s23, s5
	s_addc_u32 s19, s24, 0
	s_add_u32 s5, s13, s5
	s_addc_u32 s13, 0, s19
	s_mul_i32 s21, s20, s5
	s_add_u32 s19, s5, 1
	v_sub_co_u32 v9, s21, s22, s21
	s_addc_u32 s22, s13, 0
	s_mul_i32 s25, s20, s13
	s_mul_hi_u32 s27, s20, s5
	s_delay_alu instid0(VALU_DEP_1)
	v_sub_co_u32 v10, s26, v9, s20
	s_add_u32 s24, s5, 2
	s_addc_u32 s28, s13, 0
	s_add_i32 s27, s27, s25
	s_cmp_lg_u32 s21, 0
	v_readfirstlane_b32 s21, v10
	s_subb_u32 s23, s23, s27
	s_cmp_lg_u32 s26, 0
	s_subb_u32 s25, s23, 0
	s_delay_alu instid0(VALU_DEP_1) | instskip(SKIP_4) | instid1(SALU_CYCLE_1)
	s_cmp_ge_u32 s21, s20
	s_cselect_b32 s21, -1, 0
	s_cmp_eq_u32 s25, 0
	v_readfirstlane_b32 s25, v9
	s_cselect_b32 s21, s21, -1
	s_cmp_lg_u32 s21, 0
	s_cselect_b32 s19, s24, s19
	s_cselect_b32 s21, s28, s22
	s_cmp_ge_u32 s25, s20
	s_cselect_b32 s22, -1, 0
	s_cmp_eq_u32 s23, 0
	s_cselect_b32 s22, s22, -1
	s_delay_alu instid0(SALU_CYCLE_1) | instskip(SKIP_4) | instid1(SALU_CYCLE_1)
	s_cmp_lg_u32 s22, 0
	s_cselect_b32 s23, s21, s13
	s_cselect_b32 s22, s19, s5
	s_mov_b32 s5, 0
	s_xor_b64 s[22:23], s[22:23], s[0:1]
	s_sub_u32 s0, s22, s0
.LBB8_11:                               ;   in Loop: Header=BB8_9 Depth=1
	s_and_not1_b32 vcc_lo, exec_lo, s5
	s_cbranch_vccnz .LBB8_13
; %bb.12:                               ;   in Loop: Header=BB8_9 Depth=1
	v_readfirstlane_b32 s0, v6
	s_delay_alu instid0(VALU_DEP_1) | instskip(NEXT) | instid1(SALU_CYCLE_1)
	s_mul_i32 s1, s14, s0
	s_mul_hi_u32 s1, s0, s1
	s_delay_alu instid0(SALU_CYCLE_1) | instskip(NEXT) | instid1(SALU_CYCLE_1)
	s_add_i32 s0, s0, s1
	s_mul_hi_u32 s0, s4, s0
	s_delay_alu instid0(SALU_CYCLE_1) | instskip(NEXT) | instid1(SALU_CYCLE_1)
	s_mul_i32 s1, s0, s20
	s_sub_i32 s1, s4, s1
	s_add_i32 s4, s0, 1
	s_sub_i32 s5, s1, s20
	s_cmp_ge_u32 s1, s20
	s_cselect_b32 s0, s4, s0
	s_cselect_b32 s1, s5, s1
	s_add_i32 s4, s0, 1
	s_cmp_ge_u32 s1, s20
	s_cselect_b32 s0, s4, s0
.LBB8_13:                               ;   in Loop: Header=BB8_9 Depth=1
	s_delay_alu instid0(SALU_CYCLE_1)
	s_cmp_lg_u32 s16, s0
	s_cbranch_scc0 .LBB8_17
; %bb.14:                               ;   in Loop: Header=BB8_9 Depth=1
	s_add_i32 s1, s18, s20
	s_mov_b32 s5, s12
	s_lshl_b32 s1, s1, 5
	s_mov_b32 s19, s16
	s_add_i32 s4, s1, s6
	s_mul_hi_u32 s1, s0, s8
	s_lshl_b64 s[4:5], s[4:5], 3
	s_delay_alu instid0(SALU_CYCLE_1) | instskip(SKIP_2) | instid1(SALU_CYCLE_1)
	s_add_u32 s4, s2, s4
	s_addc_u32 s5, s3, s5
	s_add_i32 s1, s1, s0
	s_lshr_b32 s1, s1, s9
	s_delay_alu instid0(SALU_CYCLE_1) | instskip(NEXT) | instid1(SALU_CYCLE_1)
	s_mul_i32 s13, s1, s10
	s_cmp_eq_u32 s13, s0
	s_cselect_b32 s13, -1, 0
	s_cmp_lt_u32 s1, s11
	s_cselect_b32 s1, -1, 0
	s_delay_alu instid0(SALU_CYCLE_1)
	s_or_b32 s1, s1, s13
	s_mov_b32 s13, -1
	s_and_b32 vcc_lo, exec_lo, s1
	s_mov_b32 s1, s18
	s_cbranch_vccnz .LBB8_16
; %bb.15:                               ;   in Loop: Header=BB8_9 Depth=1
	s_add_i32 s1, s18, -1
	s_mov_b32 s13, 0
	s_mov_b32 s19, s0
.LBB8_16:                               ;   in Loop: Header=BB8_9 Depth=1
	v_mad_u64_u32 v[9:10], null, 0x500, s18, v[3:4]
	s_load_b64 s[4:5], s[4:5], 0x0
	s_delay_alu instid0(VALU_DEP_1) | instskip(NEXT) | instid1(VALU_DEP_1)
	v_ashrrev_i32_e32 v10, 31, v9
	v_lshlrev_b64 v[9:10], 2, v[9:10]
	s_delay_alu instid0(VALU_DEP_1) | instskip(NEXT) | instid1(VALU_DEP_2)
	v_add_co_u32 v9, vcc_lo, s15, v9
	v_add_co_ci_u32_e32 v10, vcc_lo, s17, v10, vcc_lo
	s_waitcnt lgkmcnt(0)
	v_max_f32_e64 v11, s4, s4
	global_load_b32 v10, v[9:10], off
	v_max_f32_e32 v9, v8, v8
	s_delay_alu instid0(VALU_DEP_1) | instskip(NEXT) | instid1(VALU_DEP_1)
	v_max_f32_e32 v9, v9, v11
	v_sub_f32_e32 v12, v8, v9
	s_delay_alu instid0(VALU_DEP_1) | instskip(NEXT) | instid1(VALU_DEP_1)
	v_dual_mul_f32 v14, 0x3fb8aa3b, v12 :: v_dual_sub_f32 v11, s4, v9
	v_rndne_f32_e32 v18, v14
	s_delay_alu instid0(VALU_DEP_2) | instskip(SKIP_2) | instid1(VALU_DEP_4)
	v_mul_f32_e32 v13, 0x3fb8aa3b, v11
	v_fma_f32 v17, 0x3fb8aa3b, v12, -v14
	v_cmp_ngt_f32_e32 vcc_lo, 0xc2ce8ed0, v11
	v_sub_f32_e32 v14, v14, v18
	s_delay_alu instid0(VALU_DEP_4) | instskip(SKIP_2) | instid1(VALU_DEP_3)
	v_fma_f32 v15, 0x3fb8aa3b, v11, -v13
	v_rndne_f32_e32 v16, v13
	v_fmac_f32_e32 v17, 0x32a5705f, v12
	v_fmac_f32_e32 v15, 0x32a5705f, v11
	s_delay_alu instid0(VALU_DEP_2) | instskip(NEXT) | instid1(VALU_DEP_1)
	v_dual_sub_f32 v13, v13, v16 :: v_dual_add_f32 v14, v14, v17
	v_add_f32_e32 v13, v13, v15
	s_delay_alu instid0(VALU_DEP_2) | instskip(SKIP_2) | instid1(VALU_DEP_3)
	v_exp_f32_e32 v14, v14
	v_cvt_i32_f32_e32 v15, v16
	v_cvt_i32_f32_e32 v16, v18
	v_exp_f32_e32 v13, v13
	s_waitcnt_depctr 0xfff
	v_ldexp_f32 v14, v14, v16
	v_ldexp_f32 v13, v13, v15
	s_delay_alu instid0(VALU_DEP_1) | instskip(SKIP_1) | instid1(VALU_DEP_4)
	v_cndmask_b32_e32 v13, 0, v13, vcc_lo
	v_cmp_ngt_f32_e32 vcc_lo, 0xc2ce8ed0, v12
	v_cndmask_b32_e32 v14, 0, v14, vcc_lo
	v_cmp_nlt_f32_e32 vcc_lo, 0x42b17218, v11
	s_delay_alu instid0(VALU_DEP_4) | instskip(SKIP_1) | instid1(VALU_DEP_4)
	v_cndmask_b32_e32 v13, 0x7f800000, v13, vcc_lo
	v_cmp_nlt_f32_e32 vcc_lo, 0x42b17218, v12
	v_cndmask_b32_e32 v14, 0x7f800000, v14, vcc_lo
	v_cmp_le_f32_e32 vcc_lo, 0xc1a00000, v11
	s_delay_alu instid0(VALU_DEP_4) | instskip(SKIP_1) | instid1(VALU_DEP_4)
	v_cndmask_b32_e32 v11, 0, v13, vcc_lo
	v_cmp_le_f32_e32 vcc_lo, 0xc1a00000, v12
	v_cndmask_b32_e32 v12, 0, v14, vcc_lo
	s_waitcnt vmcnt(0)
	s_delay_alu instid0(VALU_DEP_3) | instskip(NEXT) | instid1(VALU_DEP_1)
	v_mul_f32_e32 v10, v10, v11
	v_dual_mul_f32 v11, s5, v11 :: v_dual_fmac_f32 v10, v5, v12
	s_delay_alu instid0(VALU_DEP_1)
	v_fmac_f32_e32 v11, v7, v12
	s_cbranch_execz .LBB8_18
	s_branch .LBB8_19
.LBB8_17:                               ;   in Loop: Header=BB8_9 Depth=1
                                        ; implicit-def: $sgpr13
                                        ; implicit-def: $vgpr10
                                        ; implicit-def: $vgpr9
                                        ; implicit-def: $vgpr11
                                        ; implicit-def: $sgpr1
                                        ; implicit-def: $sgpr19
.LBB8_18:                               ;   in Loop: Header=BB8_9 Depth=1
	s_waitcnt vmcnt(0)
	v_dual_mov_b32 v11, v7 :: v_dual_mov_b32 v10, v5
	v_mov_b32_e32 v9, v8
	s_add_i32 s1, s18, -1
	s_mov_b32 s13, 0
	s_mov_b32 s19, s16
.LBB8_19:                               ;   in Loop: Header=BB8_9 Depth=1
	s_and_not1_b32 vcc_lo, exec_lo, s13
	s_cbranch_vccz .LBB8_23
; %bb.20:                               ;   in Loop: Header=BB8_9 Depth=1
	v_dual_mov_b32 v7, v11 :: v_dual_mov_b32 v8, v9
	s_waitcnt vmcnt(0)
	v_mov_b32_e32 v5, v10
	s_mov_b32 s16, s19
	s_mov_b32 s18, s1
	s_branch .LBB8_9
.LBB8_21:
                                        ; implicit-def: $sgpr16_sgpr17
	s_load_b128 s[8:11], s[0:1], 0x44
	s_branch .LBB8_2
.LBB8_22:
                                        ; implicit-def: $sgpr18_sgpr19
	s_branch .LBB8_5
.LBB8_23:
	v_div_scale_f32 v0, null, v11, v11, v10
	s_delay_alu instid0(VALU_DEP_1) | instskip(SKIP_2) | instid1(VALU_DEP_1)
	v_rcp_f32_e32 v3, v0
	s_waitcnt_depctr 0xfff
	v_fma_f32 v4, -v0, v3, 1.0
	v_fmac_f32_e32 v3, v4, v3
	v_div_scale_f32 v4, vcc_lo, v10, v11, v10
	s_waitcnt vmcnt(0)
	s_delay_alu instid0(VALU_DEP_1) | instskip(NEXT) | instid1(VALU_DEP_1)
	v_mul_f32_e32 v5, v4, v3
	v_fma_f32 v6, -v0, v5, v4
	s_delay_alu instid0(VALU_DEP_1) | instskip(NEXT) | instid1(VALU_DEP_1)
	v_fmac_f32_e32 v5, v6, v3
	v_fma_f32 v0, -v0, v5, v4
	s_delay_alu instid0(VALU_DEP_1) | instskip(NEXT) | instid1(VALU_DEP_1)
	v_div_fmas_f32 v0, v0, v3, v5
	v_div_fixup_f32 v0, v0, v11, v10
	global_store_b32 v[1:2], v0, off
.LBB8_24:
	s_nop 0
	s_sendmsg sendmsg(MSG_DEALLOC_VGPRS)
	s_endpgm
	.section	.rodata,"a",@progbits
	.p2align	6, 0x0
	.amdhsa_kernel _ZL33flash_attn_stream_k_fixup_generalILi40ELi4ELi8EEvPfPK15HIP_vector_typeIfLj2EEiiiiS1_IjLj3EES5_S5_S5_
		.amdhsa_group_segment_fixed_size 0
		.amdhsa_private_segment_fixed_size 0
		.amdhsa_kernarg_size 336
		.amdhsa_user_sgpr_count 13
		.amdhsa_user_sgpr_dispatch_ptr 0
		.amdhsa_user_sgpr_queue_ptr 0
		.amdhsa_user_sgpr_kernarg_segment_ptr 1
		.amdhsa_user_sgpr_dispatch_id 0
		.amdhsa_user_sgpr_private_segment_size 0
		.amdhsa_wavefront_size32 1
		.amdhsa_uses_dynamic_stack 0
		.amdhsa_enable_private_segment 0
		.amdhsa_system_sgpr_workgroup_id_x 1
		.amdhsa_system_sgpr_workgroup_id_y 1
		.amdhsa_system_sgpr_workgroup_id_z 1
		.amdhsa_system_sgpr_workgroup_info 0
		.amdhsa_system_vgpr_workitem_id 0
		.amdhsa_next_free_vgpr 19
		.amdhsa_next_free_sgpr 32
		.amdhsa_reserve_vcc 1
		.amdhsa_float_round_mode_32 0
		.amdhsa_float_round_mode_16_64 0
		.amdhsa_float_denorm_mode_32 3
		.amdhsa_float_denorm_mode_16_64 3
		.amdhsa_dx10_clamp 1
		.amdhsa_ieee_mode 1
		.amdhsa_fp16_overflow 0
		.amdhsa_workgroup_processor_mode 1
		.amdhsa_memory_ordered 1
		.amdhsa_forward_progress 0
		.amdhsa_shared_vgpr_count 0
		.amdhsa_exception_fp_ieee_invalid_op 0
		.amdhsa_exception_fp_denorm_src 0
		.amdhsa_exception_fp_ieee_div_zero 0
		.amdhsa_exception_fp_ieee_overflow 0
		.amdhsa_exception_fp_ieee_underflow 0
		.amdhsa_exception_fp_ieee_inexact 0
		.amdhsa_exception_int_div_zero 0
	.end_amdhsa_kernel
	.section	.text._ZL33flash_attn_stream_k_fixup_generalILi40ELi4ELi8EEvPfPK15HIP_vector_typeIfLj2EEiiiiS1_IjLj3EES5_S5_S5_,"axG",@progbits,_ZL33flash_attn_stream_k_fixup_generalILi40ELi4ELi8EEvPfPK15HIP_vector_typeIfLj2EEiiiiS1_IjLj3EES5_S5_S5_,comdat
.Lfunc_end8:
	.size	_ZL33flash_attn_stream_k_fixup_generalILi40ELi4ELi8EEvPfPK15HIP_vector_typeIfLj2EEiiiiS1_IjLj3EES5_S5_S5_, .Lfunc_end8-_ZL33flash_attn_stream_k_fixup_generalILi40ELi4ELi8EEvPfPK15HIP_vector_typeIfLj2EEiiiiS1_IjLj3EES5_S5_S5_
                                        ; -- End function
	.section	.AMDGPU.csdata,"",@progbits
; Kernel info:
; codeLenInByte = 3220
; NumSgprs: 34
; NumVgprs: 19
; ScratchSize: 0
; MemoryBound: 0
; FloatMode: 240
; IeeeMode: 1
; LDSByteSize: 0 bytes/workgroup (compile time only)
; SGPRBlocks: 4
; VGPRBlocks: 2
; NumSGPRsForWavesPerEU: 34
; NumVGPRsForWavesPerEU: 19
; Occupancy: 16
; WaveLimiterHint : 0
; COMPUTE_PGM_RSRC2:SCRATCH_EN: 0
; COMPUTE_PGM_RSRC2:USER_SGPR: 13
; COMPUTE_PGM_RSRC2:TRAP_HANDLER: 0
; COMPUTE_PGM_RSRC2:TGID_X_EN: 1
; COMPUTE_PGM_RSRC2:TGID_Y_EN: 1
; COMPUTE_PGM_RSRC2:TGID_Z_EN: 1
; COMPUTE_PGM_RSRC2:TIDIG_COMP_CNT: 0
	.section	.text._ZL15flash_attn_tileILi40ELi40ELi2ELi8ELb0EEvPKcS1_S1_S1_S1_PKiPfP15HIP_vector_typeIfLj2EEffffjfiS5_IjLj3EEiiiiiiiiiiiliiliiiiil,"axG",@progbits,_ZL15flash_attn_tileILi40ELi40ELi2ELi8ELb0EEvPKcS1_S1_S1_S1_PKiPfP15HIP_vector_typeIfLj2EEffffjfiS5_IjLj3EEiiiiiiiiiiiliiliiiiil,comdat
	.globl	_ZL15flash_attn_tileILi40ELi40ELi2ELi8ELb0EEvPKcS1_S1_S1_S1_PKiPfP15HIP_vector_typeIfLj2EEffffjfiS5_IjLj3EEiiiiiiiiiiiliiliiiiil ; -- Begin function _ZL15flash_attn_tileILi40ELi40ELi2ELi8ELb0EEvPKcS1_S1_S1_S1_PKiPfP15HIP_vector_typeIfLj2EEffffjfiS5_IjLj3EEiiiiiiiiiiiliiliiiiil
	.p2align	8
	.type	_ZL15flash_attn_tileILi40ELi40ELi2ELi8ELb0EEvPKcS1_S1_S1_S1_PKiPfP15HIP_vector_typeIfLj2EEffffjfiS5_IjLj3EEiiiiiiiiiiiliiliiiiil,@function
_ZL15flash_attn_tileILi40ELi40ELi2ELi8ELb0EEvPKcS1_S1_S1_S1_PKiPfP15HIP_vector_typeIfLj2EEffffjfiS5_IjLj3EEiiiiiiiiiiiliiliiiiil: ; @_ZL15flash_attn_tileILi40ELi40ELi2ELi8ELb0EEvPKcS1_S1_S1_S1_PKiPfP15HIP_vector_typeIfLj2EEffffjfiS5_IjLj3EEiiiiiiiiiiiliiliiiiil
; %bb.0:
	s_clause 0x1
	s_load_b128 s[8:11], s[0:1], 0x5c
	s_load_b64 s[34:35], s[0:1], 0x80
	s_mov_b64 s[36:37], 0
	s_waitcnt lgkmcnt(0)
	s_ashr_i32 s2, s11, 31
	s_delay_alu instid0(SALU_CYCLE_1) | instskip(NEXT) | instid1(SALU_CYCLE_1)
	s_lshr_b32 s2, s2, 29
	s_add_i32 s2, s11, s2
	s_delay_alu instid0(SALU_CYCLE_1) | instskip(NEXT) | instid1(SALU_CYCLE_1)
	s_ashr_i32 s2, s2, 3
	v_cvt_f32_u32_e32 v1, s2
	s_sub_i32 s4, 0, s2
	s_delay_alu instid0(VALU_DEP_1) | instskip(SKIP_2) | instid1(VALU_DEP_1)
	v_rcp_iflag_f32_e32 v1, v1
	s_waitcnt_depctr 0xfff
	v_mul_f32_e32 v1, 0x4f7ffffe, v1
	v_cvt_u32_f32_e32 v1, v1
	s_delay_alu instid0(VALU_DEP_1) | instskip(NEXT) | instid1(VALU_DEP_1)
	v_readfirstlane_b32 s3, v1
	s_mul_i32 s4, s4, s3
	s_delay_alu instid0(SALU_CYCLE_1) | instskip(NEXT) | instid1(SALU_CYCLE_1)
	s_mul_hi_u32 s4, s3, s4
	s_add_i32 s3, s3, s4
	s_delay_alu instid0(SALU_CYCLE_1) | instskip(NEXT) | instid1(SALU_CYCLE_1)
	s_mul_hi_u32 s3, s15, s3
	s_mul_i32 s4, s3, s2
	s_add_i32 s5, s3, 1
	s_sub_i32 s4, s15, s4
	s_delay_alu instid0(SALU_CYCLE_1)
	s_sub_i32 s6, s4, s2
	s_cmp_ge_u32 s4, s2
	s_cselect_b32 s3, s5, s3
	s_cselect_b32 s4, s6, s4
	s_add_i32 s5, s3, 1
	s_cmp_ge_u32 s4, s2
	s_cselect_b32 s33, s5, s3
	s_abs_i32 s2, s35
	s_abs_i32 s5, s11
	v_cvt_f32_u32_e32 v1, s2
	s_sub_i32 s4, 0, s2
	s_xor_b32 s6, s11, s35
	s_delay_alu instid0(SALU_CYCLE_1) | instskip(NEXT) | instid1(VALU_DEP_1)
	s_ashr_i32 s6, s6, 31
	v_rcp_iflag_f32_e32 v1, v1
	s_waitcnt_depctr 0xfff
	v_mul_f32_e32 v1, 0x4f7ffffe, v1
	s_delay_alu instid0(VALU_DEP_1) | instskip(NEXT) | instid1(VALU_DEP_1)
	v_cvt_u32_f32_e32 v1, v1
	v_readfirstlane_b32 s3, v1
	s_delay_alu instid0(VALU_DEP_1) | instskip(NEXT) | instid1(SALU_CYCLE_1)
	s_mul_i32 s4, s4, s3
	s_mul_hi_u32 s4, s3, s4
	s_delay_alu instid0(SALU_CYCLE_1) | instskip(SKIP_2) | instid1(SALU_CYCLE_1)
	s_add_i32 s3, s3, s4
	s_lshl_b32 s4, s15, 3
	s_mul_hi_u32 s3, s5, s3
	s_mul_i32 s7, s3, s2
	s_delay_alu instid0(SALU_CYCLE_1)
	s_sub_i32 s5, s5, s7
	s_add_i32 s7, s3, 1
	s_sub_i32 s12, s5, s2
	s_cmp_ge_u32 s5, s2
	s_cselect_b32 s3, s7, s3
	s_cselect_b32 s5, s12, s5
	s_add_i32 s7, s3, 1
	s_cmp_ge_u32 s5, s2
	s_mul_i32 s5, s33, s11
	s_cselect_b32 s2, s7, s3
	s_delay_alu instid0(SALU_CYCLE_1) | instskip(NEXT) | instid1(SALU_CYCLE_1)
	s_xor_b32 s2, s2, s6
	s_sub_i32 s35, s2, s6
	s_clause 0x1
	s_load_b512 s[16:31], s[0:1], 0x0
	s_load_b64 s[2:3], s[0:1], 0xb8
	s_abs_i32 s12, s35
	s_delay_alu instid0(SALU_CYCLE_1) | instskip(NEXT) | instid1(VALU_DEP_1)
	v_cvt_f32_u32_e32 v1, s12
	v_rcp_iflag_f32_e32 v1, v1
	s_waitcnt_depctr 0xfff
	v_mul_f32_e32 v1, 0x4f7ffffe, v1
	s_waitcnt lgkmcnt(0)
	s_cmp_eq_u64 s[22:23], 0
	s_delay_alu instid0(VALU_DEP_1) | instskip(NEXT) | instid1(VALU_DEP_1)
	v_cvt_u32_f32_e32 v1, v1
	v_readfirstlane_b32 s38, v1
	s_cbranch_scc1 .LBB9_2
; %bb.1:
	s_abs_i32 s2, s2
	s_abs_i32 s15, s33
	v_cvt_f32_u32_e32 v1, s2
	s_sub_i32 s7, 0, s2
	s_delay_alu instid0(VALU_DEP_1) | instskip(SKIP_2) | instid1(VALU_DEP_1)
	v_rcp_iflag_f32_e32 v1, v1
	s_waitcnt_depctr 0xfff
	v_mul_f32_e32 v1, 0x4f7ffffe, v1
	v_cvt_u32_f32_e32 v1, v1
	s_delay_alu instid0(VALU_DEP_1) | instskip(NEXT) | instid1(VALU_DEP_1)
	v_readfirstlane_b32 s6, v1
	s_mul_i32 s7, s7, s6
	s_delay_alu instid0(SALU_CYCLE_1) | instskip(NEXT) | instid1(SALU_CYCLE_1)
	s_mul_hi_u32 s7, s6, s7
	s_add_i32 s36, s6, s7
	s_load_b64 s[6:7], s[0:1], 0xc8
	s_mul_hi_u32 s36, s15, s36
	s_delay_alu instid0(SALU_CYCLE_1) | instskip(NEXT) | instid1(SALU_CYCLE_1)
	s_mul_i32 s36, s36, s2
	s_sub_i32 s15, s15, s36
	s_ashr_i32 s36, s33, 31
	s_sub_i32 s37, s15, s2
	s_cmp_ge_u32 s15, s2
	s_cselect_b32 s15, s37, s15
	s_delay_alu instid0(SALU_CYCLE_1) | instskip(SKIP_2) | instid1(SALU_CYCLE_1)
	s_sub_i32 s37, s15, s2
	s_cmp_ge_u32 s15, s2
	s_cselect_b32 s2, s37, s15
	s_xor_b32 s2, s2, s36
	s_delay_alu instid0(SALU_CYCLE_1)
	s_sub_i32 s2, s2, s36
	s_waitcnt lgkmcnt(0)
	s_mul_i32 s7, s2, s7
	s_mul_hi_u32 s15, s2, s6
	s_ashr_i32 s36, s2, 31
	s_add_i32 s7, s15, s7
	s_mul_i32 s36, s36, s6
	s_mul_i32 s2, s2, s6
	s_add_i32 s7, s7, s36
	s_add_u32 s36, s22, s2
	s_addc_u32 s37, s23, s7
.LBB9_2:
	v_bfe_u32 v7, v0, 10, 10
	s_delay_alu instid0(VALU_DEP_1) | instskip(SKIP_1) | instid1(VALU_DEP_2)
	v_lshrrev_b32_e32 v1, 2, v7
	v_lshlrev_b32_e32 v3, 1, v7
	v_lshl_add_u32 v2, s13, 1, v1
	s_delay_alu instid0(VALU_DEP_2) | instskip(NEXT) | instid1(VALU_DEP_2)
	v_and_b32_e32 v14, 6, v3
	v_mul_hi_u32 v1, s8, v2
	s_delay_alu instid0(VALU_DEP_1) | instskip(NEXT) | instid1(VALU_DEP_1)
	v_add_nc_u32_e32 v1, v2, v1
	v_lshrrev_b32_e32 v1, s9, v1
	s_sub_i32 s9, s4, s5
	s_delay_alu instid0(VALU_DEP_1) | instskip(SKIP_1) | instid1(VALU_DEP_1)
	v_mul_lo_u32 v4, v1, s10
	v_and_b32_e32 v1, 0x3ff, v0
	v_cmp_gt_u32_e64 s2, 20, v1
	v_lshlrev_b32_e32 v0, 1, v1
	s_delay_alu instid0(VALU_DEP_4) | instskip(NEXT) | instid1(VALU_DEP_3)
	v_sub_nc_u32_e32 v8, v2, v4
	s_and_saveexec_b32 s4, s2
	s_cbranch_execz .LBB9_4
; %bb.3:
	s_load_b128 s[40:43], s[0:1], 0x70
	v_or_b32_e32 v15, 1, v3
	s_delay_alu instid0(VALU_DEP_1)
	v_and_b32_e32 v16, 7, v15
	s_waitcnt lgkmcnt(0)
	s_mul_i32 s5, s33, s42
	s_mul_i32 s6, s9, s41
	s_ashr_i32 s7, s5, 31
	s_add_u32 s5, s16, s5
	s_addc_u32 s7, s17, s7
	s_ashr_i32 s8, s6, 31
	s_add_u32 s5, s5, s6
	s_addc_u32 s6, s7, s8
	s_ashr_i32 s7, s40, 31
	s_ashr_i32 s8, s41, 31
	v_alignbit_b32 v5, s7, s40, 2
	v_alignbit_b32 v11, s8, s41, 2
	s_lshr_b32 s7, s7, 2
	s_delay_alu instid0(VALU_DEP_2) | instskip(NEXT) | instid1(VALU_DEP_2)
	v_mad_u64_u32 v[3:4], null, v5, v8, 0
	v_mad_u64_u32 v[5:6], null, v11, v14, 0
	;; [unrolled: 1-line block ×3, first 2 shown]
	s_delay_alu instid0(VALU_DEP_2) | instskip(NEXT) | instid1(VALU_DEP_3)
	v_mad_u64_u32 v[11:12], null, s7, v8, v[4:5]
	v_mov_b32_e32 v4, v6
	s_lshr_b32 s7, s8, 2
	s_delay_alu instid0(VALU_DEP_3) | instskip(NEXT) | instid1(VALU_DEP_2)
	v_mov_b32_e32 v6, v10
	v_mad_u64_u32 v[12:13], null, s7, v14, v[4:5]
	s_delay_alu instid0(VALU_DEP_4) | instskip(NEXT) | instid1(VALU_DEP_3)
	v_mov_b32_e32 v4, v11
	v_mad_u64_u32 v[10:11], null, s7, v16, v[6:7]
	v_lshlrev_b32_e32 v11, 2, v0
	s_delay_alu instid0(VALU_DEP_3) | instskip(SKIP_1) | instid1(VALU_DEP_2)
	v_lshlrev_b64 v[3:4], 2, v[3:4]
	v_mov_b32_e32 v6, v12
	v_add_co_u32 v12, vcc_lo, s5, v3
	s_delay_alu instid0(VALU_DEP_3) | instskip(NEXT) | instid1(VALU_DEP_3)
	v_add_co_ci_u32_e32 v13, vcc_lo, s6, v4, vcc_lo
	v_lshlrev_b64 v[3:4], 2, v[5:6]
	s_delay_alu instid0(VALU_DEP_3) | instskip(NEXT) | instid1(VALU_DEP_3)
	v_add_co_u32 v11, vcc_lo, v12, v11
	v_add_co_ci_u32_e32 v12, vcc_lo, 0, v13, vcc_lo
	v_lshlrev_b64 v[5:6], 2, v[9:10]
	s_delay_alu instid0(VALU_DEP_3) | instskip(NEXT) | instid1(VALU_DEP_3)
	v_add_co_u32 v3, vcc_lo, v11, v3
	v_add_co_ci_u32_e32 v4, vcc_lo, v12, v4, vcc_lo
	s_load_b32 s5, s[0:1], 0x40
	s_delay_alu instid0(VALU_DEP_3) | instskip(NEXT) | instid1(VALU_DEP_4)
	v_add_co_u32 v5, vcc_lo, v11, v5
	v_add_co_ci_u32_e32 v6, vcc_lo, v12, v6, vcc_lo
	s_clause 0x1
	global_load_b64 v[3:4], v[3:4], off
	global_load_b64 v[5:6], v[5:6], off
	v_mul_u32_u24_e32 v9, 40, v7
	v_mul_u32_u24_e32 v10, 20, v15
	s_delay_alu instid0(VALU_DEP_2) | instskip(NEXT) | instid1(VALU_DEP_2)
	v_add_lshl_u32 v9, v9, v1, 2
	v_add_lshl_u32 v10, v10, v1, 2
	s_waitcnt vmcnt(1) lgkmcnt(0)
	v_fma_mixlo_f16 v3, v3, s5, 0
	s_waitcnt vmcnt(0)
	v_fma_mixlo_f16 v5, v5, s5, 0
	s_delay_alu instid0(VALU_DEP_2) | instskip(NEXT) | instid1(VALU_DEP_2)
	v_fma_mixhi_f16 v3, v4, s5, 0
	v_fma_mixhi_f16 v5, v6, s5, 0
	ds_store_b32 v9, v3 offset:3168
	ds_store_b32 v10, v5 offset:3168
.LBB9_4:
	s_or_b32 exec_lo, exec_lo, s4
	s_cmp_eq_u64 s[26:27], 0
	s_waitcnt lgkmcnt(0)
	s_barrier
	buffer_gl0_inv
	s_cbranch_scc1 .LBB9_6
; %bb.5:
	s_load_b32 s4, s[0:1], 0xd0
	s_mov_b32 s5, 0
	s_waitcnt lgkmcnt(0)
	s_mul_i32 s4, s4, s33
	s_delay_alu instid0(SALU_CYCLE_1) | instskip(NEXT) | instid1(SALU_CYCLE_1)
	s_add_i32 s4, s4, s13
	s_lshl_b64 s[4:5], s[4:5], 2
	s_delay_alu instid0(SALU_CYCLE_1)
	s_add_u32 s4, s26, s4
	s_addc_u32 s5, s27, s5
	s_load_b32 s34, s[4:5], 0x0
.LBB9_6:
	v_mbcnt_lo_u32_b32 v16, -1, 0
	s_lshl_b32 s15, s14, 5
	s_waitcnt lgkmcnt(0)
	s_cmp_lt_i32 s15, s34
	s_cbranch_scc1 .LBB9_8
; %bb.7:
	v_mbcnt_lo_u32_b32 v5, -1, 0
	v_mov_b32_e32 v18, 32
	s_mov_b32 s4, 0
	s_mov_b32 s5, 0xfeffffff
	s_delay_alu instid0(VALU_DEP_2)
	v_xor_b32_e32 v23, 16, v5
	v_xor_b32_e32 v22, 8, v5
	;; [unrolled: 1-line block ×5, first 2 shown]
	s_branch .LBB9_9
.LBB9_8:
	s_mov_b32 s4, -1
                                        ; implicit-def: $sgpr5
                                        ; implicit-def: $vgpr5
                                        ; implicit-def: $vgpr18
                                        ; implicit-def: $vgpr23
                                        ; implicit-def: $vgpr22
                                        ; implicit-def: $vgpr21
                                        ; implicit-def: $vgpr20
                                        ; implicit-def: $vgpr19
.LBB9_9:
	s_delay_alu instid0(SALU_CYCLE_1) | instskip(SKIP_2) | instid1(VALU_DEP_3)
	v_cndmask_b32_e64 v3, 0, 1, s4
	v_dual_mov_b32 v4, s5 :: v_dual_mov_b32 v17, s4
	v_dual_mov_b32 v38, s4 :: v_dual_mov_b32 v39, s4
	v_cmp_ne_u32_e32 vcc_lo, 1, v3
	v_mov_b32_e32 v3, s5
	v_mov_b32_e32 v15, s4
	s_cbranch_vccnz .LBB9_22
; %bb.10:
	s_clause 0x1
	s_load_b128 s[4:7], s[0:1], 0x98
	s_load_b64 s[22:23], s[0:1], 0x8c
	s_sub_i32 s8, 0, s12
	s_abs_i32 s13, s9
	s_mul_i32 s8, s8, s38
	s_ashr_i32 s39, s9, 31
	s_mul_hi_u32 s8, s38, s8
	s_ashr_i32 s35, s35, 31
	s_add_i32 s38, s38, s8
	s_ashr_i32 s8, s3, 1
	s_mul_hi_u32 s3, s13, s38
	s_ashr_i32 s38, s33, 31
	s_load_b64 s[26:27], s[0:1], 0xa8
	s_mul_i32 s40, s3, s12
	v_lshrrev_b32_e32 v3, 2, v1
	v_lshl_add_u32 v12, v7, 5, v1
	v_dual_mov_b32 v15, 0 :: v_dual_lshlrev_b32 v24, 2, v1
	v_mov_b32_e32 v36, 0xfeffffff
	s_delay_alu instid0(VALU_DEP_4)
	v_lshl_add_u32 v13, v7, 3, v3
	s_waitcnt lgkmcnt(0)
	s_ashr_i32 s16, s6, 2
	s_mul_i32 s5, s33, s5
	s_mul_hi_u32 s6, s33, s4
	s_ashr_i32 s17, s22, 2
	s_mul_i32 s22, s38, s4
	s_add_i32 s5, s6, s5
	s_mul_i32 s4, s33, s4
	s_add_i32 s5, s5, s22
	s_add_u32 s4, s18, s4
	s_addc_u32 s5, s19, s5
	s_sub_i32 s13, s13, s40
	s_xor_b32 s6, s39, s35
	s_add_i32 s18, s3, 1
	s_sub_i32 s19, s13, s12
	s_cmp_ge_u32 s13, s12
	v_mul_lo_u32 v3, s17, v13
	s_cselect_b32 s3, s18, s3
	s_cselect_b32 s13, s19, s13
	s_add_i32 s18, s3, 1
	s_cmp_ge_u32 s13, s12
	v_mul_lo_u32 v9, s17, v12
	s_cselect_b32 s3, s18, s3
	v_mul_lo_u32 v11, s16, v12
	s_xor_b32 s3, s3, s6
	v_mul_lo_u32 v33, s16, v13
	s_sub_i32 s3, s3, s6
	v_and_b32_e32 v17, 12, v24
	s_mul_i32 s6, s3, s23
	s_mul_i32 s12, s33, s27
	s_mul_hi_u32 s13, s33, s26
	s_ashr_i32 s19, s6, 31
	s_add_u32 s18, s4, s6
	s_mul_i32 s38, s38, s26
	s_addc_u32 s19, s5, s19
	s_add_i32 s4, s13, s12
	v_cmp_gt_u32_e32 vcc_lo, 32, v12
	v_lshlrev_b32_e32 v18, 2, v17
	v_ashrrev_i32_e32 v4, 31, v3
	v_ashrrev_i32_e32 v10, 31, v9
	v_mad_u32_u24 v28, 0x60, v12, 64
	v_mad_u32_u24 v30, 0x50, v12, 64
	v_ashrrev_i32_e32 v12, 31, v11
	v_ashrrev_i32_e32 v34, 31, v33
	s_mul_i32 s22, s33, s26
	v_lshl_add_u32 v29, v7, 7, 0x1160
	s_mul_i32 s3, s3, s7
	s_add_i32 s4, s4, s38
	s_add_u32 s5, s20, s22
	v_mad_u64_u32 v[5:6], null, v8, s8, v[1:2]
	s_addc_u32 s4, s21, s4
	s_ashr_i32 s6, s3, 31
	s_add_u32 s20, s5, s3
	v_cmp_gt_u32_e64 s3, 32, v13
	v_mul_u32_u24_e32 v26, 0xa0, v7
	v_mad_u32_u24 v27, 0x60, v13, v18
	v_mad_u32_u24 v31, 0x50, v13, v18
	v_lshlrev_b64 v[6:7], 2, v[9:10]
	v_lshlrev_b64 v[8:9], 2, v[3:4]
	;; [unrolled: 1-line block ×4, first 2 shown]
	v_mul_u32_u24_e32 v25, 0x60, v1
	v_dual_mov_b32 v18, 32 :: v_dual_lshlrev_b32 v33, 2, v17
	v_xor_b32_e32 v23, 16, v16
	v_xor_b32_e32 v22, 8, v16
	;; [unrolled: 1-line block ×5, first 2 shown]
	v_dual_mov_b32 v37, 0xfeffffff :: v_dual_add_nc_u32 v32, v29, v24
	v_dual_mov_b32 v17, 0 :: v_dual_mov_b32 v34, 0
	v_mov_b32_e32 v35, 0
	s_addc_u32 s21, s4, s6
	s_add_u32 s12, s0, 0xd0
	s_addc_u32 s13, s1, 0
.LBB9_11:                               ; =>This Inner Loop Header: Depth=1
	s_mul_hi_i32 s5, s15, s17
	s_mul_i32 s4, s15, s17
	s_delay_alu instid0(SALU_CYCLE_1) | instskip(NEXT) | instid1(SALU_CYCLE_1)
	s_lshl_b64 s[6:7], s[4:5], 2
	s_add_u32 s5, s18, s6
	s_addc_u32 s6, s19, s7
	s_and_saveexec_b32 s7, vcc_lo
	s_cbranch_execz .LBB9_13
; %bb.12:                               ;   in Loop: Header=BB9_11 Depth=1
	v_add_co_u32 v3, s4, s5, v6
	s_delay_alu instid0(VALU_DEP_1)
	v_add_co_ci_u32_e64 v4, s4, s6, v7, s4
	global_load_b128 v[38:41], v[3:4], off offset:64
	s_waitcnt vmcnt(0)
	ds_store_b128 v28, v[38:41]
.LBB9_13:                               ;   in Loop: Header=BB9_11 Depth=1
	s_or_b32 exec_lo, exec_lo, s7
	s_and_saveexec_b32 s7, s3
	s_cbranch_execz .LBB9_15
; %bb.14:                               ;   in Loop: Header=BB9_11 Depth=1
	v_add_co_u32 v3, s4, s5, v8
	s_delay_alu instid0(VALU_DEP_1) | instskip(NEXT) | instid1(VALU_DEP_2)
	v_add_co_ci_u32_e64 v4, s4, s6, v9, s4
	v_add_co_u32 v3, s4, v3, v33
	s_delay_alu instid0(VALU_DEP_1)
	v_add_co_ci_u32_e64 v4, s4, 0, v4, s4
	global_load_b128 v[38:41], v[3:4], off
	s_waitcnt vmcnt(0)
	ds_store_b128 v27, v[38:41]
.LBB9_15:                               ;   in Loop: Header=BB9_11 Depth=1
	s_or_b32 exec_lo, exec_lo, s7
	s_waitcnt lgkmcnt(0)
	s_barrier
	buffer_gl0_inv
	ds_load_b128 v[38:41], v25
	ds_load_b128 v[42:45], v26 offset:3168
	ds_load_b128 v[46:49], v26 offset:3248
	v_dual_mov_b32 v50, 0 :: v_dual_mov_b32 v51, 0
	v_add_nc_u32_e32 v3, s15, v5
	s_mul_hi_i32 s23, s15, s16
	s_mul_i32 s22, s15, s16
	s_waitcnt lgkmcnt(1)
	;;#ASMSTART
	v_dot2_f32_f16 v50, v38, v42, v50
	;;#ASMEND
	;;#ASMSTART
	v_dot2_f32_f16 v50, v39, v43, v50
	;;#ASMEND
	;; [unrolled: 3-line block ×4, first 2 shown]
	s_waitcnt lgkmcnt(0)
	;;#ASMSTART
	v_dot2_f32_f16 v51, v38, v46, v51
	;;#ASMEND
	;;#ASMSTART
	v_dot2_f32_f16 v51, v39, v47, v51
	;;#ASMEND
	;; [unrolled: 3-line block ×4, first 2 shown]
	ds_load_b128 v[38:41], v25 offset:16
	ds_load_b128 v[42:45], v26 offset:3184
	;; [unrolled: 1-line block ×3, first 2 shown]
	v_ashrrev_i32_e32 v4, 31, v3
	s_lshl_b64 s[22:23], s[22:23], 2
	s_waitcnt lgkmcnt(1)
	;;#ASMSTART
	v_dot2_f32_f16 v50, v38, v42, v50
	;;#ASMEND
	;;#ASMSTART
	v_dot2_f32_f16 v50, v39, v43, v50
	;;#ASMEND
	;; [unrolled: 3-line block ×4, first 2 shown]
	s_waitcnt lgkmcnt(0)
	;;#ASMSTART
	v_dot2_f32_f16 v51, v38, v46, v51
	;;#ASMEND
	;;#ASMSTART
	v_dot2_f32_f16 v51, v39, v47, v51
	;;#ASMEND
	;; [unrolled: 3-line block ×4, first 2 shown]
	ds_load_b128 v[38:41], v25 offset:32
	ds_load_b128 v[42:45], v26 offset:3200
	;; [unrolled: 1-line block ×3, first 2 shown]
	v_lshlrev_b64 v[3:4], 1, v[3:4]
	s_add_u32 s22, s20, s22
	s_addc_u32 s23, s21, s23
	s_waitcnt lgkmcnt(1)
	;;#ASMSTART
	v_dot2_f32_f16 v50, v38, v42, v50
	;;#ASMEND
	;;#ASMSTART
	v_dot2_f32_f16 v50, v39, v43, v50
	;;#ASMEND
	;; [unrolled: 3-line block ×4, first 2 shown]
	s_waitcnt lgkmcnt(0)
	;;#ASMSTART
	v_dot2_f32_f16 v51, v38, v46, v51
	;;#ASMEND
	;;#ASMSTART
	v_dot2_f32_f16 v51, v39, v47, v51
	;;#ASMEND
	;; [unrolled: 3-line block ×4, first 2 shown]
	ds_load_b128 v[38:41], v25 offset:48
	ds_load_b128 v[42:45], v26 offset:3216
	;; [unrolled: 1-line block ×3, first 2 shown]
	v_add_co_u32 v3, s4, s36, v3
	s_delay_alu instid0(VALU_DEP_1)
	v_add_co_ci_u32_e64 v4, s4, s37, v4, s4
	v_cmp_gt_i32_e64 s4, 32, v23
	s_waitcnt lgkmcnt(1)
	;;#ASMSTART
	v_dot2_f32_f16 v50, v38, v42, v50
	;;#ASMEND
	;;#ASMSTART
	v_dot2_f32_f16 v50, v39, v43, v50
	;;#ASMEND
	;; [unrolled: 3-line block ×4, first 2 shown]
	s_waitcnt lgkmcnt(0)
	;;#ASMSTART
	v_dot2_f32_f16 v51, v38, v46, v51
	;;#ASMEND
	;;#ASMSTART
	v_dot2_f32_f16 v51, v39, v47, v51
	;;#ASMEND
	;; [unrolled: 3-line block ×4, first 2 shown]
	ds_load_b128 v[38:41], v25 offset:64
	ds_load_b128 v[42:45], v26 offset:3232
	;; [unrolled: 1-line block ×3, first 2 shown]
	s_waitcnt lgkmcnt(1)
	;;#ASMSTART
	v_dot2_f32_f16 v50, v38, v42, v50
	;;#ASMEND
	;;#ASMSTART
	v_dot2_f32_f16 v50, v39, v43, v50
	;;#ASMEND
	;; [unrolled: 3-line block ×4, first 2 shown]
	s_waitcnt lgkmcnt(0)
	;;#ASMSTART
	v_dot2_f32_f16 v51, v38, v46, v51
	;;#ASMEND
	;;#ASMSTART
	v_dot2_f32_f16 v51, v39, v47, v51
	;;#ASMEND
	;; [unrolled: 3-line block ×4, first 2 shown]
	flat_load_u16 v3, v[3:4]
	s_waitcnt vmcnt(0) lgkmcnt(0)
	s_barrier
	buffer_gl0_inv
	v_dual_max_f32 v4, v37, v37 :: v_dual_max_f32 v41, v36, v36
	v_cvt_f32_f16_e32 v3, v3
	s_delay_alu instid0(VALU_DEP_1) | instskip(SKIP_3) | instid1(VALU_DEP_4)
	v_add_f32_e32 v38, v51, v3
	v_add_f32_e32 v39, v50, v3
	v_cndmask_b32_e64 v3, v16, v23, s4
	v_cmp_gt_i32_e64 s4, 32, v22
	v_add_f32_e32 v40, 0x40051340, v38
	s_delay_alu instid0(VALU_DEP_4) | instskip(NEXT) | instid1(VALU_DEP_2)
	v_add_f32_e32 v42, 0x40051340, v39
	v_dual_max_f32 v4, v4, v40 :: v_dual_lshlrev_b32 v3, 2, v3
	s_delay_alu instid0(VALU_DEP_2)
	v_max_f32_e32 v40, v41, v42
	v_cndmask_b32_e64 v42, v16, v22, s4
	v_cmp_gt_i32_e64 s4, 32, v21
	ds_bpermute_b32 v41, v3, v4
	ds_bpermute_b32 v3, v3, v40
	s_waitcnt lgkmcnt(1)
	v_max_f32_e32 v41, v41, v41
	s_waitcnt lgkmcnt(0)
	v_dual_max_f32 v3, v3, v3 :: v_dual_lshlrev_b32 v42, 2, v42
	s_delay_alu instid0(VALU_DEP_2) | instskip(NEXT) | instid1(VALU_DEP_2)
	v_max_f32_e32 v4, v4, v41
	v_max_f32_e32 v3, v40, v3
	ds_bpermute_b32 v40, v42, v4
	ds_bpermute_b32 v41, v42, v3
	v_cndmask_b32_e64 v42, v16, v21, s4
	v_cmp_gt_i32_e64 s4, 32, v20
	s_waitcnt lgkmcnt(0)
	v_dual_max_f32 v40, v40, v40 :: v_dual_max_f32 v41, v41, v41
	s_delay_alu instid0(VALU_DEP_1)
	v_dual_max_f32 v3, v3, v41 :: v_dual_lshlrev_b32 v42, 2, v42
	ds_bpermute_b32 v41, v42, v3
	s_waitcnt lgkmcnt(0)
	v_dual_max_f32 v4, v4, v40 :: v_dual_max_f32 v41, v41, v41
	ds_bpermute_b32 v40, v42, v4
	v_cndmask_b32_e64 v42, v16, v20, s4
	v_cmp_gt_i32_e64 s4, 32, v19
	s_delay_alu instid0(VALU_DEP_2) | instskip(SKIP_3) | instid1(VALU_DEP_1)
	v_dual_max_f32 v3, v3, v41 :: v_dual_lshlrev_b32 v42, 2, v42
	ds_bpermute_b32 v41, v42, v3
	s_waitcnt lgkmcnt(0)
	v_dual_max_f32 v40, v40, v40 :: v_dual_max_f32 v41, v41, v41
	v_dual_max_f32 v4, v4, v40 :: v_dual_max_f32 v3, v3, v41
	ds_bpermute_b32 v40, v42, v4
	v_cndmask_b32_e64 v42, v16, v19, s4
	s_delay_alu instid0(VALU_DEP_1) | instskip(SKIP_3) | instid1(VALU_DEP_1)
	v_lshlrev_b32_e32 v42, 2, v42
	ds_bpermute_b32 v41, v42, v3
	s_waitcnt lgkmcnt(0)
	v_dual_max_f32 v40, v40, v40 :: v_dual_max_f32 v41, v41, v41
	v_max_f32_e32 v3, v3, v41
	s_delay_alu instid0(VALU_DEP_1) | instskip(SKIP_1) | instid1(VALU_DEP_2)
	v_dual_sub_f32 v39, v39, v3 :: v_dual_max_f32 v4, v4, v40
	v_sub_f32_e32 v36, v36, v3
	v_mul_f32_e32 v41, 0x3fb8aa3b, v39
	ds_bpermute_b32 v40, v42, v4
	v_cmp_ngt_f32_e64 s7, 0xc2ce8ed0, v36
	v_rndne_f32_e32 v45, v41
	v_fma_f32 v44, 0x3fb8aa3b, v39, -v41
	s_delay_alu instid0(VALU_DEP_1) | instskip(NEXT) | instid1(VALU_DEP_1)
	v_dual_sub_f32 v41, v41, v45 :: v_dual_fmac_f32 v44, 0x32a5705f, v39
	v_add_f32_e32 v41, v41, v44
	s_waitcnt lgkmcnt(0)
	v_max_f32_e32 v40, v40, v40
	s_delay_alu instid0(VALU_DEP_2) | instskip(NEXT) | instid1(VALU_DEP_1)
	v_exp_f32_e32 v41, v41
	v_max_f32_e32 v4, v4, v40
	s_delay_alu instid0(VALU_DEP_1) | instskip(NEXT) | instid1(VALU_DEP_1)
	v_sub_f32_e32 v38, v38, v4
	v_dual_sub_f32 v37, v37, v4 :: v_dual_mul_f32 v40, 0x3fb8aa3b, v38
	v_cmp_ngt_f32_e64 s4, 0xc2ce8ed0, v38
	s_delay_alu instid0(VALU_DEP_2) | instskip(SKIP_1) | instid1(VALU_DEP_4)
	v_cmp_ngt_f32_e64 s6, 0xc2ce8ed0, v37
	v_cmp_nlt_f32_e64 s5, 0x42b17218, v37
	v_fma_f32 v42, 0x3fb8aa3b, v38, -v40
	v_rndne_f32_e32 v43, v40
	s_delay_alu instid0(VALU_DEP_2) | instskip(NEXT) | instid1(VALU_DEP_2)
	v_fmac_f32_e32 v42, 0x32a5705f, v38
	v_sub_f32_e32 v40, v40, v43
	s_delay_alu instid0(VALU_DEP_1) | instskip(SKIP_2) | instid1(VALU_DEP_3)
	v_add_f32_e32 v40, v40, v42
	v_cvt_i32_f32_e32 v42, v43
	v_cvt_i32_f32_e32 v43, v45
	v_exp_f32_e32 v40, v40
	s_delay_alu instid0(VALU_DEP_1) | instskip(SKIP_2) | instid1(VALU_DEP_1)
	v_ldexp_f32 v41, v41, v43
	s_waitcnt_depctr 0xfff
	v_ldexp_f32 v40, v40, v42
	v_cndmask_b32_e64 v40, 0, v40, s4
	v_cmp_ngt_f32_e64 s4, 0xc2ce8ed0, v39
	s_delay_alu instid0(VALU_DEP_1) | instskip(SKIP_1) | instid1(VALU_DEP_1)
	v_cndmask_b32_e64 v41, 0, v41, s4
	v_cmp_nlt_f32_e64 s4, 0x42b17218, v38
	v_cndmask_b32_e64 v38, 0x7f800000, v40, s4
	v_cmp_nlt_f32_e64 s4, 0x42b17218, v39
	s_delay_alu instid0(VALU_DEP_2) | instskip(NEXT) | instid1(VALU_DEP_2)
	v_cvt_f16_f32_e32 v40, v38
	v_cndmask_b32_e64 v39, 0x7f800000, v41, s4
	v_cmp_nlt_f32_e64 s4, 0x42b17218, v36
	s_delay_alu instid0(VALU_DEP_2) | instskip(NEXT) | instid1(VALU_DEP_1)
	v_cvt_f16_f32_e32 v41, v39
	v_pack_b32_f16 v40, v41, v40
	ds_store_b32 v32, v40
	s_and_saveexec_b32 s26, vcc_lo
	s_cbranch_execz .LBB9_17
; %bb.16:                               ;   in Loop: Header=BB9_11 Depth=1
	v_add_co_u32 v40, s8, s22, v10
	s_delay_alu instid0(VALU_DEP_1)
	v_add_co_ci_u32_e64 v41, s8, s23, v11, s8
	global_load_b128 v[40:43], v[40:41], off offset:64
	s_waitcnt vmcnt(0)
	ds_store_b128 v30, v[40:43]
.LBB9_17:                               ;   in Loop: Header=BB9_11 Depth=1
	s_or_b32 exec_lo, exec_lo, s26
	s_and_saveexec_b32 s26, s3
	s_cbranch_execz .LBB9_19
; %bb.18:                               ;   in Loop: Header=BB9_11 Depth=1
	v_add_co_u32 v40, s8, s22, v12
	s_delay_alu instid0(VALU_DEP_1) | instskip(NEXT) | instid1(VALU_DEP_2)
	v_add_co_ci_u32_e64 v41, s8, s23, v13, s8
	v_add_co_u32 v40, s8, v40, v33
	s_delay_alu instid0(VALU_DEP_1)
	v_add_co_ci_u32_e64 v41, s8, 0, v41, s8
	global_load_b128 v[40:43], v[40:41], off
	s_waitcnt vmcnt(0)
	ds_store_b128 v31, v[40:43]
.LBB9_19:                               ;   in Loop: Header=BB9_11 Depth=1
	s_or_b32 exec_lo, exec_lo, s26
	v_dual_mul_f32 v40, 0x3fb8aa3b, v36 :: v_dual_mul_f32 v41, 0x3fb8aa3b, v37
	s_waitcnt lgkmcnt(0)
	s_barrier
	buffer_gl0_inv
	v_fma_f32 v42, 0x3fb8aa3b, v36, -v40
	v_rndne_f32_e32 v44, v40
	v_fma_f32 v43, 0x3fb8aa3b, v37, -v41
	v_rndne_f32_e32 v45, v41
	v_add_nc_u32_e32 v56, 0x400, v24
	v_fmac_f32_e32 v42, 0x32a5705f, v36
	s_delay_alu instid0(VALU_DEP_4) | instskip(NEXT) | instid1(VALU_DEP_4)
	v_dual_sub_f32 v36, v40, v44 :: v_dual_fmac_f32 v43, 0x32a5705f, v37
	v_sub_f32_e32 v37, v41, v45
	v_cvt_i32_f32_e32 v44, v44
	v_cvt_i32_f32_e32 v45, v45
	s_delay_alu instid0(VALU_DEP_4) | instskip(NEXT) | instid1(VALU_DEP_1)
	v_add_f32_e32 v36, v36, v42
	v_exp_f32_e32 v47, v36
	s_waitcnt_depctr 0xfff
	v_ldexp_f32 v44, v47, v44
	s_delay_alu instid0(VALU_DEP_1) | instskip(NEXT) | instid1(VALU_DEP_1)
	v_cndmask_b32_e64 v44, 0, v44, s7
	v_cndmask_b32_e64 v54, 0x7f800000, v44, s4
	v_add_f32_e32 v46, v37, v43
	ds_load_2addr_b32 v[36:37], v24 offset1:20
	ds_load_b128 v[40:43], v29
	ds_load_2addr_b32 v[48:49], v24 offset0:40 offset1:60
	v_fmac_f32_e32 v39, v34, v54
	v_exp_f32_e32 v46, v46
	v_cvt_f16_f32_e32 v53, v54
	s_waitcnt_depctr 0xfff
	v_ldexp_f32 v45, v46, v45
	s_delay_alu instid0(VALU_DEP_1)
	v_cndmask_b32_e64 v50, 0, v45, s6
	s_waitcnt lgkmcnt(1)
	v_pk_mul_f16 v52, v36, v40 op_sel_hi:[1,0]
	v_pk_mul_f16 v36, v36, v40 op_sel:[0,1]
	ds_load_b128 v[44:47], v29 offset:16
	v_cndmask_b32_e64 v55, 0x7f800000, v50, s5
	ds_load_2addr_b32 v[50:51], v24 offset0:80 offset1:100
	v_pk_fma_f16 v17, v53, v17, v52 op_sel_hi:[0,1,1]
	ds_load_2addr_b32 v[52:53], v24 offset0:160 offset1:180
	v_cvt_f16_f32_e32 v40, v55
	v_fmac_f32_e32 v38, v35, v55
	v_pk_fma_f16 v17, v37, v41, v17 op_sel_hi:[1,0,1]
	s_delay_alu instid0(VALU_DEP_3) | instskip(SKIP_1) | instid1(VALU_DEP_2)
	v_pk_fma_f16 v15, v15, v40, v36 op_sel_hi:[1,0,1]
	s_waitcnt lgkmcnt(3)
	v_pk_fma_f16 v17, v48, v42, v17 op_sel_hi:[1,0,1]
	s_delay_alu instid0(VALU_DEP_2) | instskip(SKIP_3) | instid1(VALU_DEP_1)
	v_pk_fma_f16 v15, v37, v41, v15 op_sel:[0,1,0]
	ds_load_2addr_b32 v[36:37], v24 offset0:120 offset1:140
	v_pk_fma_f16 v17, v49, v43, v17 op_sel_hi:[1,0,1]
	v_pk_fma_f16 v15, v48, v42, v15 op_sel:[0,1,0]
	v_pk_fma_f16 v15, v49, v43, v15 op_sel:[0,1,0]
	ds_load_b128 v[40:43], v29 offset:32
	s_waitcnt lgkmcnt(3)
	v_pk_fma_f16 v17, v50, v44, v17 op_sel_hi:[1,0,1]
	v_pk_fma_f16 v15, v50, v44, v15 op_sel:[0,1,0]
	s_delay_alu instid0(VALU_DEP_2) | instskip(NEXT) | instid1(VALU_DEP_2)
	v_pk_fma_f16 v17, v51, v45, v17 op_sel_hi:[1,0,1]
	v_pk_fma_f16 v15, v51, v45, v15 op_sel:[0,1,0]
	ds_load_2addr_b32 v[44:45], v24 offset0:200 offset1:220
	s_waitcnt lgkmcnt(2)
	v_pk_fma_f16 v17, v36, v46, v17 op_sel_hi:[1,0,1]
	ds_load_b128 v[48:51], v29 offset:48
	v_pk_fma_f16 v15, v36, v46, v15 op_sel:[0,1,0]
	v_add_nc_u32_e32 v36, 0x200, v24
	v_pk_fma_f16 v17, v37, v47, v17 op_sel_hi:[1,0,1]
	s_delay_alu instid0(VALU_DEP_3)
	v_pk_fma_f16 v15, v37, v47, v15 op_sel:[0,1,0]
	ds_load_2addr_b32 v[36:37], v36 offset0:112 offset1:132
	s_waitcnt lgkmcnt(3)
	v_pk_fma_f16 v17, v52, v40, v17 op_sel_hi:[1,0,1]
	ds_load_2addr_b32 v[46:47], v56 offset0:24 offset1:44
	v_pk_fma_f16 v15, v52, v40, v15 op_sel:[0,1,0]
	v_pk_fma_f16 v17, v53, v41, v17 op_sel_hi:[1,0,1]
	s_delay_alu instid0(VALU_DEP_2) | instskip(SKIP_4) | instid1(VALU_DEP_2)
	v_pk_fma_f16 v15, v53, v41, v15 op_sel:[0,1,0]
	ds_load_2addr_b32 v[52:53], v56 offset0:64 offset1:84
	s_waitcnt lgkmcnt(4)
	v_pk_fma_f16 v17, v44, v42, v17 op_sel_hi:[1,0,1]
	v_pk_fma_f16 v15, v44, v42, v15 op_sel:[0,1,0]
	v_pk_fma_f16 v17, v45, v43, v17 op_sel_hi:[1,0,1]
	s_delay_alu instid0(VALU_DEP_2) | instskip(SKIP_4) | instid1(VALU_DEP_2)
	v_pk_fma_f16 v15, v45, v43, v15 op_sel:[0,1,0]
	ds_load_b128 v[40:43], v29 offset:64
	s_waitcnt lgkmcnt(3)
	v_pk_fma_f16 v17, v36, v48, v17 op_sel_hi:[1,0,1]
	v_pk_fma_f16 v15, v36, v48, v15 op_sel:[0,1,0]
	v_pk_fma_f16 v17, v37, v49, v17 op_sel_hi:[1,0,1]
	s_delay_alu instid0(VALU_DEP_2) | instskip(SKIP_4) | instid1(VALU_DEP_2)
	v_pk_fma_f16 v15, v37, v49, v15 op_sel:[0,1,0]
	ds_load_2addr_b32 v[36:37], v56 offset0:104 offset1:124
	s_waitcnt lgkmcnt(3)
	v_pk_fma_f16 v17, v46, v50, v17 op_sel_hi:[1,0,1]
	v_pk_fma_f16 v15, v46, v50, v15 op_sel:[0,1,0]
	v_pk_fma_f16 v17, v47, v51, v17 op_sel_hi:[1,0,1]
	s_delay_alu instid0(VALU_DEP_2)
	v_pk_fma_f16 v15, v47, v51, v15 op_sel:[0,1,0]
	ds_load_b128 v[44:47], v29 offset:80
	ds_load_2addr_b32 v[48:49], v56 offset0:144 offset1:164
	s_waitcnt lgkmcnt(3)
	v_pk_fma_f16 v17, v52, v40, v17 op_sel_hi:[1,0,1]
	ds_load_2addr_b32 v[50:51], v56 offset0:184 offset1:204
	v_pk_fma_f16 v15, v52, v40, v15 op_sel:[0,1,0]
	v_add_nc_u32_e32 v52, 0x800, v24
	v_pk_fma_f16 v17, v53, v41, v17 op_sel_hi:[1,0,1]
	s_delay_alu instid0(VALU_DEP_3) | instskip(SKIP_1) | instid1(VALU_DEP_2)
	v_pk_fma_f16 v15, v53, v41, v15 op_sel:[0,1,0]
	s_waitcnt lgkmcnt(3)
	v_pk_fma_f16 v17, v36, v42, v17 op_sel_hi:[1,0,1]
	s_delay_alu instid0(VALU_DEP_2) | instskip(NEXT) | instid1(VALU_DEP_2)
	v_pk_fma_f16 v15, v36, v42, v15 op_sel:[0,1,0]
	v_pk_fma_f16 v17, v37, v43, v17 op_sel_hi:[1,0,1]
	s_delay_alu instid0(VALU_DEP_2)
	v_pk_fma_f16 v15, v37, v43, v15 op_sel:[0,1,0]
	ds_load_2addr_b32 v[36:37], v56 offset0:224 offset1:244
	s_waitcnt lgkmcnt(2)
	v_pk_fma_f16 v17, v48, v44, v17 op_sel_hi:[1,0,1]
	ds_load_b128 v[40:43], v29 offset:96
	v_pk_fma_f16 v15, v48, v44, v15 op_sel:[0,1,0]
	v_pk_fma_f16 v17, v49, v45, v17 op_sel_hi:[1,0,1]
	s_delay_alu instid0(VALU_DEP_2) | instskip(SKIP_4) | instid1(VALU_DEP_2)
	v_pk_fma_f16 v15, v49, v45, v15 op_sel:[0,1,0]
	ds_load_2addr_b32 v[48:49], v52 offset0:8 offset1:28
	s_waitcnt lgkmcnt(3)
	v_pk_fma_f16 v17, v50, v46, v17 op_sel_hi:[1,0,1]
	v_pk_fma_f16 v15, v50, v46, v15 op_sel:[0,1,0]
	v_pk_fma_f16 v17, v51, v47, v17 op_sel_hi:[1,0,1]
	s_delay_alu instid0(VALU_DEP_2)
	v_pk_fma_f16 v15, v51, v47, v15 op_sel:[0,1,0]
	ds_load_b128 v[44:47], v29 offset:112
	ds_load_2addr_b32 v[50:51], v52 offset0:48 offset1:68
	ds_load_2addr_b32 v[52:53], v52 offset0:88 offset1:108
	s_waitcnt lgkmcnt(4)
	v_pk_fma_f16 v17, v36, v40, v17 op_sel_hi:[1,0,1]
	s_waitcnt lgkmcnt(0)
	v_pk_fma_f16 v15, v36, v40, v15 op_sel:[0,1,0]
	s_barrier
	buffer_gl0_inv
	v_pk_fma_f16 v17, v37, v41, v17 op_sel_hi:[1,0,1]
	s_load_b32 s4, s[12:13], 0x4
	v_pk_fma_f16 v15, v37, v41, v15 op_sel:[0,1,0]
	s_delay_alu instid0(VALU_DEP_2) | instskip(NEXT) | instid1(VALU_DEP_2)
	v_pk_fma_f16 v17, v48, v42, v17 op_sel_hi:[1,0,1]
	v_pk_fma_f16 v15, v48, v42, v15 op_sel:[0,1,0]
	s_delay_alu instid0(VALU_DEP_2) | instskip(NEXT) | instid1(VALU_DEP_2)
	v_pk_fma_f16 v17, v49, v43, v17 op_sel_hi:[1,0,1]
	;; [unrolled: 3-line block ×3, first 2 shown]
	v_pk_fma_f16 v15, v50, v44, v15 op_sel:[0,1,0]
	s_delay_alu instid0(VALU_DEP_2) | instskip(SKIP_2) | instid1(VALU_DEP_2)
	v_pk_fma_f16 v17, v51, v45, v17 op_sel_hi:[1,0,1]
	s_waitcnt lgkmcnt(0)
	s_lshl_b32 s4, s4, 5
	v_pk_fma_f16 v15, v51, v45, v15 op_sel:[0,1,0]
	s_add_i32 s15, s4, s15
	v_pk_fma_f16 v17, v52, v46, v17 op_sel_hi:[1,0,1]
	s_cmp_ge_i32 s15, s34
	s_delay_alu instid0(VALU_DEP_2) | instskip(NEXT) | instid1(VALU_DEP_2)
	v_pk_fma_f16 v15, v52, v46, v15 op_sel:[0,1,0]
	v_pk_fma_f16 v17, v53, v47, v17 op_sel_hi:[1,0,1]
	s_delay_alu instid0(VALU_DEP_2)
	v_pk_fma_f16 v15, v53, v47, v15 op_sel:[0,1,0]
	s_cbranch_scc1 .LBB9_21
; %bb.20:                               ;   in Loop: Header=BB9_11 Depth=1
	v_dual_mov_b32 v36, v3 :: v_dual_mov_b32 v37, v4
	v_dual_mov_b32 v34, v39 :: v_dual_mov_b32 v35, v38
	s_branch .LBB9_11
.LBB9_21:
	v_mov_b32_e32 v5, v16
.LBB9_22:
	v_cmp_lt_i32_e32 vcc_lo, v23, v18
	s_cmp_lg_u64 s[24:25], 0
	s_cselect_b32 s3, -1, 0
	s_cmp_eq_u32 s14, 0
	v_cndmask_b32_e32 v6, v5, v23, vcc_lo
	v_cmp_lt_i32_e32 vcc_lo, v22, v18
	s_cselect_b32 s4, -1, 0
	s_delay_alu instid0(SALU_CYCLE_1) | instskip(NEXT) | instid1(VALU_DEP_2)
	s_and_b32 s3, s4, s3
	v_lshlrev_b32_e32 v6, 2, v6
	v_cndmask_b32_e32 v8, v5, v22, vcc_lo
	v_cmp_lt_i32_e32 vcc_lo, v21, v18
	ds_bpermute_b32 v7, v6, v39
	v_lshlrev_b32_e32 v8, 2, v8
	v_cndmask_b32_e32 v10, v5, v21, vcc_lo
	v_cmp_lt_i32_e32 vcc_lo, v20, v18
	s_waitcnt lgkmcnt(0)
	s_delay_alu instid0(VALU_DEP_2)
	v_dual_add_f32 v7, v39, v7 :: v_dual_lshlrev_b32 v10, 2, v10
	ds_bpermute_b32 v6, v6, v38
	ds_bpermute_b32 v9, v8, v7
	s_waitcnt lgkmcnt(0)
	v_dual_add_f32 v7, v7, v9 :: v_dual_add_f32 v6, v38, v6
	ds_bpermute_b32 v8, v8, v6
	s_waitcnt lgkmcnt(0)
	v_add_f32_e32 v6, v6, v8
	ds_bpermute_b32 v8, v10, v7
	ds_bpermute_b32 v9, v10, v6
	v_cndmask_b32_e32 v10, v5, v20, vcc_lo
	v_cmp_lt_i32_e32 vcc_lo, v19, v18
	s_delay_alu instid0(VALU_DEP_2) | instskip(SKIP_1) | instid1(VALU_DEP_1)
	v_dual_cndmask_b32 v5, v5, v19 :: v_dual_lshlrev_b32 v10, 2, v10
	s_and_b32 vcc_lo, exec_lo, s3
	v_lshlrev_b32_e32 v5, 2, v5
	s_waitcnt lgkmcnt(0)
	v_dual_add_f32 v7, v7, v8 :: v_dual_add_f32 v6, v6, v9
	ds_bpermute_b32 v8, v10, v7
	ds_bpermute_b32 v9, v10, v6
	s_waitcnt lgkmcnt(0)
	v_dual_add_f32 v7, v7, v8 :: v_dual_add_f32 v6, v6, v9
	ds_bpermute_b32 v8, v5, v7
	ds_bpermute_b32 v9, v5, v6
	s_waitcnt lgkmcnt(0)
	v_dual_add_f32 v5, v7, v8 :: v_dual_add_f32 v6, v6, v9
	s_cbranch_vccz .LBB9_25
; %bb.23:
	v_add_nc_u32_e32 v7, s9, v14
	v_max_f32_e32 v9, v3, v3
	v_max_f32_e32 v11, v4, v4
	s_delay_alu instid0(VALU_DEP_3) | instskip(NEXT) | instid1(VALU_DEP_1)
	v_ashrrev_i32_e32 v8, 31, v7
	v_lshlrev_b64 v[7:8], 2, v[7:8]
	s_delay_alu instid0(VALU_DEP_1) | instskip(NEXT) | instid1(VALU_DEP_2)
	v_add_co_u32 v7, vcc_lo, s24, v7
	v_add_co_ci_u32_e32 v8, vcc_lo, s25, v8, vcc_lo
	global_load_b64 v[7:8], v[7:8], off
	s_waitcnt vmcnt(0)
	v_max_f32_e32 v10, v7, v7
	s_delay_alu instid0(VALU_DEP_1) | instskip(NEXT) | instid1(VALU_DEP_1)
	v_dual_max_f32 v12, v8, v8 :: v_dual_max_f32 v9, v9, v10
	v_max_f32_e32 v10, v11, v12
	s_delay_alu instid0(VALU_DEP_1) | instskip(SKIP_1) | instid1(VALU_DEP_2)
	v_dual_sub_f32 v3, v3, v9 :: v_dual_sub_f32 v8, v8, v10
	v_dual_sub_f32 v7, v7, v9 :: v_dual_sub_f32 v4, v4, v10
	v_cmp_ngt_f32_e32 vcc_lo, 0xc2ce8ed0, v3
	s_delay_alu instid0(VALU_DEP_3) | instskip(NEXT) | instid1(VALU_DEP_3)
	v_mul_f32_e32 v16, 0x3fb8aa3b, v8
	v_dual_mul_f32 v12, 0x3fb8aa3b, v7 :: v_dual_mul_f32 v13, 0x3fb8aa3b, v4
	s_delay_alu instid0(VALU_DEP_2) | instskip(NEXT) | instid1(VALU_DEP_2)
	v_fma_f32 v24, 0x3fb8aa3b, v8, -v16
	v_rndne_f32_e32 v21, v12
	v_mul_f32_e32 v11, 0x3fb8aa3b, v3
	v_fma_f32 v20, 0x3fb8aa3b, v7, -v12
	v_fma_f32 v22, 0x3fb8aa3b, v4, -v13
	v_rndne_f32_e32 v23, v13
	v_sub_f32_e32 v12, v12, v21
	v_fma_f32 v18, 0x3fb8aa3b, v3, -v11
	v_rndne_f32_e32 v19, v11
	s_delay_alu instid0(VALU_DEP_4) | instskip(SKIP_1) | instid1(VALU_DEP_4)
	v_dual_fmac_f32 v22, 0x32a5705f, v4 :: v_dual_sub_f32 v13, v13, v23
	v_fmac_f32_e32 v24, 0x32a5705f, v8
	v_fmac_f32_e32 v18, 0x32a5705f, v3
	s_delay_alu instid0(VALU_DEP_4) | instskip(SKIP_2) | instid1(VALU_DEP_3)
	v_sub_f32_e32 v11, v11, v19
	v_rndne_f32_e32 v25, v16
	v_dual_add_f32 v13, v13, v22 :: v_dual_fmac_f32 v20, 0x32a5705f, v7
	v_add_f32_e32 v11, v11, v18
	v_cvt_i32_f32_e32 v18, v19
	s_delay_alu instid0(VALU_DEP_3) | instskip(NEXT) | instid1(VALU_DEP_3)
	v_exp_f32_e32 v13, v13
	v_add_f32_e32 v12, v12, v20
	v_cvt_i32_f32_e32 v19, v21
	v_exp_f32_e32 v11, v11
	v_cvt_i32_f32_e32 v20, v23
	v_cvt_i32_f32_e32 v21, v25
	v_exp_f32_e32 v12, v12
	s_delay_alu instid0(TRANS32_DEP_3) | instid1(VALU_DEP_2)
	v_ldexp_f32 v13, v13, v20
	s_waitcnt_depctr 0xfff
	v_ldexp_f32 v11, v11, v18
	v_sub_f32_e32 v16, v16, v25
	v_ldexp_f32 v12, v12, v19
	s_delay_alu instid0(VALU_DEP_2) | instskip(SKIP_1) | instid1(VALU_DEP_2)
	v_dual_cndmask_b32 v11, 0, v11 :: v_dual_add_f32 v16, v16, v24
	v_cmp_ngt_f32_e32 vcc_lo, 0xc2ce8ed0, v7
	v_exp_f32_e32 v16, v16
	s_delay_alu instid0(VALU_DEP_3)
	v_cndmask_b32_e32 v12, 0, v12, vcc_lo
	v_cmp_ngt_f32_e32 vcc_lo, 0xc2ce8ed0, v4
	v_cndmask_b32_e32 v13, 0, v13, vcc_lo
	v_cmp_ngt_f32_e32 vcc_lo, 0xc2ce8ed0, v8
	s_waitcnt_depctr 0xfff
	v_ldexp_f32 v16, v16, v21
	s_delay_alu instid0(VALU_DEP_1) | instskip(SKIP_3) | instid1(VALU_DEP_2)
	v_cndmask_b32_e32 v16, 0, v16, vcc_lo
	v_cmp_nlt_f32_e32 vcc_lo, 0x42b17218, v3
	v_cndmask_b32_e32 v3, 0x7f800000, v11, vcc_lo
	v_cmp_nlt_f32_e32 vcc_lo, 0x42b17218, v7
	v_cvt_f16_f32_e32 v11, v3
	v_cndmask_b32_e32 v7, 0x7f800000, v12, vcc_lo
	v_cmp_nlt_f32_e32 vcc_lo, 0x42b17218, v4
	s_delay_alu instid0(VALU_DEP_3) | instskip(NEXT) | instid1(VALU_DEP_3)
	v_pk_mul_f16 v17, v17, v11 op_sel_hi:[1,0]
	v_dual_fmac_f32 v7, v5, v3 :: v_dual_cndmask_b32 v4, 0x7f800000, v13
	v_cmp_nlt_f32_e32 vcc_lo, 0x42b17218, v8
	s_delay_alu instid0(VALU_DEP_2) | instskip(NEXT) | instid1(VALU_DEP_3)
	v_mov_b32_e32 v5, v7
	v_cvt_f16_f32_e32 v12, v4
	v_cndmask_b32_e32 v8, 0x7f800000, v16, vcc_lo
	s_delay_alu instid0(VALU_DEP_2) | instskip(NEXT) | instid1(VALU_DEP_2)
	v_pk_mul_f16 v15, v15, v12 op_sel_hi:[1,0]
	v_dual_fmac_f32 v8, v6, v4 :: v_dual_mov_b32 v3, v9
	v_mov_b32_e32 v4, v10
	s_delay_alu instid0(VALU_DEP_2)
	v_mov_b32_e32 v6, v8
	s_mov_b32 s3, exec_lo
	v_cmpx_gt_i32_e64 s10, v2
	s_cbranch_execnz .LBB9_26
.LBB9_24:
	s_nop 0
	s_sendmsg sendmsg(MSG_DEALLOC_VGPRS)
	s_endpgm
.LBB9_25:
	s_delay_alu instid0(VALU_DEP_1)
	v_dual_mov_b32 v8, v6 :: v_dual_mov_b32 v7, v5
	s_mov_b32 s3, exec_lo
	v_cmpx_gt_i32_e64 s10, v2
	s_cbranch_execz .LBB9_24
.LBB9_26:
	s_load_b32 s0, s[0:1], 0xd4
	v_mov_b32_e32 v10, 1.0
	s_waitcnt lgkmcnt(0)
	s_cmp_lg_u32 s0, 1
	s_cselect_b32 s3, -1, 0
	s_cmp_eq_u32 s0, 1
	s_cselect_b32 s1, -1, 0
	s_and_b32 vcc_lo, exec_lo, s3
	s_cbranch_vccnz .LBB9_28
; %bb.27:
	v_div_scale_f32 v9, null, v5, v5, 1.0
	s_delay_alu instid0(VALU_DEP_1) | instskip(SKIP_2) | instid1(VALU_DEP_1)
	v_rcp_f32_e32 v10, v9
	s_waitcnt_depctr 0xfff
	v_fma_f32 v11, -v9, v10, 1.0
	v_fmac_f32_e32 v10, v11, v10
	v_div_scale_f32 v11, vcc_lo, 1.0, v5, 1.0
	s_delay_alu instid0(VALU_DEP_1) | instskip(NEXT) | instid1(VALU_DEP_1)
	v_mul_f32_e32 v12, v11, v10
	v_fma_f32 v13, -v9, v12, v11
	s_delay_alu instid0(VALU_DEP_1) | instskip(NEXT) | instid1(VALU_DEP_1)
	v_fmac_f32_e32 v12, v13, v10
	v_fma_f32 v9, -v9, v12, v11
	s_delay_alu instid0(VALU_DEP_1) | instskip(NEXT) | instid1(VALU_DEP_1)
	v_div_fmas_f32 v9, v9, v10, v12
	v_div_fixup_f32 v10, v9, v5, 1.0
.LBB9_28:
	v_mad_u64_u32 v[11:12], null, s33, s10, v[2:3]
	s_delay_alu instid0(VALU_DEP_1) | instskip(NEXT) | instid1(VALU_DEP_1)
	v_mul_lo_u32 v2, v11, s11
	v_add3_u32 v2, s9, v14, v2
	s_delay_alu instid0(VALU_DEP_1) | instskip(NEXT) | instid1(VALU_DEP_1)
	v_mul_lo_u32 v2, s0, v2
	v_add_nc_u32_e32 v9, s14, v2
	s_and_saveexec_b32 s4, s2
	s_cbranch_execz .LBB9_30
; %bb.29:
	s_delay_alu instid0(VALU_DEP_1) | instskip(SKIP_3) | instid1(VALU_DEP_3)
	v_mad_u64_u32 v[11:12], null, v9, 40, v[0:1]
	v_cvt_f32_f16_e32 v13, v17
	v_mov_b32_e32 v12, 0
	v_lshrrev_b32_e32 v5, 16, v17
	v_mul_f32_e32 v13, v10, v13
	s_delay_alu instid0(VALU_DEP_3) | instskip(NEXT) | instid1(VALU_DEP_3)
	v_lshlrev_b64 v[11:12], 2, v[11:12]
	v_cvt_f32_f16_e32 v5, v5
	s_delay_alu instid0(VALU_DEP_1) | instskip(NEXT) | instid1(VALU_DEP_3)
	v_mul_f32_e32 v14, v10, v5
	v_add_co_u32 v10, vcc_lo, s28, v11
	s_delay_alu instid0(VALU_DEP_4)
	v_add_co_ci_u32_e32 v11, vcc_lo, s29, v12, vcc_lo
	global_store_b64 v[10:11], v[13:14], off
.LBB9_30:
	s_or_b32 exec_lo, exec_lo, s4
	v_cmp_eq_u32_e32 vcc_lo, 0, v1
	s_and_b32 s3, vcc_lo, s3
	s_delay_alu instid0(SALU_CYCLE_1)
	s_and_saveexec_b32 s4, s3
	s_cbranch_execnz .LBB9_34
; %bb.31:
	s_or_b32 exec_lo, exec_lo, s4
	v_mov_b32_e32 v3, 1.0
	s_and_not1_b32 vcc_lo, exec_lo, s1
	s_cbranch_vccz .LBB9_35
.LBB9_32:
	v_add3_u32 v1, s14, s0, v2
	s_and_saveexec_b32 s0, s2
	s_cbranch_execnz .LBB9_36
.LBB9_33:
	s_or_b32 exec_lo, exec_lo, s0
	s_delay_alu instid0(SALU_CYCLE_1)
	s_and_b32 exec_lo, exec_lo, s3
	s_cbranch_execz .LBB9_24
	s_branch .LBB9_37
.LBB9_34:
	v_ashrrev_i32_e32 v10, 31, v9
	v_mov_b32_e32 v11, v3
	v_mov_b32_e32 v12, v7
	s_delay_alu instid0(VALU_DEP_3) | instskip(NEXT) | instid1(VALU_DEP_1)
	v_lshlrev_b64 v[9:10], 3, v[9:10]
	v_add_co_u32 v9, vcc_lo, s30, v9
	s_delay_alu instid0(VALU_DEP_2)
	v_add_co_ci_u32_e32 v10, vcc_lo, s31, v10, vcc_lo
	global_store_b64 v[9:10], v[11:12], off
	s_or_b32 exec_lo, exec_lo, s4
	v_mov_b32_e32 v3, 1.0
	s_and_not1_b32 vcc_lo, exec_lo, s1
	s_cbranch_vccnz .LBB9_32
.LBB9_35:
	v_div_scale_f32 v1, null, v6, v6, 1.0
	s_delay_alu instid0(VALU_DEP_1) | instskip(SKIP_2) | instid1(VALU_DEP_1)
	v_rcp_f32_e32 v3, v1
	s_waitcnt_depctr 0xfff
	v_fma_f32 v5, -v1, v3, 1.0
	v_fmac_f32_e32 v3, v5, v3
	v_div_scale_f32 v5, vcc_lo, 1.0, v6, 1.0
	s_delay_alu instid0(VALU_DEP_1) | instskip(NEXT) | instid1(VALU_DEP_1)
	v_mul_f32_e32 v7, v5, v3
	v_fma_f32 v9, -v1, v7, v5
	s_delay_alu instid0(VALU_DEP_1) | instskip(NEXT) | instid1(VALU_DEP_1)
	v_fmac_f32_e32 v7, v9, v3
	v_fma_f32 v1, -v1, v7, v5
	s_delay_alu instid0(VALU_DEP_1) | instskip(NEXT) | instid1(VALU_DEP_1)
	v_div_fmas_f32 v1, v1, v3, v7
	v_div_fixup_f32 v3, v1, v6, 1.0
	v_add3_u32 v1, s14, s0, v2
	s_and_saveexec_b32 s0, s2
	s_cbranch_execz .LBB9_33
.LBB9_36:
	s_delay_alu instid0(VALU_DEP_1) | instskip(SKIP_2) | instid1(VALU_DEP_2)
	v_mad_u64_u32 v[5:6], null, v1, 40, v[0:1]
	v_lshrrev_b32_e32 v0, 16, v15
	v_cvt_f32_f16_e32 v2, v15
	v_cvt_f32_f16_e32 v0, v0
	v_mov_b32_e32 v6, 0
	s_delay_alu instid0(VALU_DEP_3) | instskip(NEXT) | instid1(VALU_DEP_3)
	v_mul_f32_e32 v2, v3, v2
	v_mul_f32_e32 v3, v3, v0
	s_delay_alu instid0(VALU_DEP_3) | instskip(NEXT) | instid1(VALU_DEP_1)
	v_lshlrev_b64 v[5:6], 2, v[5:6]
	v_add_co_u32 v5, vcc_lo, s28, v5
	s_delay_alu instid0(VALU_DEP_2) | instskip(SKIP_2) | instid1(SALU_CYCLE_1)
	v_add_co_ci_u32_e32 v6, vcc_lo, s29, v6, vcc_lo
	global_store_b64 v[5:6], v[2:3], off
	s_or_b32 exec_lo, exec_lo, s0
	s_and_b32 exec_lo, exec_lo, s3
	s_cbranch_execz .LBB9_24
.LBB9_37:
	v_ashrrev_i32_e32 v2, 31, v1
	v_mov_b32_e32 v7, v4
	s_delay_alu instid0(VALU_DEP_2) | instskip(NEXT) | instid1(VALU_DEP_1)
	v_lshlrev_b64 v[0:1], 3, v[1:2]
	v_add_co_u32 v0, vcc_lo, s30, v0
	s_delay_alu instid0(VALU_DEP_2)
	v_add_co_ci_u32_e32 v1, vcc_lo, s31, v1, vcc_lo
	global_store_b64 v[0:1], v[7:8], off
	s_nop 0
	s_sendmsg sendmsg(MSG_DEALLOC_VGPRS)
	s_endpgm
	.section	.rodata,"a",@progbits
	.p2align	6, 0x0
	.amdhsa_kernel _ZL15flash_attn_tileILi40ELi40ELi2ELi8ELb0EEvPKcS1_S1_S1_S1_PKiPfP15HIP_vector_typeIfLj2EEffffjfiS5_IjLj3EEiiiiiiiiiiiliiliiiiil
		.amdhsa_group_segment_fixed_size 5472
		.amdhsa_private_segment_fixed_size 0
		.amdhsa_kernarg_size 464
		.amdhsa_user_sgpr_count 13
		.amdhsa_user_sgpr_dispatch_ptr 0
		.amdhsa_user_sgpr_queue_ptr 0
		.amdhsa_user_sgpr_kernarg_segment_ptr 1
		.amdhsa_user_sgpr_dispatch_id 0
		.amdhsa_user_sgpr_private_segment_size 0
		.amdhsa_wavefront_size32 1
		.amdhsa_uses_dynamic_stack 0
		.amdhsa_enable_private_segment 0
		.amdhsa_system_sgpr_workgroup_id_x 1
		.amdhsa_system_sgpr_workgroup_id_y 1
		.amdhsa_system_sgpr_workgroup_id_z 1
		.amdhsa_system_sgpr_workgroup_info 0
		.amdhsa_system_vgpr_workitem_id 1
		.amdhsa_next_free_vgpr 57
		.amdhsa_next_free_sgpr 44
		.amdhsa_reserve_vcc 1
		.amdhsa_float_round_mode_32 0
		.amdhsa_float_round_mode_16_64 0
		.amdhsa_float_denorm_mode_32 3
		.amdhsa_float_denorm_mode_16_64 3
		.amdhsa_dx10_clamp 1
		.amdhsa_ieee_mode 1
		.amdhsa_fp16_overflow 0
		.amdhsa_workgroup_processor_mode 1
		.amdhsa_memory_ordered 1
		.amdhsa_forward_progress 0
		.amdhsa_shared_vgpr_count 0
		.amdhsa_exception_fp_ieee_invalid_op 0
		.amdhsa_exception_fp_denorm_src 0
		.amdhsa_exception_fp_ieee_div_zero 0
		.amdhsa_exception_fp_ieee_overflow 0
		.amdhsa_exception_fp_ieee_underflow 0
		.amdhsa_exception_fp_ieee_inexact 0
		.amdhsa_exception_int_div_zero 0
	.end_amdhsa_kernel
	.section	.text._ZL15flash_attn_tileILi40ELi40ELi2ELi8ELb0EEvPKcS1_S1_S1_S1_PKiPfP15HIP_vector_typeIfLj2EEffffjfiS5_IjLj3EEiiiiiiiiiiiliiliiiiil,"axG",@progbits,_ZL15flash_attn_tileILi40ELi40ELi2ELi8ELb0EEvPKcS1_S1_S1_S1_PKiPfP15HIP_vector_typeIfLj2EEffffjfiS5_IjLj3EEiiiiiiiiiiiliiliiiiil,comdat
.Lfunc_end9:
	.size	_ZL15flash_attn_tileILi40ELi40ELi2ELi8ELb0EEvPKcS1_S1_S1_S1_PKiPfP15HIP_vector_typeIfLj2EEffffjfiS5_IjLj3EEiiiiiiiiiiiliiliiiiil, .Lfunc_end9-_ZL15flash_attn_tileILi40ELi40ELi2ELi8ELb0EEvPKcS1_S1_S1_S1_PKiPfP15HIP_vector_typeIfLj2EEffffjfiS5_IjLj3EEiiiiiiiiiiiliiliiiiil
                                        ; -- End function
	.section	.AMDGPU.csdata,"",@progbits
; Kernel info:
; codeLenInByte = 6420
; NumSgprs: 46
; NumVgprs: 57
; ScratchSize: 0
; MemoryBound: 0
; FloatMode: 240
; IeeeMode: 1
; LDSByteSize: 5472 bytes/workgroup (compile time only)
; SGPRBlocks: 5
; VGPRBlocks: 7
; NumSGPRsForWavesPerEU: 46
; NumVGPRsForWavesPerEU: 57
; Occupancy: 16
; WaveLimiterHint : 1
; COMPUTE_PGM_RSRC2:SCRATCH_EN: 0
; COMPUTE_PGM_RSRC2:USER_SGPR: 13
; COMPUTE_PGM_RSRC2:TRAP_HANDLER: 0
; COMPUTE_PGM_RSRC2:TGID_X_EN: 1
; COMPUTE_PGM_RSRC2:TGID_Y_EN: 1
; COMPUTE_PGM_RSRC2:TGID_Z_EN: 1
; COMPUTE_PGM_RSRC2:TIDIG_COMP_CNT: 1
	.section	.text._ZL25flash_attn_mask_to_KV_maxILi2EEvPK7__half2Piiii,"axG",@progbits,_ZL25flash_attn_mask_to_KV_maxILi2EEvPK7__half2Piiii,comdat
	.globl	_ZL25flash_attn_mask_to_KV_maxILi2EEvPK7__half2Piiii ; -- Begin function _ZL25flash_attn_mask_to_KV_maxILi2EEvPK7__half2Piiii
	.p2align	8
	.type	_ZL25flash_attn_mask_to_KV_maxILi2EEvPK7__half2Piiii,@function
_ZL25flash_attn_mask_to_KV_maxILi2EEvPK7__half2Piiii: ; @_ZL25flash_attn_mask_to_KV_maxILi2EEvPK7__half2Piiii
; %bb.0:
	s_load_b128 s[4:7], s[0:1], 0x0
	s_mov_b32 s2, exec_lo
	v_cmpx_gt_u32_e32 32, v0
	s_cbranch_execz .LBB10_2
; %bb.1:
	v_dual_mov_b32 v2, 1 :: v_dual_lshlrev_b32 v1, 2, v0
	ds_store_b32 v1, v2
.LBB10_2:
	s_or_b32 exec_lo, exec_lo, s2
	s_clause 0x1
	s_load_b128 s[8:11], s[0:1], 0x10
	s_load_b32 s1, s[0:1], 0x20
	v_dual_mov_b32 v2, 0 :: v_dual_and_b32 v1, 31, v0
	v_lshrrev_b32_e32 v3, 3, v0
	s_waitcnt lgkmcnt(0)
	s_barrier
	s_delay_alu instid0(VALU_DEP_2) | instskip(SKIP_4) | instid1(SALU_CYCLE_1)
	v_lshlrev_b32_e32 v4, 2, v1
	buffer_gl0_inv
	s_mul_i32 s0, s14, s9
	s_mul_i32 s2, s15, s10
	s_lshl_b32 s0, s0, 1
	s_add_i32 s2, s2, s0
	v_cmp_eq_u32_e64 s0, 0, v1
	s_ashr_i32 s3, s2, 31
	s_delay_alu instid0(SALU_CYCLE_1) | instskip(NEXT) | instid1(SALU_CYCLE_1)
	s_lshl_b64 s[10:11], s[2:3], 2
	s_add_u32 s3, s4, s10
	s_addc_u32 s4, s5, s11
	s_lshl_b32 s5, s8, 8
	s_branch .LBB10_4
.LBB10_3:                               ;   in Loop: Header=BB10_4 Depth=1
	s_or_b32 exec_lo, exec_lo, s10
	s_waitcnt lgkmcnt(0)
	s_barrier
	buffer_gl0_inv
	ds_load_b32 v1, v4
	s_waitcnt lgkmcnt(0)
	s_barrier
	buffer_gl0_inv
	;;#ASMSTART
	;;#ASMEND
	v_cmp_ne_u32_e32 vcc_lo, 0, v1
	s_cmp_lg_u32 vcc_lo, exec_lo
	s_cselect_b32 s8, -1, 0
	s_delay_alu instid0(SALU_CYCLE_1)
	s_and_b32 vcc_lo, exec_lo, s8
	s_cbranch_vccnz .LBB10_12
.LBB10_4:                               ; =>This Inner Loop Header: Depth=1
	s_mov_b32 s2, s5
	s_addk_i32 s5, 0xff00
	s_delay_alu instid0(SALU_CYCLE_1)
	s_cmp_lt_i32 s5, 0
	s_cbranch_scc1 .LBB10_11
; %bb.5:                                ;   in Loop: Header=BB10_4 Depth=1
	s_lshr_b32 s8, s5, 1
	s_mov_b32 s10, 0
	v_add_nc_u32_e32 v1, s8, v0
	s_delay_alu instid0(VALU_DEP_1) | instskip(NEXT) | instid1(VALU_DEP_1)
	v_lshlrev_b64 v[5:6], 2, v[1:2]
	v_add_co_u32 v5, vcc_lo, s3, v5
	s_delay_alu instid0(VALU_DEP_2) | instskip(SKIP_4) | instid1(VALU_DEP_2)
	v_add_co_ci_u32_e32 v6, vcc_lo, s4, v6, vcc_lo
	global_load_b32 v5, v[5:6], off
	s_waitcnt vmcnt(0)
	v_lshrrev_b32_e32 v6, 16, v5
	v_cmp_class_f16_e64 s8, v5, 0x204
	v_and_b32_e32 v6, 0x7fff, v6
	s_delay_alu instid0(VALU_DEP_1) | instskip(NEXT) | instid1(VALU_DEP_3)
	v_cmp_eq_f16_e32 vcc_lo, 0x7c00, v6
	s_and_b32 s11, s8, vcc_lo
	s_delay_alu instid0(SALU_CYCLE_1)
	s_and_saveexec_b32 s8, s11
	s_cbranch_execz .LBB10_9
; %bb.6:                                ;   in Loop: Header=BB10_4 Depth=1
	v_add_nc_u32_e32 v5, s9, v1
	s_delay_alu instid0(VALU_DEP_1) | instskip(NEXT) | instid1(VALU_DEP_1)
	v_ashrrev_i32_e32 v6, 31, v5
	v_lshlrev_b64 v[5:6], 2, v[5:6]
	s_delay_alu instid0(VALU_DEP_1) | instskip(NEXT) | instid1(VALU_DEP_2)
	v_add_co_u32 v5, vcc_lo, s3, v5
	v_add_co_ci_u32_e32 v6, vcc_lo, s4, v6, vcc_lo
	global_load_b32 v1, v[5:6], off
	s_waitcnt vmcnt(0)
	v_cmp_class_f16_e64 s12, v1, 0x204
	s_delay_alu instid0(VALU_DEP_1)
	s_and_saveexec_b32 s11, s12
; %bb.7:                                ;   in Loop: Header=BB10_4 Depth=1
	v_lshrrev_b32_e32 v1, 16, v1
	s_delay_alu instid0(VALU_DEP_1) | instskip(NEXT) | instid1(VALU_DEP_1)
	v_cmp_class_f16_e64 s10, v1, 0x204
	s_and_b32 s10, s10, exec_lo
; %bb.8:                                ;   in Loop: Header=BB10_4 Depth=1
	s_or_b32 exec_lo, exec_lo, s11
	s_delay_alu instid0(SALU_CYCLE_1)
	s_and_b32 s10, s10, exec_lo
.LBB10_9:                               ;   in Loop: Header=BB10_4 Depth=1
	s_or_b32 exec_lo, exec_lo, s8
	v_cndmask_b32_e64 v1, 0, 1, s10
	;;#ASMSTART
	;;#ASMEND
	s_delay_alu instid0(VALU_DEP_1)
	v_cmp_ne_u32_e32 vcc_lo, 0, v1
	s_mov_b32 s8, exec_lo
	s_and_saveexec_b32 s10, s0
	s_cbranch_execz .LBB10_3
; %bb.10:                               ;   in Loop: Header=BB10_4 Depth=1
	s_cmp_eq_u32 vcc_lo, s8
	s_cselect_b32 s8, -1, 0
	s_delay_alu instid0(SALU_CYCLE_1)
	v_cndmask_b32_e64 v1, 0, 1, s8
	ds_store_b32 v3, v1
	s_branch .LBB10_3
.LBB10_11:                              ;   in Loop: Header=BB10_4 Depth=1
                                        ; implicit-def: $sgpr5
	s_cbranch_execz .LBB10_4
.LBB10_12:
	s_mov_b32 s0, exec_lo
	v_cmpx_eq_u32_e32 0, v0
	s_cbranch_execz .LBB10_14
; %bb.13:
	s_mul_i32 s0, s1, s15
	v_dual_mov_b32 v0, 0 :: v_dual_mov_b32 v1, s2
	s_add_i32 s0, s0, s14
	s_delay_alu instid0(SALU_CYCLE_1) | instskip(NEXT) | instid1(SALU_CYCLE_1)
	s_ashr_i32 s1, s0, 31
	s_lshl_b64 s[0:1], s[0:1], 2
	s_delay_alu instid0(SALU_CYCLE_1)
	s_add_u32 s0, s6, s0
	s_addc_u32 s1, s7, s1
	global_store_b32 v0, v1, s[0:1]
.LBB10_14:
	s_nop 0
	s_sendmsg sendmsg(MSG_DEALLOC_VGPRS)
	s_endpgm
	.section	.rodata,"a",@progbits
	.p2align	6, 0x0
	.amdhsa_kernel _ZL25flash_attn_mask_to_KV_maxILi2EEvPK7__half2Piiii
		.amdhsa_group_segment_fixed_size 128
		.amdhsa_private_segment_fixed_size 0
		.amdhsa_kernarg_size 288
		.amdhsa_user_sgpr_count 14
		.amdhsa_user_sgpr_dispatch_ptr 0
		.amdhsa_user_sgpr_queue_ptr 0
		.amdhsa_user_sgpr_kernarg_segment_ptr 1
		.amdhsa_user_sgpr_dispatch_id 0
		.amdhsa_user_sgpr_private_segment_size 0
		.amdhsa_wavefront_size32 1
		.amdhsa_uses_dynamic_stack 0
		.amdhsa_enable_private_segment 0
		.amdhsa_system_sgpr_workgroup_id_x 1
		.amdhsa_system_sgpr_workgroup_id_y 1
		.amdhsa_system_sgpr_workgroup_id_z 0
		.amdhsa_system_sgpr_workgroup_info 0
		.amdhsa_system_vgpr_workitem_id 0
		.amdhsa_next_free_vgpr 7
		.amdhsa_next_free_sgpr 16
		.amdhsa_reserve_vcc 1
		.amdhsa_float_round_mode_32 0
		.amdhsa_float_round_mode_16_64 0
		.amdhsa_float_denorm_mode_32 3
		.amdhsa_float_denorm_mode_16_64 3
		.amdhsa_dx10_clamp 1
		.amdhsa_ieee_mode 1
		.amdhsa_fp16_overflow 0
		.amdhsa_workgroup_processor_mode 1
		.amdhsa_memory_ordered 1
		.amdhsa_forward_progress 0
		.amdhsa_shared_vgpr_count 0
		.amdhsa_exception_fp_ieee_invalid_op 0
		.amdhsa_exception_fp_denorm_src 0
		.amdhsa_exception_fp_ieee_div_zero 0
		.amdhsa_exception_fp_ieee_overflow 0
		.amdhsa_exception_fp_ieee_underflow 0
		.amdhsa_exception_fp_ieee_inexact 0
		.amdhsa_exception_int_div_zero 0
	.end_amdhsa_kernel
	.section	.text._ZL25flash_attn_mask_to_KV_maxILi2EEvPK7__half2Piiii,"axG",@progbits,_ZL25flash_attn_mask_to_KV_maxILi2EEvPK7__half2Piiii,comdat
.Lfunc_end10:
	.size	_ZL25flash_attn_mask_to_KV_maxILi2EEvPK7__half2Piiii, .Lfunc_end10-_ZL25flash_attn_mask_to_KV_maxILi2EEvPK7__half2Piiii
                                        ; -- End function
	.section	.AMDGPU.csdata,"",@progbits
; Kernel info:
; codeLenInByte = 584
; NumSgprs: 18
; NumVgprs: 7
; ScratchSize: 0
; MemoryBound: 0
; FloatMode: 240
; IeeeMode: 1
; LDSByteSize: 128 bytes/workgroup (compile time only)
; SGPRBlocks: 2
; VGPRBlocks: 0
; NumSGPRsForWavesPerEU: 18
; NumVGPRsForWavesPerEU: 7
; Occupancy: 16
; WaveLimiterHint : 0
; COMPUTE_PGM_RSRC2:SCRATCH_EN: 0
; COMPUTE_PGM_RSRC2:USER_SGPR: 14
; COMPUTE_PGM_RSRC2:TRAP_HANDLER: 0
; COMPUTE_PGM_RSRC2:TGID_X_EN: 1
; COMPUTE_PGM_RSRC2:TGID_Y_EN: 1
; COMPUTE_PGM_RSRC2:TGID_Z_EN: 0
; COMPUTE_PGM_RSRC2:TIDIG_COMP_CNT: 0
	.section	.text._ZL33flash_attn_stream_k_fixup_uniformILi40ELi2ELi8EEvPfPK15HIP_vector_typeIfLj2EEiiiiiiS1_IjLj3EES5_S5_,"axG",@progbits,_ZL33flash_attn_stream_k_fixup_uniformILi40ELi2ELi8EEvPfPK15HIP_vector_typeIfLj2EEiiiiiiS1_IjLj3EES5_S5_,comdat
	.globl	_ZL33flash_attn_stream_k_fixup_uniformILi40ELi2ELi8EEvPfPK15HIP_vector_typeIfLj2EEiiiiiiS1_IjLj3EES5_S5_ ; -- Begin function _ZL33flash_attn_stream_k_fixup_uniformILi40ELi2ELi8EEvPfPK15HIP_vector_typeIfLj2EEiiiiiiS1_IjLj3EES5_S5_
	.p2align	8
	.type	_ZL33flash_attn_stream_k_fixup_uniformILi40ELi2ELi8EEvPfPK15HIP_vector_typeIfLj2EEiiiiiiS1_IjLj3EES5_S5_,@function
_ZL33flash_attn_stream_k_fixup_uniformILi40ELi2ELi8EEvPfPK15HIP_vector_typeIfLj2EEiiiiiiS1_IjLj3EES5_S5_: ; @_ZL33flash_attn_stream_k_fixup_uniformILi40ELi2ELi8EEvPfPK15HIP_vector_typeIfLj2EEiiiiiiS1_IjLj3EES5_S5_
; %bb.0:
	s_clause 0x1
	s_load_b256 s[4:11], s[0:1], 0x1c
	s_load_b128 s[16:19], s[0:1], 0x3c
	s_waitcnt lgkmcnt(0)
	s_mul_hi_u32 s2, s7, s13
	s_delay_alu instid0(SALU_CYCLE_1) | instskip(NEXT) | instid1(SALU_CYCLE_1)
	s_add_i32 s2, s13, s2
	s_lshr_b32 s2, s2, s8
	s_delay_alu instid0(SALU_CYCLE_1) | instskip(SKIP_2) | instid1(SALU_CYCLE_1)
	s_mul_i32 s3, s2, s9
	s_load_b64 s[8:9], s[0:1], 0x10
	s_sub_i32 s3, s13, s3
	s_mul_hi_u32 s7, s3, s10
	s_delay_alu instid0(SALU_CYCLE_1) | instskip(NEXT) | instid1(SALU_CYCLE_1)
	s_add_i32 s7, s3, s7
	s_lshr_b32 s7, s7, s11
	s_delay_alu instid0(SALU_CYCLE_1) | instskip(NEXT) | instid1(SALU_CYCLE_1)
	s_mul_i32 s10, s7, s16
	s_sub_i32 s3, s3, s10
	s_delay_alu instid0(SALU_CYCLE_1) | instskip(NEXT) | instid1(SALU_CYCLE_1)
	s_mul_hi_u32 s10, s3, s17
	s_add_i32 s10, s3, s10
	s_delay_alu instid0(SALU_CYCLE_1) | instskip(NEXT) | instid1(SALU_CYCLE_1)
	s_lshr_b32 s11, s10, s18
	s_mul_i32 s10, s11, s19
	s_lshl_b32 s11, s11, 3
	s_sub_i32 s10, s3, s10
	s_delay_alu instid0(SALU_CYCLE_1) | instskip(NEXT) | instid1(SALU_CYCLE_1)
	s_lshl_b32 s3, s10, 1
	s_add_i32 s3, s3, s14
	s_waitcnt lgkmcnt(0)
	s_cmp_lt_i32 s3, s8
	s_cselect_b32 s3, -1, 0
	s_add_i32 s11, s11, s15
	s_delay_alu instid0(SALU_CYCLE_1) | instskip(SKIP_1) | instid1(SALU_CYCLE_1)
	s_cmp_lt_i32 s11, s5
	s_cselect_b32 s12, -1, 0
	s_and_b32 s3, s3, s12
	s_delay_alu instid0(SALU_CYCLE_1)
	s_and_not1_b32 vcc_lo, exec_lo, s3
	s_cbranch_vccnz .LBB11_6
; %bb.1:
	s_mul_i32 s8, s2, s8
	s_mul_i32 s7, s7, s5
	s_add_i32 s8, s8, s14
	s_add_i32 s5, s11, s7
	s_mul_i32 s8, s8, s9
	s_load_b128 s[0:3], s[0:1], 0x0
	s_mul_i32 s7, s9, s10
	s_add_i32 s5, s5, s8
	s_mulk_i32 s7, 0x50
	s_mul_i32 s5, s5, 40
	s_lshl_b32 s9, s14, 3
	v_add3_u32 v1, s5, s7, v0
	s_mul_i32 s5, s13, s6
	s_delay_alu instid0(SALU_CYCLE_1) | instskip(NEXT) | instid1(VALU_DEP_1)
	s_add_i32 s10, s5, s6
	v_ashrrev_i32_e32 v2, 31, v1
	s_delay_alu instid0(VALU_DEP_1) | instskip(SKIP_1) | instid1(VALU_DEP_1)
	v_lshlrev_b64 v[1:2], 2, v[1:2]
	s_waitcnt lgkmcnt(0)
	v_add_co_u32 v1, vcc_lo, s0, v1
	s_delay_alu instid0(VALU_DEP_2) | instskip(SKIP_4) | instid1(SALU_CYCLE_1)
	v_add_co_ci_u32_e32 v2, vcc_lo, s1, v2, vcc_lo
	s_add_i32 s0, s9, s15
	s_lshl_b32 s1, s10, 4
	global_load_b32 v5, v[1:2], off
	s_add_i32 s0, s0, s1
	s_add_i32 s0, s0, -16
	s_delay_alu instid0(SALU_CYCLE_1) | instskip(NEXT) | instid1(SALU_CYCLE_1)
	s_ashr_i32 s1, s0, 31
	s_lshl_b64 s[0:1], s[0:1], 3
	s_delay_alu instid0(SALU_CYCLE_1)
	s_add_u32 s0, s2, s0
	s_addc_u32 s1, s3, s1
	s_add_i32 s7, s10, -2
	s_load_b32 s11, s[0:1], 0x4
	s_cmp_lt_i32 s7, s5
	s_cbranch_scc1 .LBB11_4
; %bb.2:
	s_load_b32 s12, s[0:1], 0x0
	s_lshl_b32 s16, s4, 6
	s_mulk_i32 s14, 0x140
	s_ashr_i32 s17, s16, 31
	s_waitcnt lgkmcnt(0)
	v_mov_b32_e32 v6, s11
	s_lshl_b64 s[0:1], s[16:17], 2
	s_delay_alu instid0(SALU_CYCLE_1)
	s_add_u32 s7, s2, s0
	s_addc_u32 s8, s3, s1
	s_add_i32 s13, s13, 1
	s_lshl_b32 s4, s4, 4
	s_mul_i32 s0, s6, s13
	s_mul_i32 s6, s15, 40
	s_lshl_b32 s1, s0, 4
	s_mulk_i32 s0, 0x280
	s_add_i32 s6, s6, s14
	s_add_i32 s1, s15, s1
	;; [unrolled: 1-line block ×4, first 2 shown]
	v_add3_u32 v3, s6, v0, 0xfffffb00
	v_mov_b32_e32 v0, s12
	s_add_i32 s0, s0, s9
	s_add_i32 s4, s10, -1
	s_sub_i32 s0, s0, 32
.LBB11_3:                               ; =>This Inner Loop Header: Depth=1
	s_delay_alu instid0(VALU_DEP_2) | instskip(SKIP_1) | instid1(SALU_CYCLE_1)
	v_ashrrev_i32_e32 v4, 31, v3
	s_ashr_i32 s1, s0, 31
	s_lshl_b64 s[10:11], s[0:1], 3
	s_delay_alu instid0(SALU_CYCLE_1) | instskip(NEXT) | instid1(VALU_DEP_1)
	s_add_u32 s10, s2, s10
	v_lshlrev_b64 v[7:8], 2, v[3:4]
	s_addc_u32 s11, s3, s11
	s_add_i32 s4, s4, -1
	s_add_i32 s0, s0, -16
	s_cmp_le_i32 s4, s5
	s_load_b64 s[10:11], s[10:11], 0x0
	v_add_co_u32 v7, vcc_lo, s7, v7
	v_add_co_ci_u32_e32 v8, vcc_lo, s8, v8, vcc_lo
	global_load_b32 v4, v[7:8], off
	v_max_f32_e32 v7, v0, v0
	s_waitcnt lgkmcnt(0)
	v_max_f32_e64 v8, s10, s10
	s_delay_alu instid0(VALU_DEP_1) | instskip(NEXT) | instid1(VALU_DEP_1)
	v_max_f32_e32 v7, v7, v8
	v_sub_f32_e32 v8, s10, v7
	s_delay_alu instid0(VALU_DEP_1) | instskip(NEXT) | instid1(VALU_DEP_1)
	v_dual_sub_f32 v0, v0, v7 :: v_dual_mul_f32 v9, 0x3fb8aa3b, v8
	v_fma_f32 v10, 0x3fb8aa3b, v8, -v9
	v_rndne_f32_e32 v11, v9
	s_delay_alu instid0(VALU_DEP_3) | instskip(NEXT) | instid1(VALU_DEP_2)
	v_mul_f32_e32 v12, 0x3fb8aa3b, v0
	v_dual_fmac_f32 v10, 0x32a5705f, v8 :: v_dual_sub_f32 v9, v9, v11
	v_cvt_i32_f32_e32 v11, v11
	s_delay_alu instid0(VALU_DEP_3) | instskip(SKIP_1) | instid1(VALU_DEP_4)
	v_fma_f32 v13, 0x3fb8aa3b, v0, -v12
	v_rndne_f32_e32 v14, v12
	v_add_f32_e32 v9, v9, v10
	v_cmp_ngt_f32_e32 vcc_lo, 0xc2ce8ed0, v8
	s_delay_alu instid0(VALU_DEP_3) | instskip(NEXT) | instid1(VALU_DEP_3)
	v_sub_f32_e32 v10, v12, v14
	v_exp_f32_e32 v9, v9
	s_waitcnt_depctr 0xfff
	v_ldexp_f32 v9, v9, v11
	v_cvt_i32_f32_e32 v11, v14
	s_delay_alu instid0(VALU_DEP_2) | instskip(SKIP_1) | instid1(VALU_DEP_2)
	v_cndmask_b32_e32 v9, 0, v9, vcc_lo
	v_cmp_nlt_f32_e32 vcc_lo, 0x42b17218, v8
	v_cndmask_b32_e32 v9, 0x7f800000, v9, vcc_lo
	v_cmp_ngt_f32_e32 vcc_lo, 0xc2ce8ed0, v0
	v_fmac_f32_e32 v13, 0x32a5705f, v0
	s_delay_alu instid0(VALU_DEP_1) | instskip(NEXT) | instid1(VALU_DEP_1)
	v_add_f32_e32 v10, v10, v13
	v_exp_f32_e32 v10, v10
	s_waitcnt_depctr 0xfff
	v_ldexp_f32 v10, v10, v11
	s_delay_alu instid0(VALU_DEP_1)
	v_dual_mov_b32 v11, v6 :: v_dual_cndmask_b32 v10, 0, v10
	v_cmp_le_f32_e32 vcc_lo, 0xc1a00000, v8
	s_waitcnt vmcnt(1)
	v_dual_cndmask_b32 v8, 0, v9 :: v_dual_mov_b32 v9, v5
	v_cmp_nlt_f32_e32 vcc_lo, 0x42b17218, v0
	v_cndmask_b32_e32 v5, 0x7f800000, v10, vcc_lo
	s_delay_alu instid0(VALU_DEP_3) | instskip(SKIP_2) | instid1(VALU_DEP_3)
	v_mul_f32_e32 v10, s11, v8
	v_cmp_le_f32_e32 vcc_lo, 0xc1a00000, v0
	v_mov_b32_e32 v0, v7
	v_mov_b32_e32 v6, v10
	s_waitcnt vmcnt(0)
	v_dual_cndmask_b32 v12, 0, v5 :: v_dual_mul_f32 v5, v4, v8
	s_delay_alu instid0(VALU_DEP_1) | instskip(NEXT) | instid1(VALU_DEP_2)
	v_dual_fmac_f32 v6, v11, v12 :: v_dual_add_nc_u32 v3, 0xfffffd80, v3
	v_fmac_f32_e32 v5, v9, v12
	s_cbranch_scc0 .LBB11_3
	s_branch .LBB11_5
.LBB11_4:
	s_waitcnt lgkmcnt(0)
	v_mov_b32_e32 v6, s11
.LBB11_5:
	s_waitcnt vmcnt(0)
	s_delay_alu instid0(VALU_DEP_1) | instskip(NEXT) | instid1(VALU_DEP_1)
	v_div_scale_f32 v0, null, v6, v6, v5
	v_rcp_f32_e32 v3, v0
	s_waitcnt_depctr 0xfff
	v_fma_f32 v4, -v0, v3, 1.0
	s_delay_alu instid0(VALU_DEP_1) | instskip(SKIP_1) | instid1(VALU_DEP_1)
	v_fmac_f32_e32 v3, v4, v3
	v_div_scale_f32 v4, vcc_lo, v5, v6, v5
	v_mul_f32_e32 v7, v4, v3
	s_delay_alu instid0(VALU_DEP_1) | instskip(NEXT) | instid1(VALU_DEP_1)
	v_fma_f32 v8, -v0, v7, v4
	v_fmac_f32_e32 v7, v8, v3
	s_delay_alu instid0(VALU_DEP_1) | instskip(NEXT) | instid1(VALU_DEP_1)
	v_fma_f32 v0, -v0, v7, v4
	v_div_fmas_f32 v0, v0, v3, v7
	s_delay_alu instid0(VALU_DEP_1)
	v_div_fixup_f32 v0, v0, v6, v5
	global_store_b32 v[1:2], v0, off
.LBB11_6:
	s_nop 0
	s_sendmsg sendmsg(MSG_DEALLOC_VGPRS)
	s_endpgm
	.section	.rodata,"a",@progbits
	.p2align	6, 0x0
	.amdhsa_kernel _ZL33flash_attn_stream_k_fixup_uniformILi40ELi2ELi8EEvPfPK15HIP_vector_typeIfLj2EEiiiiiiS1_IjLj3EES5_S5_
		.amdhsa_group_segment_fixed_size 0
		.amdhsa_private_segment_fixed_size 0
		.amdhsa_kernarg_size 76
		.amdhsa_user_sgpr_count 13
		.amdhsa_user_sgpr_dispatch_ptr 0
		.amdhsa_user_sgpr_queue_ptr 0
		.amdhsa_user_sgpr_kernarg_segment_ptr 1
		.amdhsa_user_sgpr_dispatch_id 0
		.amdhsa_user_sgpr_private_segment_size 0
		.amdhsa_wavefront_size32 1
		.amdhsa_uses_dynamic_stack 0
		.amdhsa_enable_private_segment 0
		.amdhsa_system_sgpr_workgroup_id_x 1
		.amdhsa_system_sgpr_workgroup_id_y 1
		.amdhsa_system_sgpr_workgroup_id_z 1
		.amdhsa_system_sgpr_workgroup_info 0
		.amdhsa_system_vgpr_workitem_id 0
		.amdhsa_next_free_vgpr 15
		.amdhsa_next_free_sgpr 20
		.amdhsa_reserve_vcc 1
		.amdhsa_float_round_mode_32 0
		.amdhsa_float_round_mode_16_64 0
		.amdhsa_float_denorm_mode_32 3
		.amdhsa_float_denorm_mode_16_64 3
		.amdhsa_dx10_clamp 1
		.amdhsa_ieee_mode 1
		.amdhsa_fp16_overflow 0
		.amdhsa_workgroup_processor_mode 1
		.amdhsa_memory_ordered 1
		.amdhsa_forward_progress 0
		.amdhsa_shared_vgpr_count 0
		.amdhsa_exception_fp_ieee_invalid_op 0
		.amdhsa_exception_fp_denorm_src 0
		.amdhsa_exception_fp_ieee_div_zero 0
		.amdhsa_exception_fp_ieee_overflow 0
		.amdhsa_exception_fp_ieee_underflow 0
		.amdhsa_exception_fp_ieee_inexact 0
		.amdhsa_exception_int_div_zero 0
	.end_amdhsa_kernel
	.section	.text._ZL33flash_attn_stream_k_fixup_uniformILi40ELi2ELi8EEvPfPK15HIP_vector_typeIfLj2EEiiiiiiS1_IjLj3EES5_S5_,"axG",@progbits,_ZL33flash_attn_stream_k_fixup_uniformILi40ELi2ELi8EEvPfPK15HIP_vector_typeIfLj2EEiiiiiiS1_IjLj3EES5_S5_,comdat
.Lfunc_end11:
	.size	_ZL33flash_attn_stream_k_fixup_uniformILi40ELi2ELi8EEvPfPK15HIP_vector_typeIfLj2EEiiiiiiS1_IjLj3EES5_S5_, .Lfunc_end11-_ZL33flash_attn_stream_k_fixup_uniformILi40ELi2ELi8EEvPfPK15HIP_vector_typeIfLj2EEiiiiiiS1_IjLj3EES5_S5_
                                        ; -- End function
	.section	.AMDGPU.csdata,"",@progbits
; Kernel info:
; codeLenInByte = 988
; NumSgprs: 22
; NumVgprs: 15
; ScratchSize: 0
; MemoryBound: 0
; FloatMode: 240
; IeeeMode: 1
; LDSByteSize: 0 bytes/workgroup (compile time only)
; SGPRBlocks: 2
; VGPRBlocks: 1
; NumSGPRsForWavesPerEU: 22
; NumVGPRsForWavesPerEU: 15
; Occupancy: 16
; WaveLimiterHint : 0
; COMPUTE_PGM_RSRC2:SCRATCH_EN: 0
; COMPUTE_PGM_RSRC2:USER_SGPR: 13
; COMPUTE_PGM_RSRC2:TRAP_HANDLER: 0
; COMPUTE_PGM_RSRC2:TGID_X_EN: 1
; COMPUTE_PGM_RSRC2:TGID_Y_EN: 1
; COMPUTE_PGM_RSRC2:TGID_Z_EN: 1
; COMPUTE_PGM_RSRC2:TIDIG_COMP_CNT: 0
	.section	.text._ZL33flash_attn_stream_k_fixup_generalILi40ELi2ELi8EEvPfPK15HIP_vector_typeIfLj2EEiiiiS1_IjLj3EES5_S5_S5_,"axG",@progbits,_ZL33flash_attn_stream_k_fixup_generalILi40ELi2ELi8EEvPfPK15HIP_vector_typeIfLj2EEiiiiS1_IjLj3EES5_S5_S5_,comdat
	.globl	_ZL33flash_attn_stream_k_fixup_generalILi40ELi2ELi8EEvPfPK15HIP_vector_typeIfLj2EEiiiiS1_IjLj3EES5_S5_S5_ ; -- Begin function _ZL33flash_attn_stream_k_fixup_generalILi40ELi2ELi8EEvPfPK15HIP_vector_typeIfLj2EEiiiiS1_IjLj3EES5_S5_S5_
	.p2align	8
	.type	_ZL33flash_attn_stream_k_fixup_generalILi40ELi2ELi8EEvPfPK15HIP_vector_typeIfLj2EEiiiiS1_IjLj3EES5_S5_S5_,@function
_ZL33flash_attn_stream_k_fixup_generalILi40ELi2ELi8EEvPfPK15HIP_vector_typeIfLj2EEiiiiS1_IjLj3EES5_S5_S5_: ; @_ZL33flash_attn_stream_k_fixup_generalILi40ELi2ELi8EEvPfPK15HIP_vector_typeIfLj2EEiiiiS1_IjLj3EES5_S5_S5_
; %bb.0:
	s_clause 0x1
	s_load_b128 s[4:7], s[0:1], 0x10
	s_load_b32 s20, s[0:1], 0x50
	s_mov_b32 s2, 0
	s_waitcnt lgkmcnt(0)
	s_mul_hi_i32 s3, s7, s13
	s_mul_i32 s12, s7, s13
	s_cmp_lg_u64 s[2:3], 0
	s_cbranch_scc0 .LBB12_21
; %bb.1:
	v_cvt_f32_ubyte0_e32 v1, 0
	v_cvt_f32_u32_e32 v2, s20
	s_sub_u32 s10, 0, s20
	s_subb_u32 s11, 0, 0
	s_delay_alu instid0(VALU_DEP_1) | instskip(NEXT) | instid1(VALU_DEP_1)
	v_fmamk_f32 v1, v1, 0x4f800000, v2
	v_rcp_f32_e32 v1, v1
	s_waitcnt_depctr 0xfff
	v_mul_f32_e32 v1, 0x5f7ffffc, v1
	s_delay_alu instid0(VALU_DEP_1) | instskip(NEXT) | instid1(VALU_DEP_1)
	v_mul_f32_e32 v2, 0x2f800000, v1
	v_trunc_f32_e32 v2, v2
	s_delay_alu instid0(VALU_DEP_1) | instskip(SKIP_1) | instid1(VALU_DEP_2)
	v_fmamk_f32 v1, v2, 0xcf800000, v1
	v_cvt_u32_f32_e32 v2, v2
	v_cvt_u32_f32_e32 v1, v1
	s_delay_alu instid0(VALU_DEP_2) | instskip(NEXT) | instid1(VALU_DEP_2)
	v_readfirstlane_b32 s8, v2
	v_readfirstlane_b32 s9, v1
	s_delay_alu instid0(VALU_DEP_2) | instskip(NEXT) | instid1(VALU_DEP_1)
	s_mul_i32 s16, s10, s8
	s_mul_hi_u32 s18, s10, s9
	s_mul_i32 s17, s11, s9
	s_add_i32 s16, s18, s16
	s_mul_i32 s19, s10, s9
	s_add_i32 s16, s16, s17
	s_mul_hi_u32 s18, s9, s19
	s_mul_hi_u32 s21, s8, s19
	s_mul_i32 s17, s8, s19
	s_mul_hi_u32 s19, s9, s16
	s_mul_i32 s9, s9, s16
	s_mul_hi_u32 s22, s8, s16
	s_add_u32 s9, s18, s9
	s_addc_u32 s18, 0, s19
	s_add_u32 s9, s9, s17
	s_mul_i32 s16, s8, s16
	s_addc_u32 s9, s18, s21
	s_addc_u32 s17, s22, 0
	s_add_u32 s9, s9, s16
	s_addc_u32 s16, 0, s17
	v_add_co_u32 v1, s9, v1, s9
	s_delay_alu instid0(VALU_DEP_1) | instskip(SKIP_1) | instid1(VALU_DEP_1)
	s_cmp_lg_u32 s9, 0
	s_addc_u32 s8, s8, s16
	v_readfirstlane_b32 s9, v1
	s_mul_i32 s16, s10, s8
	s_delay_alu instid0(VALU_DEP_1)
	s_mul_hi_u32 s17, s10, s9
	s_mul_i32 s11, s11, s9
	s_add_i32 s16, s17, s16
	s_mul_i32 s10, s10, s9
	s_add_i32 s16, s16, s11
	s_mul_hi_u32 s17, s8, s10
	s_mul_i32 s18, s8, s10
	s_mul_hi_u32 s10, s9, s10
	s_mul_hi_u32 s19, s9, s16
	s_mul_i32 s9, s9, s16
	s_mul_hi_u32 s11, s8, s16
	s_add_u32 s9, s10, s9
	s_addc_u32 s10, 0, s19
	s_add_u32 s9, s9, s18
	s_mul_i32 s16, s8, s16
	s_addc_u32 s9, s10, s17
	s_addc_u32 s10, s11, 0
	s_add_u32 s9, s9, s16
	s_addc_u32 s10, 0, s10
	v_add_co_u32 v1, s9, v1, s9
	s_delay_alu instid0(VALU_DEP_1) | instskip(SKIP_2) | instid1(SALU_CYCLE_1)
	s_cmp_lg_u32 s9, 0
	s_addc_u32 s16, s8, s10
	s_ashr_i32 s8, s3, 31
	s_add_u32 s10, s12, s8
	s_addc_u32 s11, s3, s8
	v_readfirstlane_b32 s3, v1
	s_mov_b32 s9, s8
	s_delay_alu instid0(SALU_CYCLE_1) | instskip(NEXT) | instid1(SALU_CYCLE_1)
	s_xor_b64 s[10:11], s[10:11], s[8:9]
	s_mul_i32 s18, s10, s16
	s_delay_alu instid0(VALU_DEP_1)
	s_mul_hi_u32 s19, s10, s3
	s_mul_hi_u32 s17, s10, s16
	;; [unrolled: 1-line block ×3, first 2 shown]
	s_mul_i32 s3, s11, s3
	s_add_u32 s18, s19, s18
	s_addc_u32 s17, 0, s17
	s_mul_hi_u32 s21, s11, s16
	s_add_u32 s3, s18, s3
	s_mul_i32 s16, s11, s16
	s_addc_u32 s3, s17, s22
	s_addc_u32 s17, s21, 0
	s_add_u32 s3, s3, s16
	s_addc_u32 s16, 0, s17
	s_mul_i32 s18, s20, s3
	s_add_u32 s17, s3, 1
	v_sub_co_u32 v1, s10, s10, s18
	s_mul_hi_u32 s18, s20, s3
	s_addc_u32 s19, s16, 0
	s_mul_i32 s21, s20, s16
	s_delay_alu instid0(VALU_DEP_1)
	v_sub_co_u32 v2, s22, v1, s20
	s_add_u32 s23, s3, 2
	s_addc_u32 s24, s16, 0
	s_add_i32 s18, s18, s21
	s_cmp_lg_u32 s10, 0
	v_readfirstlane_b32 s10, v2
	s_subb_u32 s11, s11, s18
	s_cmp_lg_u32 s22, 0
	s_subb_u32 s18, s11, 0
	s_delay_alu instid0(VALU_DEP_1) | instskip(SKIP_4) | instid1(SALU_CYCLE_1)
	s_cmp_ge_u32 s10, s20
	s_cselect_b32 s10, -1, 0
	s_cmp_eq_u32 s18, 0
	v_readfirstlane_b32 s18, v1
	s_cselect_b32 s10, s10, -1
	s_cmp_lg_u32 s10, 0
	s_cselect_b32 s10, s23, s17
	s_cselect_b32 s17, s24, s19
	s_cmp_ge_u32 s18, s20
	s_cselect_b32 s18, -1, 0
	s_cmp_eq_u32 s11, 0
	s_cselect_b32 s11, s18, -1
	s_delay_alu instid0(SALU_CYCLE_1) | instskip(SKIP_2) | instid1(SALU_CYCLE_1)
	s_cmp_lg_u32 s11, 0
	s_cselect_b32 s11, s17, s16
	s_cselect_b32 s10, s10, s3
	s_xor_b64 s[10:11], s[10:11], s[8:9]
	s_delay_alu instid0(SALU_CYCLE_1)
	s_sub_u32 s16, s10, s8
	s_load_b128 s[8:11], s[0:1], 0x44
	s_and_not1_b32 vcc_lo, exec_lo, s2
	s_cbranch_vccnz .LBB12_3
.LBB12_2:
	v_cvt_f32_u32_e32 v1, s20
	s_sub_i32 s3, 0, s20
	s_delay_alu instid0(VALU_DEP_1) | instskip(SKIP_2) | instid1(VALU_DEP_1)
	v_rcp_iflag_f32_e32 v1, v1
	s_waitcnt_depctr 0xfff
	v_mul_f32_e32 v1, 0x4f7ffffe, v1
	v_cvt_u32_f32_e32 v1, v1
	s_delay_alu instid0(VALU_DEP_1) | instskip(NEXT) | instid1(VALU_DEP_1)
	v_readfirstlane_b32 s2, v1
	s_mul_i32 s3, s3, s2
	s_delay_alu instid0(SALU_CYCLE_1) | instskip(NEXT) | instid1(SALU_CYCLE_1)
	s_mul_hi_u32 s3, s2, s3
	s_add_i32 s2, s2, s3
	s_delay_alu instid0(SALU_CYCLE_1) | instskip(NEXT) | instid1(SALU_CYCLE_1)
	s_mul_hi_u32 s2, s12, s2
	s_mul_i32 s3, s2, s20
	s_waitcnt lgkmcnt(0)
	s_add_i32 s11, s2, 1
	s_sub_i32 s3, s12, s3
	s_delay_alu instid0(SALU_CYCLE_1)
	s_sub_i32 s12, s3, s20
	s_cmp_ge_u32 s3, s20
	s_cselect_b32 s2, s11, s2
	s_cselect_b32 s3, s12, s3
	s_add_i32 s11, s2, 1
	s_cmp_ge_u32 s3, s20
	s_cselect_b32 s16, s11, s2
.LBB12_3:
	s_waitcnt lgkmcnt(0)
	s_add_i32 s11, s13, 1
	s_mov_b32 s2, 0
	s_mul_hi_i32 s3, s7, s11
	s_mul_i32 s11, s7, s11
	s_cmp_lg_u64 s[2:3], 0
	s_cbranch_scc0 .LBB12_22
; %bb.4:
	v_cvt_f32_ubyte0_e32 v1, 0
	v_cvt_f32_u32_e32 v2, s20
	s_sub_u32 s18, 0, s20
	s_subb_u32 s19, 0, 0
	s_delay_alu instid0(VALU_DEP_1) | instskip(NEXT) | instid1(VALU_DEP_1)
	v_fmamk_f32 v1, v1, 0x4f800000, v2
	v_rcp_f32_e32 v1, v1
	s_waitcnt_depctr 0xfff
	v_mul_f32_e32 v1, 0x5f7ffffc, v1
	s_delay_alu instid0(VALU_DEP_1) | instskip(NEXT) | instid1(VALU_DEP_1)
	v_mul_f32_e32 v2, 0x2f800000, v1
	v_trunc_f32_e32 v2, v2
	s_delay_alu instid0(VALU_DEP_1) | instskip(SKIP_1) | instid1(VALU_DEP_2)
	v_fmamk_f32 v1, v2, 0xcf800000, v1
	v_cvt_u32_f32_e32 v2, v2
	v_cvt_u32_f32_e32 v1, v1
	s_delay_alu instid0(VALU_DEP_2) | instskip(NEXT) | instid1(VALU_DEP_2)
	v_readfirstlane_b32 s12, v2
	v_readfirstlane_b32 s17, v1
	s_delay_alu instid0(VALU_DEP_2) | instskip(NEXT) | instid1(VALU_DEP_1)
	s_mul_i32 s21, s18, s12
	s_mul_hi_u32 s23, s18, s17
	s_mul_i32 s22, s19, s17
	s_add_i32 s21, s23, s21
	s_mul_i32 s24, s18, s17
	s_add_i32 s21, s21, s22
	s_mul_hi_u32 s23, s17, s24
	s_mul_hi_u32 s25, s12, s24
	s_mul_i32 s22, s12, s24
	s_mul_hi_u32 s24, s17, s21
	s_mul_i32 s17, s17, s21
	s_mul_hi_u32 s26, s12, s21
	s_add_u32 s17, s23, s17
	s_addc_u32 s23, 0, s24
	s_add_u32 s17, s17, s22
	s_mul_i32 s21, s12, s21
	s_addc_u32 s17, s23, s25
	s_addc_u32 s22, s26, 0
	s_add_u32 s17, s17, s21
	s_addc_u32 s21, 0, s22
	v_add_co_u32 v1, s17, v1, s17
	s_delay_alu instid0(VALU_DEP_1) | instskip(SKIP_1) | instid1(VALU_DEP_1)
	s_cmp_lg_u32 s17, 0
	s_addc_u32 s12, s12, s21
	v_readfirstlane_b32 s17, v1
	s_mul_i32 s21, s18, s12
	s_delay_alu instid0(VALU_DEP_1)
	s_mul_hi_u32 s22, s18, s17
	s_mul_i32 s19, s19, s17
	s_add_i32 s21, s22, s21
	s_mul_i32 s18, s18, s17
	s_add_i32 s21, s21, s19
	s_mul_hi_u32 s22, s12, s18
	s_mul_i32 s23, s12, s18
	s_mul_hi_u32 s18, s17, s18
	s_mul_hi_u32 s24, s17, s21
	s_mul_i32 s17, s17, s21
	s_mul_hi_u32 s19, s12, s21
	s_add_u32 s17, s18, s17
	s_addc_u32 s18, 0, s24
	s_add_u32 s17, s17, s23
	s_mul_i32 s21, s12, s21
	s_addc_u32 s17, s18, s22
	s_addc_u32 s18, s19, 0
	s_add_u32 s17, s17, s21
	s_addc_u32 s18, 0, s18
	v_add_co_u32 v1, s17, v1, s17
	s_delay_alu instid0(VALU_DEP_1) | instskip(SKIP_2) | instid1(SALU_CYCLE_1)
	s_cmp_lg_u32 s17, 0
	s_addc_u32 s12, s12, s18
	s_ashr_i32 s18, s3, 31
	s_add_u32 s22, s11, s18
	s_addc_u32 s23, s3, s18
	v_readfirstlane_b32 s3, v1
	s_mov_b32 s19, s18
	s_delay_alu instid0(SALU_CYCLE_1) | instskip(NEXT) | instid1(SALU_CYCLE_1)
	s_xor_b64 s[22:23], s[22:23], s[18:19]
	s_mul_i32 s21, s22, s12
	s_delay_alu instid0(VALU_DEP_1)
	s_mul_hi_u32 s24, s22, s3
	s_mul_hi_u32 s17, s22, s12
	s_mul_hi_u32 s26, s23, s3
	s_mul_i32 s3, s23, s3
	s_add_u32 s21, s24, s21
	s_addc_u32 s17, 0, s17
	s_mul_hi_u32 s25, s23, s12
	s_add_u32 s3, s21, s3
	s_mul_i32 s12, s23, s12
	s_addc_u32 s3, s17, s26
	s_addc_u32 s17, s25, 0
	s_add_u32 s3, s3, s12
	s_addc_u32 s12, 0, s17
	s_mul_i32 s21, s20, s3
	s_add_u32 s17, s3, 1
	v_sub_co_u32 v1, s21, s22, s21
	s_mul_hi_u32 s22, s20, s3
	s_addc_u32 s24, s12, 0
	s_mul_i32 s25, s20, s12
	s_delay_alu instid0(VALU_DEP_1)
	v_sub_co_u32 v2, s26, v1, s20
	s_add_u32 s27, s3, 2
	s_addc_u32 s28, s12, 0
	s_add_i32 s22, s22, s25
	s_cmp_lg_u32 s21, 0
	v_readfirstlane_b32 s21, v2
	s_subb_u32 s22, s23, s22
	s_cmp_lg_u32 s26, 0
	s_subb_u32 s23, s22, 0
	s_delay_alu instid0(VALU_DEP_1) | instskip(SKIP_4) | instid1(SALU_CYCLE_1)
	s_cmp_ge_u32 s21, s20
	s_cselect_b32 s21, -1, 0
	s_cmp_eq_u32 s23, 0
	v_readfirstlane_b32 s23, v1
	s_cselect_b32 s21, s21, -1
	s_cmp_lg_u32 s21, 0
	s_cselect_b32 s17, s27, s17
	s_cselect_b32 s21, s28, s24
	s_cmp_ge_u32 s23, s20
	s_cselect_b32 s23, -1, 0
	s_cmp_eq_u32 s22, 0
	s_cselect_b32 s22, s23, -1
	s_delay_alu instid0(SALU_CYCLE_1) | instskip(SKIP_2) | instid1(SALU_CYCLE_1)
	s_cmp_lg_u32 s22, 0
	s_cselect_b32 s23, s21, s12
	s_cselect_b32 s22, s17, s3
	s_xor_b64 s[22:23], s[22:23], s[18:19]
	s_delay_alu instid0(SALU_CYCLE_1)
	s_sub_u32 s18, s22, s18
	s_and_not1_b32 vcc_lo, exec_lo, s2
	s_cbranch_vccnz .LBB12_6
.LBB12_5:
	v_cvt_f32_u32_e32 v1, s20
	s_sub_i32 s3, 0, s20
	s_delay_alu instid0(VALU_DEP_1) | instskip(SKIP_2) | instid1(VALU_DEP_1)
	v_rcp_iflag_f32_e32 v1, v1
	s_waitcnt_depctr 0xfff
	v_mul_f32_e32 v1, 0x4f7ffffe, v1
	v_cvt_u32_f32_e32 v1, v1
	s_delay_alu instid0(VALU_DEP_1) | instskip(NEXT) | instid1(VALU_DEP_1)
	v_readfirstlane_b32 s2, v1
	s_mul_i32 s3, s3, s2
	s_delay_alu instid0(SALU_CYCLE_1) | instskip(NEXT) | instid1(SALU_CYCLE_1)
	s_mul_hi_u32 s3, s2, s3
	s_add_i32 s2, s2, s3
	s_delay_alu instid0(SALU_CYCLE_1) | instskip(NEXT) | instid1(SALU_CYCLE_1)
	s_mul_hi_u32 s2, s11, s2
	s_mul_i32 s3, s2, s20
	s_delay_alu instid0(SALU_CYCLE_1)
	s_sub_i32 s3, s11, s3
	s_add_i32 s11, s2, 1
	s_sub_i32 s12, s3, s20
	s_cmp_ge_u32 s3, s20
	s_cselect_b32 s2, s11, s2
	s_cselect_b32 s3, s12, s3
	s_add_i32 s11, s2, 1
	s_cmp_ge_u32 s3, s20
	s_cselect_b32 s18, s11, s2
.LBB12_6:
	s_delay_alu instid0(SALU_CYCLE_1) | instskip(SKIP_3) | instid1(SALU_CYCLE_1)
	s_cmp_eq_u32 s16, s18
	s_mul_hi_u32 s2, s16, s8
	s_cselect_b32 s3, -1, 0
	s_add_i32 s2, s2, s16
	s_lshr_b32 s11, s2, s9
	s_delay_alu instid0(SALU_CYCLE_1) | instskip(NEXT) | instid1(SALU_CYCLE_1)
	s_mul_i32 s2, s11, s10
	s_cmp_eq_u32 s2, s16
	s_mul_hi_u32 s2, s18, s8
	s_cselect_b32 s12, -1, 0
	s_add_i32 s2, s2, s18
	s_delay_alu instid0(SALU_CYCLE_1) | instskip(NEXT) | instid1(SALU_CYCLE_1)
	s_lshr_b32 s2, s2, s9
	s_cmp_eq_u32 s11, s2
	s_mul_i32 s2, s2, s10
	s_cselect_b32 s17, -1, 0
	s_cmp_lg_u32 s2, s18
	s_cselect_b32 s2, -1, 0
	s_or_b32 s3, s3, s12
	s_and_b32 s2, s17, s2
	s_delay_alu instid0(SALU_CYCLE_1) | instskip(NEXT) | instid1(SALU_CYCLE_1)
	s_or_b32 s2, s3, s2
	s_and_b32 vcc_lo, exec_lo, s2
	s_cbranch_vccnz .LBB12_24
; %bb.7:
	s_load_b256 s[24:31], s[0:1], 0x20
	s_waitcnt lgkmcnt(0)
	s_mul_hi_u32 s2, s16, s24
	s_delay_alu instid0(SALU_CYCLE_1) | instskip(NEXT) | instid1(SALU_CYCLE_1)
	s_add_i32 s2, s2, s16
	s_lshr_b32 s17, s2, s25
	s_load_b32 s2, s[0:1], 0x40
	s_mul_i32 s3, s17, s26
	s_delay_alu instid0(SALU_CYCLE_1) | instskip(NEXT) | instid1(SALU_CYCLE_1)
	s_sub_i32 s3, s16, s3
	s_mul_hi_u32 s12, s3, s27
	s_delay_alu instid0(SALU_CYCLE_1) | instskip(NEXT) | instid1(SALU_CYCLE_1)
	s_add_i32 s12, s3, s12
	s_lshr_b32 s19, s12, s28
	s_delay_alu instid0(SALU_CYCLE_1) | instskip(NEXT) | instid1(SALU_CYCLE_1)
	s_mul_i32 s12, s19, s29
	s_sub_i32 s3, s3, s12
	s_delay_alu instid0(SALU_CYCLE_1) | instskip(NEXT) | instid1(SALU_CYCLE_1)
	s_mul_hi_u32 s12, s3, s30
	s_add_i32 s12, s3, s12
	s_delay_alu instid0(SALU_CYCLE_1)
	s_lshr_b32 s12, s12, s31
	s_waitcnt lgkmcnt(0)
	s_mul_i32 s2, s12, s2
	s_lshl_b32 s21, s12, 3
	s_sub_i32 s2, s3, s2
	s_mov_b32 s12, 0
	s_mul_hi_u32 s3, s2, s8
	s_delay_alu instid0(SALU_CYCLE_1) | instskip(NEXT) | instid1(SALU_CYCLE_1)
	s_add_i32 s2, s2, s3
	s_lshr_b32 s18, s2, s9
	s_delay_alu instid0(SALU_CYCLE_1) | instskip(NEXT) | instid1(SALU_CYCLE_1)
	s_lshl_b32 s2, s18, 1
	s_add_i32 s2, s2, s14
	s_delay_alu instid0(SALU_CYCLE_1) | instskip(SKIP_2) | instid1(SALU_CYCLE_1)
	s_cmp_lt_i32 s2, s4
	s_cselect_b32 s2, -1, 0
	s_add_i32 s21, s21, s15
	s_cmp_lt_i32 s21, s6
	s_cselect_b32 s3, -1, 0
	s_delay_alu instid0(SALU_CYCLE_1) | instskip(NEXT) | instid1(SALU_CYCLE_1)
	s_and_b32 s2, s2, s3
	s_and_not1_b32 vcc_lo, exec_lo, s2
	s_cbranch_vccnz .LBB12_24
; %bb.8:
	s_load_b128 s[0:3], s[0:1], 0x0
	s_lshl_b32 s22, s20, 6
	s_mov_b32 s23, s12
	s_lshl_b32 s24, s14, 3
	s_lshl_b64 s[22:23], s[22:23], 2
	s_mul_i32 s19, s19, s6
	s_mul_i32 s4, s17, s4
	s_add_i32 s6, s24, s15
	v_cvt_f32_ubyte0_e32 v3, 0
	v_cvt_f32_u32_e32 v4, s20
	s_waitcnt lgkmcnt(0)
	s_add_u32 s15, s2, s22
	s_addc_u32 s17, s3, s23
	s_add_i32 s4, s4, s14
	s_add_i32 s14, s21, s19
	s_mul_i32 s4, s4, s5
	s_mul_i32 s5, s5, s18
	s_add_i32 s4, s14, s4
	s_mulk_i32 s5, 0x50
	s_mul_i32 s4, s4, 40
	s_delay_alu instid0(SALU_CYCLE_1) | instskip(NEXT) | instid1(VALU_DEP_1)
	v_add3_u32 v1, s5, s4, v0
	v_ashrrev_i32_e32 v2, 31, v1
	s_delay_alu instid0(VALU_DEP_1) | instskip(NEXT) | instid1(VALU_DEP_1)
	v_lshlrev_b64 v[1:2], 2, v[1:2]
	v_add_co_u32 v1, vcc_lo, s0, v1
	s_delay_alu instid0(VALU_DEP_2) | instskip(SKIP_1) | instid1(SALU_CYCLE_1)
	v_add_co_ci_u32_e32 v2, vcc_lo, s1, v2, vcc_lo
	s_lshl_b32 s0, s13, 4
	s_add_i32 s0, s6, s0
	global_load_b32 v5, v[1:2], off
	s_ashr_i32 s1, s0, 31
	s_delay_alu instid0(SALU_CYCLE_1) | instskip(NEXT) | instid1(SALU_CYCLE_1)
	s_lshl_b64 s[0:1], s[0:1], 3
	s_add_u32 s0, s2, s0
	s_addc_u32 s1, s3, s1
	s_add_i32 s18, s13, -1
	s_load_b64 s[0:1], s[0:1], 0x0
	v_fmac_f32_e32 v4, 0x4f800000, v3
	s_sub_i32 s14, 0, s20
	s_delay_alu instid0(VALU_DEP_1)
	v_rcp_f32_e32 v3, v4
	s_waitcnt_depctr 0xfff
	v_mul_f32_e32 v6, 0x5f7ffffc, v3
	v_cvt_f32_u32_e32 v3, s20
	s_waitcnt lgkmcnt(0)
	v_mov_b32_e32 v8, s0
	s_delay_alu instid0(VALU_DEP_3) | instskip(NEXT) | instid1(VALU_DEP_3)
	v_mul_f32_e32 v4, 0x2f800000, v6
	v_rcp_iflag_f32_e32 v7, v3
	s_delay_alu instid0(VALU_DEP_1) | instskip(SKIP_1) | instid1(VALU_DEP_2)
	v_trunc_f32_e32 v9, v4
	v_mad_u64_u32 v[3:4], null, s6, 40, v[0:1]
	v_fmac_f32_e32 v6, 0xcf800000, v9
	s_waitcnt_depctr 0xfff
	v_dual_mul_f32 v10, 0x4f7ffffe, v7 :: v_dual_mov_b32 v7, s1
	v_cvt_u32_f32_e32 v4, v9
	v_cvt_u32_f32_e32 v0, v6
	s_delay_alu instid0(VALU_DEP_3)
	v_cvt_u32_f32_e32 v6, v10
.LBB12_9:                               ; =>This Inner Loop Header: Depth=1
	s_mul_hi_i32 s13, s18, s7
	s_mul_i32 s4, s18, s7
	s_cmp_lg_u64 s[12:13], 0
	s_mov_b32 s5, -1
                                        ; implicit-def: $sgpr0_sgpr1
	s_cbranch_scc0 .LBB12_11
; %bb.10:                               ;   in Loop: Header=BB12_9 Depth=1
	v_readfirstlane_b32 s0, v0
	v_readfirstlane_b32 s1, v4
	s_sub_u32 s5, 0, s20
	s_subb_u32 s19, 0, 0
	s_delay_alu instid0(VALU_DEP_2) | instskip(NEXT) | instid1(VALU_DEP_1)
	s_mul_hi_u32 s21, s5, s0
	s_mul_i32 s22, s5, s1
	s_mul_i32 s23, s19, s0
	s_add_i32 s21, s21, s22
	s_mul_i32 s22, s5, s0
	s_add_i32 s21, s21, s23
	s_mul_hi_u32 s23, s0, s22
	s_mul_i32 s24, s0, s21
	s_mul_hi_u32 s0, s0, s21
	s_add_u32 s23, s23, s24
	s_mul_i32 s25, s1, s22
	s_addc_u32 s0, 0, s0
	s_mul_hi_u32 s22, s1, s22
	s_mul_hi_u32 s24, s1, s21
	s_add_u32 s23, s23, s25
	s_addc_u32 s0, s0, s22
	s_mul_i32 s21, s1, s21
	s_addc_u32 s22, s24, 0
	s_add_u32 s0, s0, s21
	s_addc_u32 s21, 0, s22
	v_add_co_u32 v9, s0, v0, s0
	s_delay_alu instid0(VALU_DEP_1) | instskip(SKIP_1) | instid1(VALU_DEP_1)
	s_cmp_lg_u32 s0, 0
	s_addc_u32 s1, s1, s21
	v_readfirstlane_b32 s0, v9
	s_mul_i32 s21, s5, s1
	s_delay_alu instid0(VALU_DEP_1)
	s_mul_hi_u32 s22, s5, s0
	s_mul_i32 s19, s19, s0
	s_add_i32 s21, s22, s21
	s_mul_i32 s5, s5, s0
	s_add_i32 s21, s21, s19
	s_mul_hi_u32 s19, s1, s5
	s_mul_i32 s23, s1, s5
	s_mul_i32 s24, s0, s21
	s_mul_hi_u32 s5, s0, s5
	s_mul_hi_u32 s0, s0, s21
	s_add_u32 s5, s5, s24
	s_addc_u32 s0, 0, s0
	s_mul_hi_u32 s22, s1, s21
	s_add_u32 s5, s5, s23
	s_addc_u32 s0, s0, s19
	s_mul_i32 s5, s1, s21
	s_addc_u32 s19, s22, 0
	s_add_u32 s0, s0, s5
	s_addc_u32 s5, 0, s19
	v_add_co_u32 v9, s0, v9, s0
	s_delay_alu instid0(VALU_DEP_1) | instskip(SKIP_2) | instid1(SALU_CYCLE_1)
	s_cmp_lg_u32 s0, 0
	s_addc_u32 s5, s1, s5
	s_ashr_i32 s0, s13, 31
	s_add_u32 s22, s4, s0
	s_addc_u32 s23, s13, s0
	v_readfirstlane_b32 s13, v9
	s_mov_b32 s1, s0
	s_delay_alu instid0(SALU_CYCLE_1) | instskip(NEXT) | instid1(SALU_CYCLE_1)
	s_xor_b64 s[22:23], s[22:23], s[0:1]
	s_mul_i32 s19, s22, s5
	s_delay_alu instid0(VALU_DEP_1)
	s_mul_hi_u32 s21, s22, s13
	s_mul_hi_u32 s24, s22, s5
	s_add_u32 s19, s21, s19
	s_mul_i32 s25, s23, s13
	s_addc_u32 s21, 0, s24
	s_mul_hi_u32 s13, s23, s13
	s_mul_hi_u32 s24, s23, s5
	s_add_u32 s19, s19, s25
	s_addc_u32 s13, s21, s13
	s_mul_i32 s5, s23, s5
	s_addc_u32 s19, s24, 0
	s_add_u32 s5, s13, s5
	s_addc_u32 s13, 0, s19
	s_mul_i32 s21, s20, s5
	s_add_u32 s19, s5, 1
	v_sub_co_u32 v9, s21, s22, s21
	s_addc_u32 s22, s13, 0
	s_mul_i32 s25, s20, s13
	s_mul_hi_u32 s27, s20, s5
	s_delay_alu instid0(VALU_DEP_1)
	v_sub_co_u32 v10, s26, v9, s20
	s_add_u32 s24, s5, 2
	s_addc_u32 s28, s13, 0
	s_add_i32 s27, s27, s25
	s_cmp_lg_u32 s21, 0
	v_readfirstlane_b32 s21, v10
	s_subb_u32 s23, s23, s27
	s_cmp_lg_u32 s26, 0
	s_subb_u32 s25, s23, 0
	s_delay_alu instid0(VALU_DEP_1) | instskip(SKIP_4) | instid1(SALU_CYCLE_1)
	s_cmp_ge_u32 s21, s20
	s_cselect_b32 s21, -1, 0
	s_cmp_eq_u32 s25, 0
	v_readfirstlane_b32 s25, v9
	s_cselect_b32 s21, s21, -1
	s_cmp_lg_u32 s21, 0
	s_cselect_b32 s19, s24, s19
	s_cselect_b32 s21, s28, s22
	s_cmp_ge_u32 s25, s20
	s_cselect_b32 s22, -1, 0
	s_cmp_eq_u32 s23, 0
	s_cselect_b32 s22, s22, -1
	s_delay_alu instid0(SALU_CYCLE_1) | instskip(SKIP_4) | instid1(SALU_CYCLE_1)
	s_cmp_lg_u32 s22, 0
	s_cselect_b32 s23, s21, s13
	s_cselect_b32 s22, s19, s5
	s_mov_b32 s5, 0
	s_xor_b64 s[22:23], s[22:23], s[0:1]
	s_sub_u32 s0, s22, s0
.LBB12_11:                              ;   in Loop: Header=BB12_9 Depth=1
	s_and_not1_b32 vcc_lo, exec_lo, s5
	s_cbranch_vccnz .LBB12_13
; %bb.12:                               ;   in Loop: Header=BB12_9 Depth=1
	v_readfirstlane_b32 s0, v6
	s_delay_alu instid0(VALU_DEP_1) | instskip(NEXT) | instid1(SALU_CYCLE_1)
	s_mul_i32 s1, s14, s0
	s_mul_hi_u32 s1, s0, s1
	s_delay_alu instid0(SALU_CYCLE_1) | instskip(NEXT) | instid1(SALU_CYCLE_1)
	s_add_i32 s0, s0, s1
	s_mul_hi_u32 s0, s4, s0
	s_delay_alu instid0(SALU_CYCLE_1) | instskip(NEXT) | instid1(SALU_CYCLE_1)
	s_mul_i32 s1, s0, s20
	s_sub_i32 s1, s4, s1
	s_add_i32 s4, s0, 1
	s_sub_i32 s5, s1, s20
	s_cmp_ge_u32 s1, s20
	s_cselect_b32 s0, s4, s0
	s_cselect_b32 s1, s5, s1
	s_add_i32 s4, s0, 1
	s_cmp_ge_u32 s1, s20
	s_cselect_b32 s0, s4, s0
.LBB12_13:                              ;   in Loop: Header=BB12_9 Depth=1
	s_delay_alu instid0(SALU_CYCLE_1)
	s_cmp_lg_u32 s16, s0
	s_cbranch_scc0 .LBB12_17
; %bb.14:                               ;   in Loop: Header=BB12_9 Depth=1
	s_add_i32 s1, s18, s20
	s_mov_b32 s5, s12
	s_lshl_b32 s1, s1, 4
	s_mov_b32 s19, s16
	s_add_i32 s4, s1, s6
	s_mul_hi_u32 s1, s0, s8
	s_lshl_b64 s[4:5], s[4:5], 3
	s_delay_alu instid0(SALU_CYCLE_1) | instskip(SKIP_2) | instid1(SALU_CYCLE_1)
	s_add_u32 s4, s2, s4
	s_addc_u32 s5, s3, s5
	s_add_i32 s1, s1, s0
	s_lshr_b32 s1, s1, s9
	s_delay_alu instid0(SALU_CYCLE_1) | instskip(NEXT) | instid1(SALU_CYCLE_1)
	s_mul_i32 s13, s1, s10
	s_cmp_eq_u32 s13, s0
	s_cselect_b32 s13, -1, 0
	s_cmp_lt_u32 s1, s11
	s_cselect_b32 s1, -1, 0
	s_delay_alu instid0(SALU_CYCLE_1)
	s_or_b32 s1, s1, s13
	s_mov_b32 s13, -1
	s_and_b32 vcc_lo, exec_lo, s1
	s_mov_b32 s1, s18
	s_cbranch_vccnz .LBB12_16
; %bb.15:                               ;   in Loop: Header=BB12_9 Depth=1
	s_add_i32 s1, s18, -1
	s_mov_b32 s13, 0
	s_mov_b32 s19, s0
.LBB12_16:                              ;   in Loop: Header=BB12_9 Depth=1
	v_mad_u64_u32 v[9:10], null, 0x280, s18, v[3:4]
	s_load_b64 s[4:5], s[4:5], 0x0
	s_delay_alu instid0(VALU_DEP_1) | instskip(NEXT) | instid1(VALU_DEP_1)
	v_ashrrev_i32_e32 v10, 31, v9
	v_lshlrev_b64 v[9:10], 2, v[9:10]
	s_delay_alu instid0(VALU_DEP_1) | instskip(NEXT) | instid1(VALU_DEP_2)
	v_add_co_u32 v9, vcc_lo, s15, v9
	v_add_co_ci_u32_e32 v10, vcc_lo, s17, v10, vcc_lo
	s_waitcnt lgkmcnt(0)
	v_max_f32_e64 v11, s4, s4
	global_load_b32 v10, v[9:10], off
	v_max_f32_e32 v9, v8, v8
	s_delay_alu instid0(VALU_DEP_1) | instskip(NEXT) | instid1(VALU_DEP_1)
	v_max_f32_e32 v9, v9, v11
	v_sub_f32_e32 v12, v8, v9
	s_delay_alu instid0(VALU_DEP_1) | instskip(NEXT) | instid1(VALU_DEP_1)
	v_dual_mul_f32 v14, 0x3fb8aa3b, v12 :: v_dual_sub_f32 v11, s4, v9
	v_rndne_f32_e32 v18, v14
	s_delay_alu instid0(VALU_DEP_2) | instskip(SKIP_2) | instid1(VALU_DEP_4)
	v_mul_f32_e32 v13, 0x3fb8aa3b, v11
	v_fma_f32 v17, 0x3fb8aa3b, v12, -v14
	v_cmp_ngt_f32_e32 vcc_lo, 0xc2ce8ed0, v11
	v_sub_f32_e32 v14, v14, v18
	s_delay_alu instid0(VALU_DEP_4) | instskip(SKIP_2) | instid1(VALU_DEP_3)
	v_fma_f32 v15, 0x3fb8aa3b, v11, -v13
	v_rndne_f32_e32 v16, v13
	v_fmac_f32_e32 v17, 0x32a5705f, v12
	v_fmac_f32_e32 v15, 0x32a5705f, v11
	s_delay_alu instid0(VALU_DEP_2) | instskip(NEXT) | instid1(VALU_DEP_1)
	v_dual_sub_f32 v13, v13, v16 :: v_dual_add_f32 v14, v14, v17
	v_add_f32_e32 v13, v13, v15
	s_delay_alu instid0(VALU_DEP_2) | instskip(SKIP_2) | instid1(VALU_DEP_3)
	v_exp_f32_e32 v14, v14
	v_cvt_i32_f32_e32 v15, v16
	v_cvt_i32_f32_e32 v16, v18
	v_exp_f32_e32 v13, v13
	s_waitcnt_depctr 0xfff
	v_ldexp_f32 v14, v14, v16
	v_ldexp_f32 v13, v13, v15
	s_delay_alu instid0(VALU_DEP_1) | instskip(SKIP_1) | instid1(VALU_DEP_4)
	v_cndmask_b32_e32 v13, 0, v13, vcc_lo
	v_cmp_ngt_f32_e32 vcc_lo, 0xc2ce8ed0, v12
	v_cndmask_b32_e32 v14, 0, v14, vcc_lo
	v_cmp_nlt_f32_e32 vcc_lo, 0x42b17218, v11
	s_delay_alu instid0(VALU_DEP_4) | instskip(SKIP_1) | instid1(VALU_DEP_4)
	v_cndmask_b32_e32 v13, 0x7f800000, v13, vcc_lo
	v_cmp_nlt_f32_e32 vcc_lo, 0x42b17218, v12
	v_cndmask_b32_e32 v14, 0x7f800000, v14, vcc_lo
	v_cmp_le_f32_e32 vcc_lo, 0xc1a00000, v11
	s_delay_alu instid0(VALU_DEP_4) | instskip(SKIP_1) | instid1(VALU_DEP_4)
	v_cndmask_b32_e32 v11, 0, v13, vcc_lo
	v_cmp_le_f32_e32 vcc_lo, 0xc1a00000, v12
	v_cndmask_b32_e32 v12, 0, v14, vcc_lo
	s_waitcnt vmcnt(0)
	s_delay_alu instid0(VALU_DEP_3) | instskip(NEXT) | instid1(VALU_DEP_1)
	v_mul_f32_e32 v10, v10, v11
	v_dual_mul_f32 v11, s5, v11 :: v_dual_fmac_f32 v10, v5, v12
	s_delay_alu instid0(VALU_DEP_1)
	v_fmac_f32_e32 v11, v7, v12
	s_cbranch_execz .LBB12_18
	s_branch .LBB12_19
.LBB12_17:                              ;   in Loop: Header=BB12_9 Depth=1
                                        ; implicit-def: $sgpr13
                                        ; implicit-def: $vgpr10
                                        ; implicit-def: $vgpr9
                                        ; implicit-def: $vgpr11
                                        ; implicit-def: $sgpr1
                                        ; implicit-def: $sgpr19
.LBB12_18:                              ;   in Loop: Header=BB12_9 Depth=1
	s_waitcnt vmcnt(0)
	v_dual_mov_b32 v11, v7 :: v_dual_mov_b32 v10, v5
	v_mov_b32_e32 v9, v8
	s_add_i32 s1, s18, -1
	s_mov_b32 s13, 0
	s_mov_b32 s19, s16
.LBB12_19:                              ;   in Loop: Header=BB12_9 Depth=1
	s_and_not1_b32 vcc_lo, exec_lo, s13
	s_cbranch_vccz .LBB12_23
; %bb.20:                               ;   in Loop: Header=BB12_9 Depth=1
	v_dual_mov_b32 v7, v11 :: v_dual_mov_b32 v8, v9
	s_waitcnt vmcnt(0)
	v_mov_b32_e32 v5, v10
	s_mov_b32 s16, s19
	s_mov_b32 s18, s1
	s_branch .LBB12_9
.LBB12_21:
                                        ; implicit-def: $sgpr16_sgpr17
	s_load_b128 s[8:11], s[0:1], 0x44
	s_branch .LBB12_2
.LBB12_22:
                                        ; implicit-def: $sgpr18_sgpr19
	s_branch .LBB12_5
.LBB12_23:
	v_div_scale_f32 v0, null, v11, v11, v10
	s_delay_alu instid0(VALU_DEP_1) | instskip(SKIP_2) | instid1(VALU_DEP_1)
	v_rcp_f32_e32 v3, v0
	s_waitcnt_depctr 0xfff
	v_fma_f32 v4, -v0, v3, 1.0
	v_fmac_f32_e32 v3, v4, v3
	v_div_scale_f32 v4, vcc_lo, v10, v11, v10
	s_waitcnt vmcnt(0)
	s_delay_alu instid0(VALU_DEP_1) | instskip(NEXT) | instid1(VALU_DEP_1)
	v_mul_f32_e32 v5, v4, v3
	v_fma_f32 v6, -v0, v5, v4
	s_delay_alu instid0(VALU_DEP_1) | instskip(NEXT) | instid1(VALU_DEP_1)
	v_fmac_f32_e32 v5, v6, v3
	v_fma_f32 v0, -v0, v5, v4
	s_delay_alu instid0(VALU_DEP_1) | instskip(NEXT) | instid1(VALU_DEP_1)
	v_div_fmas_f32 v0, v0, v3, v5
	v_div_fixup_f32 v0, v0, v11, v10
	global_store_b32 v[1:2], v0, off
.LBB12_24:
	s_nop 0
	s_sendmsg sendmsg(MSG_DEALLOC_VGPRS)
	s_endpgm
	.section	.rodata,"a",@progbits
	.p2align	6, 0x0
	.amdhsa_kernel _ZL33flash_attn_stream_k_fixup_generalILi40ELi2ELi8EEvPfPK15HIP_vector_typeIfLj2EEiiiiS1_IjLj3EES5_S5_S5_
		.amdhsa_group_segment_fixed_size 0
		.amdhsa_private_segment_fixed_size 0
		.amdhsa_kernarg_size 336
		.amdhsa_user_sgpr_count 13
		.amdhsa_user_sgpr_dispatch_ptr 0
		.amdhsa_user_sgpr_queue_ptr 0
		.amdhsa_user_sgpr_kernarg_segment_ptr 1
		.amdhsa_user_sgpr_dispatch_id 0
		.amdhsa_user_sgpr_private_segment_size 0
		.amdhsa_wavefront_size32 1
		.amdhsa_uses_dynamic_stack 0
		.amdhsa_enable_private_segment 0
		.amdhsa_system_sgpr_workgroup_id_x 1
		.amdhsa_system_sgpr_workgroup_id_y 1
		.amdhsa_system_sgpr_workgroup_id_z 1
		.amdhsa_system_sgpr_workgroup_info 0
		.amdhsa_system_vgpr_workitem_id 0
		.amdhsa_next_free_vgpr 19
		.amdhsa_next_free_sgpr 32
		.amdhsa_reserve_vcc 1
		.amdhsa_float_round_mode_32 0
		.amdhsa_float_round_mode_16_64 0
		.amdhsa_float_denorm_mode_32 3
		.amdhsa_float_denorm_mode_16_64 3
		.amdhsa_dx10_clamp 1
		.amdhsa_ieee_mode 1
		.amdhsa_fp16_overflow 0
		.amdhsa_workgroup_processor_mode 1
		.amdhsa_memory_ordered 1
		.amdhsa_forward_progress 0
		.amdhsa_shared_vgpr_count 0
		.amdhsa_exception_fp_ieee_invalid_op 0
		.amdhsa_exception_fp_denorm_src 0
		.amdhsa_exception_fp_ieee_div_zero 0
		.amdhsa_exception_fp_ieee_overflow 0
		.amdhsa_exception_fp_ieee_underflow 0
		.amdhsa_exception_fp_ieee_inexact 0
		.amdhsa_exception_int_div_zero 0
	.end_amdhsa_kernel
	.section	.text._ZL33flash_attn_stream_k_fixup_generalILi40ELi2ELi8EEvPfPK15HIP_vector_typeIfLj2EEiiiiS1_IjLj3EES5_S5_S5_,"axG",@progbits,_ZL33flash_attn_stream_k_fixup_generalILi40ELi2ELi8EEvPfPK15HIP_vector_typeIfLj2EEiiiiS1_IjLj3EES5_S5_S5_,comdat
.Lfunc_end12:
	.size	_ZL33flash_attn_stream_k_fixup_generalILi40ELi2ELi8EEvPfPK15HIP_vector_typeIfLj2EEiiiiS1_IjLj3EES5_S5_S5_, .Lfunc_end12-_ZL33flash_attn_stream_k_fixup_generalILi40ELi2ELi8EEvPfPK15HIP_vector_typeIfLj2EEiiiiS1_IjLj3EES5_S5_S5_
                                        ; -- End function
	.section	.AMDGPU.csdata,"",@progbits
; Kernel info:
; codeLenInByte = 3220
; NumSgprs: 34
; NumVgprs: 19
; ScratchSize: 0
; MemoryBound: 0
; FloatMode: 240
; IeeeMode: 1
; LDSByteSize: 0 bytes/workgroup (compile time only)
; SGPRBlocks: 4
; VGPRBlocks: 2
; NumSGPRsForWavesPerEU: 34
; NumVGPRsForWavesPerEU: 19
; Occupancy: 16
; WaveLimiterHint : 0
; COMPUTE_PGM_RSRC2:SCRATCH_EN: 0
; COMPUTE_PGM_RSRC2:USER_SGPR: 13
; COMPUTE_PGM_RSRC2:TRAP_HANDLER: 0
; COMPUTE_PGM_RSRC2:TGID_X_EN: 1
; COMPUTE_PGM_RSRC2:TGID_Y_EN: 1
; COMPUTE_PGM_RSRC2:TGID_Z_EN: 1
; COMPUTE_PGM_RSRC2:TIDIG_COMP_CNT: 0
	.section	.text._ZL15flash_attn_tileILi40ELi40ELi1ELi8ELb0EEvPKcS1_S1_S1_S1_PKiPfP15HIP_vector_typeIfLj2EEffffjfiS5_IjLj3EEiiiiiiiiiiiliiliiiiil,"axG",@progbits,_ZL15flash_attn_tileILi40ELi40ELi1ELi8ELb0EEvPKcS1_S1_S1_S1_PKiPfP15HIP_vector_typeIfLj2EEffffjfiS5_IjLj3EEiiiiiiiiiiiliiliiiiil,comdat
	.globl	_ZL15flash_attn_tileILi40ELi40ELi1ELi8ELb0EEvPKcS1_S1_S1_S1_PKiPfP15HIP_vector_typeIfLj2EEffffjfiS5_IjLj3EEiiiiiiiiiiiliiliiiiil ; -- Begin function _ZL15flash_attn_tileILi40ELi40ELi1ELi8ELb0EEvPKcS1_S1_S1_S1_PKiPfP15HIP_vector_typeIfLj2EEffffjfiS5_IjLj3EEiiiiiiiiiiiliiliiiiil
	.p2align	8
	.type	_ZL15flash_attn_tileILi40ELi40ELi1ELi8ELb0EEvPKcS1_S1_S1_S1_PKiPfP15HIP_vector_typeIfLj2EEffffjfiS5_IjLj3EEiiiiiiiiiiiliiliiiiil,@function
_ZL15flash_attn_tileILi40ELi40ELi1ELi8ELb0EEvPKcS1_S1_S1_S1_PKiPfP15HIP_vector_typeIfLj2EEffffjfiS5_IjLj3EEiiiiiiiiiiiliiliiiiil: ; @_ZL15flash_attn_tileILi40ELi40ELi1ELi8ELb0EEvPKcS1_S1_S1_S1_PKiPfP15HIP_vector_typeIfLj2EEffffjfiS5_IjLj3EEiiiiiiiiiiiliiliiiiil
; %bb.0:
	s_clause 0x1
	s_load_b128 s[4:7], s[0:1], 0x5c
	s_load_b64 s[34:35], s[0:1], 0x80
	s_mov_b64 s[36:37], 0
	s_waitcnt lgkmcnt(0)
	s_ashr_i32 s2, s7, 31
	s_delay_alu instid0(SALU_CYCLE_1) | instskip(NEXT) | instid1(SALU_CYCLE_1)
	s_lshr_b32 s2, s2, 29
	s_add_i32 s2, s7, s2
	s_delay_alu instid0(SALU_CYCLE_1) | instskip(NEXT) | instid1(SALU_CYCLE_1)
	s_ashr_i32 s2, s2, 3
	v_cvt_f32_u32_e32 v1, s2
	s_sub_i32 s8, 0, s2
	s_delay_alu instid0(VALU_DEP_1) | instskip(SKIP_2) | instid1(VALU_DEP_1)
	v_rcp_iflag_f32_e32 v1, v1
	s_waitcnt_depctr 0xfff
	v_mul_f32_e32 v1, 0x4f7ffffe, v1
	v_cvt_u32_f32_e32 v1, v1
	s_delay_alu instid0(VALU_DEP_1) | instskip(NEXT) | instid1(VALU_DEP_1)
	v_readfirstlane_b32 s3, v1
	s_mul_i32 s8, s8, s3
	s_delay_alu instid0(SALU_CYCLE_1) | instskip(NEXT) | instid1(SALU_CYCLE_1)
	s_mul_hi_u32 s8, s3, s8
	s_add_i32 s3, s3, s8
	s_delay_alu instid0(SALU_CYCLE_1) | instskip(NEXT) | instid1(SALU_CYCLE_1)
	s_mul_hi_u32 s3, s15, s3
	s_mul_i32 s8, s3, s2
	s_add_i32 s9, s3, 1
	s_sub_i32 s8, s15, s8
	s_delay_alu instid0(SALU_CYCLE_1)
	s_sub_i32 s10, s8, s2
	s_cmp_ge_u32 s8, s2
	s_cselect_b32 s3, s9, s3
	s_cselect_b32 s8, s10, s8
	s_add_i32 s9, s3, 1
	s_cmp_ge_u32 s8, s2
	s_cselect_b32 s12, s9, s3
	s_abs_i32 s2, s35
	s_abs_i32 s9, s7
	v_cvt_f32_u32_e32 v1, s2
	s_sub_i32 s8, 0, s2
	s_xor_b32 s10, s7, s35
	s_delay_alu instid0(SALU_CYCLE_1) | instskip(NEXT) | instid1(VALU_DEP_1)
	s_ashr_i32 s10, s10, 31
	v_rcp_iflag_f32_e32 v1, v1
	s_waitcnt_depctr 0xfff
	v_mul_f32_e32 v1, 0x4f7ffffe, v1
	s_delay_alu instid0(VALU_DEP_1) | instskip(NEXT) | instid1(VALU_DEP_1)
	v_cvt_u32_f32_e32 v1, v1
	v_readfirstlane_b32 s3, v1
	s_delay_alu instid0(VALU_DEP_1) | instskip(NEXT) | instid1(SALU_CYCLE_1)
	s_mul_i32 s8, s8, s3
	s_mul_hi_u32 s8, s3, s8
	s_delay_alu instid0(SALU_CYCLE_1) | instskip(SKIP_2) | instid1(SALU_CYCLE_1)
	s_add_i32 s3, s3, s8
	s_lshl_b32 s8, s15, 3
	s_mul_hi_u32 s3, s9, s3
	s_mul_i32 s11, s3, s2
	s_delay_alu instid0(SALU_CYCLE_1)
	s_sub_i32 s9, s9, s11
	s_add_i32 s11, s3, 1
	s_sub_i32 s15, s9, s2
	s_cmp_ge_u32 s9, s2
	s_cselect_b32 s3, s11, s3
	s_cselect_b32 s9, s15, s9
	s_add_i32 s11, s3, 1
	s_cmp_ge_u32 s9, s2
	s_mul_i32 s9, s12, s7
	s_cselect_b32 s2, s11, s3
	s_delay_alu instid0(SALU_CYCLE_1) | instskip(NEXT) | instid1(SALU_CYCLE_1)
	s_xor_b32 s2, s2, s10
	s_sub_i32 s35, s2, s10
	s_clause 0x1
	s_load_b512 s[16:31], s[0:1], 0x0
	s_load_b64 s[2:3], s[0:1], 0xb8
	s_abs_i32 s33, s35
	s_delay_alu instid0(SALU_CYCLE_1) | instskip(NEXT) | instid1(VALU_DEP_1)
	v_cvt_f32_u32_e32 v1, s33
	v_rcp_iflag_f32_e32 v1, v1
	s_waitcnt_depctr 0xfff
	v_mul_f32_e32 v1, 0x4f7ffffe, v1
	s_waitcnt lgkmcnt(0)
	s_cmp_eq_u64 s[22:23], 0
	s_delay_alu instid0(VALU_DEP_1) | instskip(NEXT) | instid1(VALU_DEP_1)
	v_cvt_u32_f32_e32 v1, v1
	v_readfirstlane_b32 s38, v1
	s_cbranch_scc1 .LBB13_2
; %bb.1:
	s_abs_i32 s2, s2
	s_abs_i32 s15, s12
	v_cvt_f32_u32_e32 v1, s2
	s_sub_i32 s11, 0, s2
	s_delay_alu instid0(VALU_DEP_1) | instskip(SKIP_2) | instid1(VALU_DEP_1)
	v_rcp_iflag_f32_e32 v1, v1
	s_waitcnt_depctr 0xfff
	v_mul_f32_e32 v1, 0x4f7ffffe, v1
	v_cvt_u32_f32_e32 v1, v1
	s_delay_alu instid0(VALU_DEP_1) | instskip(NEXT) | instid1(VALU_DEP_1)
	v_readfirstlane_b32 s10, v1
	s_mul_i32 s11, s11, s10
	s_delay_alu instid0(SALU_CYCLE_1) | instskip(NEXT) | instid1(SALU_CYCLE_1)
	s_mul_hi_u32 s11, s10, s11
	s_add_i32 s36, s10, s11
	s_load_b64 s[10:11], s[0:1], 0xc8
	s_mul_hi_u32 s36, s15, s36
	s_delay_alu instid0(SALU_CYCLE_1) | instskip(NEXT) | instid1(SALU_CYCLE_1)
	s_mul_i32 s36, s36, s2
	s_sub_i32 s15, s15, s36
	s_ashr_i32 s36, s12, 31
	s_sub_i32 s37, s15, s2
	s_cmp_ge_u32 s15, s2
	s_cselect_b32 s15, s37, s15
	s_delay_alu instid0(SALU_CYCLE_1) | instskip(SKIP_2) | instid1(SALU_CYCLE_1)
	s_sub_i32 s37, s15, s2
	s_cmp_ge_u32 s15, s2
	s_cselect_b32 s2, s37, s15
	s_xor_b32 s2, s2, s36
	s_delay_alu instid0(SALU_CYCLE_1)
	s_sub_i32 s2, s2, s36
	s_waitcnt lgkmcnt(0)
	s_mul_i32 s11, s2, s11
	s_mul_hi_u32 s15, s2, s10
	s_ashr_i32 s36, s2, 31
	s_add_i32 s11, s15, s11
	s_mul_i32 s36, s36, s10
	s_mul_i32 s2, s2, s10
	s_add_i32 s11, s11, s36
	s_add_u32 s36, s22, s2
	s_addc_u32 s37, s23, s11
.LBB13_2:
	v_bfe_u32 v2, v0, 10, 10
	v_and_b32_e32 v0, 0x3ff, v0
	s_sub_i32 s15, s8, s9
	s_delay_alu instid0(VALU_DEP_2) | instskip(SKIP_1) | instid1(VALU_DEP_3)
	v_lshrrev_b32_e32 v11, 3, v2
	v_and_b32_e32 v12, 7, v2
	v_cmp_gt_u32_e64 s2, 20, v0
	s_delay_alu instid0(VALU_DEP_3) | instskip(NEXT) | instid1(VALU_DEP_1)
	v_add_nc_u32_e32 v3, s13, v11
	v_mul_hi_u32 v4, s4, v3
	s_delay_alu instid0(VALU_DEP_3)
	s_and_saveexec_b32 s4, s2
	s_cbranch_execz .LBB13_4
; %bb.3:
	s_load_b128 s[8:11], s[0:1], 0x70
	s_delay_alu instid0(VALU_DEP_1) | instskip(NEXT) | instid1(VALU_DEP_1)
	v_add_nc_u32_e32 v1, v3, v4
	v_lshrrev_b32_e32 v1, s5, v1
	s_delay_alu instid0(VALU_DEP_1) | instskip(NEXT) | instid1(VALU_DEP_1)
	v_mul_lo_u32 v1, v1, s6
	v_sub_nc_u32_e32 v13, v3, v1
	s_waitcnt lgkmcnt(0)
	s_mul_i32 s10, s12, s10
	s_mul_i32 s11, s15, s9
	s_ashr_i32 s22, s10, 31
	s_add_u32 s10, s16, s10
	s_addc_u32 s16, s17, s22
	s_ashr_i32 s17, s11, 31
	s_add_u32 s10, s10, s11
	s_addc_u32 s11, s16, s17
	s_ashr_i32 s16, s9, 31
	s_delay_alu instid0(SALU_CYCLE_1) | instskip(SKIP_1) | instid1(SALU_CYCLE_1)
	v_alignbit_b32 v7, s16, s9, 2
	s_ashr_i32 s9, s8, 31
	v_alignbit_b32 v1, s9, s8, 2
	s_lshr_b32 s8, s16, 2
	s_delay_alu instid0(VALU_DEP_2) | instskip(NEXT) | instid1(VALU_DEP_2)
	v_mad_u64_u32 v[5:6], null, v7, v12, 0
	v_mad_u64_u32 v[7:8], null, v1, v13, 0
	s_delay_alu instid0(VALU_DEP_1) | instskip(NEXT) | instid1(VALU_DEP_1)
	v_dual_mov_b32 v1, v6 :: v_dual_mov_b32 v6, v8
	v_mad_u64_u32 v[8:9], null, s8, v12, v[1:2]
	s_lshr_b32 s8, s9, 2
	s_delay_alu instid0(VALU_DEP_2) | instid1(SALU_CYCLE_1)
	v_mad_u64_u32 v[9:10], null, s8, v13, v[6:7]
	s_load_b32 s8, s[0:1], 0x40
	s_delay_alu instid0(VALU_DEP_2) | instskip(NEXT) | instid1(VALU_DEP_2)
	v_mov_b32_e32 v6, v8
	v_mov_b32_e32 v8, v9
	s_delay_alu instid0(VALU_DEP_2) | instskip(NEXT) | instid1(VALU_DEP_2)
	v_lshlrev_b64 v[5:6], 2, v[5:6]
	v_lshlrev_b64 v[7:8], 2, v[7:8]
	s_delay_alu instid0(VALU_DEP_2) | instskip(NEXT) | instid1(VALU_DEP_3)
	v_add_co_u32 v1, vcc_lo, s10, v5
	v_add_co_ci_u32_e32 v5, vcc_lo, s11, v6, vcc_lo
	v_lshlrev_b32_e32 v6, 3, v0
	s_delay_alu instid0(VALU_DEP_3) | instskip(NEXT) | instid1(VALU_DEP_3)
	v_add_co_u32 v1, vcc_lo, v1, v7
	v_add_co_ci_u32_e32 v7, vcc_lo, v5, v8, vcc_lo
	s_delay_alu instid0(VALU_DEP_2) | instskip(NEXT) | instid1(VALU_DEP_2)
	v_add_co_u32 v5, vcc_lo, v1, v6
	v_add_co_ci_u32_e32 v6, vcc_lo, 0, v7, vcc_lo
	global_load_b64 v[5:6], v[5:6], off
	s_waitcnt vmcnt(0) lgkmcnt(0)
	v_fma_mixlo_f16 v1, v5, s8, 0
	v_mul_u32_u24_e32 v5, 20, v2
	s_delay_alu instid0(VALU_DEP_2) | instskip(NEXT) | instid1(VALU_DEP_2)
	v_fma_mixhi_f16 v1, v6, s8, 0
	v_add_lshl_u32 v5, v5, v0, 2
	ds_store_b32 v5, v1 offset:3168
.LBB13_4:
	s_or_b32 exec_lo, exec_lo, s4
	s_cmp_eq_u64 s[26:27], 0
	s_waitcnt lgkmcnt(0)
	s_barrier
	buffer_gl0_inv
	s_cbranch_scc1 .LBB13_6
; %bb.5:
	s_load_b32 s4, s[0:1], 0xd0
	s_mov_b32 s9, 0
	s_waitcnt lgkmcnt(0)
	s_mul_i32 s4, s4, s12
	s_delay_alu instid0(SALU_CYCLE_1) | instskip(NEXT) | instid1(SALU_CYCLE_1)
	s_add_i32 s8, s4, s13
	s_lshl_b64 s[8:9], s[8:9], 2
	s_delay_alu instid0(SALU_CYCLE_1)
	s_add_u32 s8, s26, s8
	s_addc_u32 s9, s27, s9
	s_load_b32 s34, s[8:9], 0x0
.LBB13_6:
	v_mbcnt_lo_u32_b32 v13, -1, 0
	s_lshl_b32 s16, s14, 5
	s_waitcnt lgkmcnt(0)
	s_cmp_lt_i32 s16, s34
	s_cbranch_scc1 .LBB13_8
; %bb.7:
	v_mbcnt_lo_u32_b32 v5, -1, 0
	v_mov_b32_e32 v15, 32
	s_mov_b32 s4, 0
	s_mov_b32 s8, 0xfeffffff
	s_delay_alu instid0(VALU_DEP_2)
	v_xor_b32_e32 v20, 16, v5
	v_xor_b32_e32 v19, 8, v5
	;; [unrolled: 1-line block ×5, first 2 shown]
	s_branch .LBB13_9
.LBB13_8:
	s_mov_b32 s4, -1
                                        ; implicit-def: $sgpr8
                                        ; implicit-def: $vgpr5
                                        ; implicit-def: $vgpr15
                                        ; implicit-def: $vgpr20
                                        ; implicit-def: $vgpr19
                                        ; implicit-def: $vgpr18
                                        ; implicit-def: $vgpr17
                                        ; implicit-def: $vgpr16
.LBB13_9:
	s_delay_alu instid0(SALU_CYCLE_1) | instskip(SKIP_1) | instid1(VALU_DEP_2)
	v_cndmask_b32_e64 v1, 0, 1, s4
	v_dual_mov_b32 v14, s4 :: v_dual_mov_b32 v33, s4
	v_cmp_ne_u32_e32 vcc_lo, 1, v1
	v_mov_b32_e32 v1, s8
	s_cbranch_vccnz .LBB13_22
; %bb.10:
	s_clause 0x1
	s_load_b64 s[22:23], s[0:1], 0x8c
	s_load_b128 s[8:11], s[0:1], 0x98
	s_sub_i32 s4, 0, s33
	v_dual_mov_b32 v14, 0 :: v_dual_lshlrev_b32 v21, 2, v0
	s_mul_i32 s4, s4, s38
	s_abs_i32 s39, s15
	s_mul_hi_u32 s4, s38, s4
	v_lshrrev_b32_e32 v1, 2, v0
	s_add_i32 s38, s38, s4
	s_ashr_i32 s4, s3, 1
	s_mul_hi_u32 s3, s39, s38
	s_ashr_i32 s38, s12, 31
	v_dual_mov_b32 v32, 0xfeffffff :: v_dual_and_b32 v33, 12, v21
	s_ashr_i32 s40, s15, 31
	s_ashr_i32 s35, s35, 31
	s_load_b64 s[26:27], s[0:1], 0xa8
	s_mul_i32 s41, s3, s33
	v_add_nc_u32_e32 v4, v3, v4
	s_waitcnt lgkmcnt(0)
	s_ashr_i32 s17, s22, 2
	s_mul_i32 s9, s12, s9
	s_mul_hi_u32 s22, s12, s8
	s_mul_i32 s42, s38, s8
	s_add_i32 s9, s22, s9
	s_mul_i32 s8, s12, s8
	s_ashr_i32 s10, s10, 2
	s_add_i32 s9, s9, s42
	s_add_u32 s8, s18, s8
	v_lshl_add_u32 v1, v2, 3, v1
	v_lshlrev_b32_e32 v15, 2, v33
	s_addc_u32 s9, s19, s9
	s_sub_i32 s19, s39, s41
	s_xor_b32 s18, s40, s35
	s_add_i32 s22, s3, 1
	s_sub_i32 s35, s19, s33
	s_cmp_ge_u32 s19, s33
	v_mad_u32_u24 v24, 0x60, v1, v15
	v_mad_u32_u24 v29, 0x50, v1, v15
	v_mov_b32_e32 v15, 32
	v_lshrrev_b32_e32 v4, s5, v4
	s_cselect_b32 s3, s22, s3
	s_cselect_b32 s19, s35, s19
	v_lshl_add_u32 v8, v2, 5, v0
	s_add_i32 s22, s3, 1
	s_cmp_ge_u32 s19, s33
	v_mul_lo_u32 v4, v4, s6
	s_cselect_b32 s3, s22, s3
	v_mul_lo_u32 v5, s17, v1
	v_mul_lo_u32 v7, s17, v8
	;; [unrolled: 1-line block ×4, first 2 shown]
	s_xor_b32 s3, s3, s18
	v_mad_u32_u24 v25, 0x60, v8, 64
	s_sub_i32 s3, s3, s18
	v_lshlrev_b32_e32 v10, 4, v8
	s_mul_i32 s18, s3, s23
	v_sub_nc_u32_e32 v4, v3, v4
	s_mul_i32 s22, s12, s27
	s_mul_hi_u32 s27, s12, s26
	s_ashr_i32 s19, s18, 31
	s_add_u32 s18, s8, s18
	v_cmp_gt_u32_e32 vcc_lo, 32, v8
	v_ashrrev_i32_e32 v6, 31, v5
	v_ashrrev_i32_e32 v8, 31, v7
	v_sub_nc_u32_e32 v28, v25, v10
	v_ashrrev_i32_e32 v10, 31, v9
	v_ashrrev_i32_e32 v31, 31, v30
	s_mul_i32 s38, s38, s26
	s_addc_u32 s19, s9, s19
	s_add_i32 s8, s27, s22
	v_lshl_add_u32 v26, v2, 6, 0xee0
	s_mul_i32 s23, s12, s26
	s_mul_i32 s3, s3, s11
	s_add_i32 s8, s8, s38
	v_mul_u32_u24_e32 v23, 0x50, v2
	v_mad_u64_u32 v[2:3], null, v4, s4, v[0:1]
	s_add_u32 s9, s20, s23
	s_addc_u32 s8, s21, s8
	s_ashr_i32 s20, s3, 31
	v_lshlrev_b64 v[3:4], 2, v[7:8]
	v_lshlrev_b64 v[5:6], 2, v[5:6]
	;; [unrolled: 1-line block ×4, first 2 shown]
	v_mov_b32_e32 v31, 0
	s_add_u32 s11, s9, s3
	v_cmp_gt_u32_e64 s3, 32, v1
	v_mul_u32_u24_e32 v22, 0x60, v0
	v_lshl_add_u32 v27, v0, 1, v26
	v_xor_b32_e32 v20, 16, v13
	v_xor_b32_e32 v19, 8, v13
	;; [unrolled: 1-line block ×5, first 2 shown]
	v_lshlrev_b32_e32 v30, 2, v33
	s_addc_u32 s5, s8, s20
	s_add_u32 s8, s0, 0xd0
	s_addc_u32 s9, s1, 0
.LBB13_11:                              ; =>This Inner Loop Header: Depth=1
	s_mul_hi_i32 s21, s16, s17
	s_mul_i32 s20, s16, s17
	s_delay_alu instid0(SALU_CYCLE_1) | instskip(NEXT) | instid1(SALU_CYCLE_1)
	s_lshl_b64 s[20:21], s[20:21], 2
	s_add_u32 s20, s18, s20
	s_addc_u32 s21, s19, s21
	s_and_saveexec_b32 s22, vcc_lo
	s_cbranch_execz .LBB13_13
; %bb.12:                               ;   in Loop: Header=BB13_11 Depth=1
	v_add_co_u32 v33, s4, s20, v3
	s_delay_alu instid0(VALU_DEP_1)
	v_add_co_ci_u32_e64 v34, s4, s21, v4, s4
	global_load_b128 v[33:36], v[33:34], off offset:64
	s_waitcnt vmcnt(0)
	ds_store_b128 v25, v[33:36]
.LBB13_13:                              ;   in Loop: Header=BB13_11 Depth=1
	s_or_b32 exec_lo, exec_lo, s22
	s_and_saveexec_b32 s22, s3
	s_cbranch_execz .LBB13_15
; %bb.14:                               ;   in Loop: Header=BB13_11 Depth=1
	v_add_co_u32 v1, s4, s20, v5
	s_delay_alu instid0(VALU_DEP_1) | instskip(NEXT) | instid1(VALU_DEP_2)
	v_add_co_ci_u32_e64 v34, s4, s21, v6, s4
	v_add_co_u32 v33, s4, v1, v30
	s_delay_alu instid0(VALU_DEP_1)
	v_add_co_ci_u32_e64 v34, s4, 0, v34, s4
	global_load_b128 v[33:36], v[33:34], off
	s_waitcnt vmcnt(0)
	ds_store_b128 v24, v[33:36]
.LBB13_15:                              ;   in Loop: Header=BB13_11 Depth=1
	s_or_b32 exec_lo, exec_lo, s22
	s_waitcnt lgkmcnt(0)
	s_barrier
	buffer_gl0_inv
	ds_load_b128 v[33:36], v22
	ds_load_b128 v[37:40], v23 offset:3168
	v_mov_b32_e32 v1, 0
	v_add_nc_u32_e32 v41, s16, v2
	s_mul_hi_i32 s21, s16, s10
	s_mul_i32 s20, s16, s10
	s_waitcnt lgkmcnt(0)
	;;#ASMSTART
	v_dot2_f32_f16 v1, v33, v37, v1
	;;#ASMEND
	;;#ASMSTART
	v_dot2_f32_f16 v1, v34, v38, v1
	;;#ASMEND
	;; [unrolled: 3-line block ×4, first 2 shown]
	ds_load_b128 v[33:36], v22 offset:16
	ds_load_b128 v[37:40], v23 offset:3184
	v_ashrrev_i32_e32 v42, 31, v41
	s_lshl_b64 s[20:21], s[20:21], 2
	s_waitcnt lgkmcnt(0)
	;;#ASMSTART
	v_dot2_f32_f16 v1, v33, v37, v1
	;;#ASMEND
	;;#ASMSTART
	v_dot2_f32_f16 v1, v34, v38, v1
	;;#ASMEND
	;;#ASMSTART
	v_dot2_f32_f16 v1, v35, v39, v1
	;;#ASMEND
	;;#ASMSTART
	v_dot2_f32_f16 v1, v36, v40, v1
	;;#ASMEND
	ds_load_b128 v[33:36], v22 offset:32
	ds_load_b128 v[37:40], v23 offset:3200
	v_lshlrev_b64 v[41:42], 1, v[41:42]
	s_add_u32 s20, s11, s20
	s_addc_u32 s21, s5, s21
	s_waitcnt lgkmcnt(0)
	;;#ASMSTART
	v_dot2_f32_f16 v1, v33, v37, v1
	;;#ASMEND
	;;#ASMSTART
	v_dot2_f32_f16 v1, v34, v38, v1
	;;#ASMEND
	;; [unrolled: 3-line block ×4, first 2 shown]
	ds_load_b128 v[33:36], v22 offset:48
	ds_load_b128 v[37:40], v23 offset:3216
	v_add_co_u32 v41, s4, s36, v41
	s_delay_alu instid0(VALU_DEP_1)
	v_add_co_ci_u32_e64 v42, s4, s37, v42, s4
	v_cmp_gt_i32_e64 s4, 32, v20
	s_waitcnt lgkmcnt(0)
	;;#ASMSTART
	v_dot2_f32_f16 v1, v33, v37, v1
	;;#ASMEND
	;;#ASMSTART
	v_dot2_f32_f16 v1, v34, v38, v1
	;;#ASMEND
	;; [unrolled: 3-line block ×4, first 2 shown]
	ds_load_b128 v[33:36], v22 offset:64
	ds_load_b128 v[37:40], v23 offset:3232
	s_waitcnt lgkmcnt(0)
	;;#ASMSTART
	v_dot2_f32_f16 v1, v33, v37, v1
	;;#ASMEND
	;;#ASMSTART
	v_dot2_f32_f16 v1, v34, v38, v1
	;;#ASMEND
	;; [unrolled: 3-line block ×4, first 2 shown]
	flat_load_u16 v33, v[41:42]
	v_cndmask_b32_e64 v34, v13, v20, s4
	v_cmp_gt_i32_e64 s4, 32, v19
	s_waitcnt vmcnt(0) lgkmcnt(0)
	s_barrier
	buffer_gl0_inv
	v_lshlrev_b32_e32 v34, 2, v34
	v_cvt_f32_f16_e32 v33, v33
	s_delay_alu instid0(VALU_DEP_1) | instskip(SKIP_1) | instid1(VALU_DEP_2)
	v_add_f32_e32 v33, v1, v33
	v_max_f32_e32 v1, v32, v32
	v_add_f32_e32 v35, 0x40051340, v33
	s_delay_alu instid0(VALU_DEP_1)
	v_max_f32_e32 v1, v1, v35
	v_cndmask_b32_e64 v35, v13, v19, s4
	v_cmp_gt_i32_e64 s4, 32, v18
	ds_bpermute_b32 v34, v34, v1
	s_waitcnt lgkmcnt(0)
	v_dual_max_f32 v34, v34, v34 :: v_dual_lshlrev_b32 v35, 2, v35
	s_delay_alu instid0(VALU_DEP_1) | instskip(SKIP_4) | instid1(VALU_DEP_2)
	v_max_f32_e32 v1, v1, v34
	ds_bpermute_b32 v34, v35, v1
	v_cndmask_b32_e64 v35, v13, v18, s4
	v_cmp_gt_i32_e64 s4, 32, v17
	s_waitcnt lgkmcnt(0)
	v_dual_max_f32 v34, v34, v34 :: v_dual_lshlrev_b32 v35, 2, v35
	s_delay_alu instid0(VALU_DEP_1) | instskip(SKIP_4) | instid1(VALU_DEP_2)
	v_max_f32_e32 v1, v1, v34
	ds_bpermute_b32 v34, v35, v1
	v_cndmask_b32_e64 v35, v13, v17, s4
	v_cmp_gt_i32_e64 s4, 32, v16
	s_waitcnt lgkmcnt(0)
	v_dual_max_f32 v34, v34, v34 :: v_dual_lshlrev_b32 v35, 2, v35
	s_delay_alu instid0(VALU_DEP_1) | instskip(SKIP_3) | instid1(VALU_DEP_1)
	v_max_f32_e32 v1, v1, v34
	ds_bpermute_b32 v34, v35, v1
	v_cndmask_b32_e64 v35, v13, v16, s4
	s_waitcnt lgkmcnt(0)
	v_dual_max_f32 v34, v34, v34 :: v_dual_lshlrev_b32 v35, 2, v35
	s_delay_alu instid0(VALU_DEP_1) | instskip(SKIP_3) | instid1(VALU_DEP_1)
	v_max_f32_e32 v1, v1, v34
	ds_bpermute_b32 v34, v35, v1
	s_waitcnt lgkmcnt(0)
	v_max_f32_e32 v34, v34, v34
	v_max_f32_e32 v1, v1, v34
	s_delay_alu instid0(VALU_DEP_1) | instskip(NEXT) | instid1(VALU_DEP_1)
	v_sub_f32_e32 v33, v33, v1
	v_mul_f32_e32 v34, 0x3fb8aa3b, v33
	v_cmp_ngt_f32_e64 s4, 0xc2ce8ed0, v33
	s_delay_alu instid0(VALU_DEP_2) | instskip(SKIP_1) | instid1(VALU_DEP_1)
	v_fma_f32 v35, 0x3fb8aa3b, v33, -v34
	v_rndne_f32_e32 v36, v34
	v_dual_fmac_f32 v35, 0x32a5705f, v33 :: v_dual_sub_f32 v34, v34, v36
	s_delay_alu instid0(VALU_DEP_1) | instskip(SKIP_1) | instid1(VALU_DEP_2)
	v_add_f32_e32 v34, v34, v35
	v_cvt_i32_f32_e32 v35, v36
	v_exp_f32_e32 v34, v34
	s_waitcnt_depctr 0xfff
	v_ldexp_f32 v34, v34, v35
	s_delay_alu instid0(VALU_DEP_1) | instskip(SKIP_1) | instid1(VALU_DEP_1)
	v_cndmask_b32_e64 v34, 0, v34, s4
	v_cmp_nlt_f32_e64 s4, 0x42b17218, v33
	v_cndmask_b32_e64 v33, 0x7f800000, v34, s4
	s_delay_alu instid0(VALU_DEP_1)
	v_cvt_f16_f32_e32 v34, v33
	ds_store_b16 v27, v34
	s_and_saveexec_b32 s22, vcc_lo
	s_cbranch_execz .LBB13_17
; %bb.16:                               ;   in Loop: Header=BB13_11 Depth=1
	v_add_co_u32 v34, s4, s20, v7
	s_delay_alu instid0(VALU_DEP_1)
	v_add_co_ci_u32_e64 v35, s4, s21, v8, s4
	global_load_b128 v[34:37], v[34:35], off offset:64
	s_waitcnt vmcnt(0)
	ds_store_b128 v28, v[34:37]
.LBB13_17:                              ;   in Loop: Header=BB13_11 Depth=1
	s_or_b32 exec_lo, exec_lo, s22
	s_and_saveexec_b32 s22, s3
	s_cbranch_execz .LBB13_19
; %bb.18:                               ;   in Loop: Header=BB13_11 Depth=1
	v_add_co_u32 v34, s4, s20, v9
	s_delay_alu instid0(VALU_DEP_1) | instskip(NEXT) | instid1(VALU_DEP_2)
	v_add_co_ci_u32_e64 v35, s4, s21, v10, s4
	v_add_co_u32 v34, s4, v34, v30
	s_delay_alu instid0(VALU_DEP_1)
	v_add_co_ci_u32_e64 v35, s4, 0, v35, s4
	global_load_b128 v[34:37], v[34:35], off
	s_waitcnt vmcnt(0)
	ds_store_b128 v29, v[34:37]
.LBB13_19:                              ;   in Loop: Header=BB13_11 Depth=1
	s_or_b32 exec_lo, exec_lo, s22
	v_sub_f32_e32 v32, v32, v1
	s_waitcnt lgkmcnt(0)
	s_barrier
	buffer_gl0_inv
	v_mul_f32_e32 v34, 0x3fb8aa3b, v32
	v_cmp_ngt_f32_e64 s4, 0xc2ce8ed0, v32
	s_delay_alu instid0(VALU_DEP_2) | instskip(SKIP_1) | instid1(VALU_DEP_1)
	v_fma_f32 v35, 0x3fb8aa3b, v32, -v34
	v_rndne_f32_e32 v38, v34
	v_dual_fmac_f32 v35, 0x32a5705f, v32 :: v_dual_sub_f32 v34, v34, v38
	v_cvt_i32_f32_e32 v38, v38
	s_delay_alu instid0(VALU_DEP_2) | instskip(NEXT) | instid1(VALU_DEP_1)
	v_add_f32_e32 v34, v34, v35
	v_exp_f32_e32 v39, v34
	ds_load_2addr_b32 v[42:43], v21 offset1:20
	ds_load_b128 v[34:37], v26
	ds_load_2addr_b32 v[44:45], v21 offset0:40 offset1:60
	ds_load_2addr_b32 v[46:47], v21 offset0:80 offset1:100
	v_ldexp_f32 v38, v39, v38
	s_delay_alu instid0(VALU_DEP_1) | instskip(SKIP_1) | instid1(VALU_DEP_1)
	v_cndmask_b32_e64 v38, 0, v38, s4
	v_cmp_nlt_f32_e64 s4, 0x42b17218, v32
	v_cndmask_b32_e64 v32, 0x7f800000, v38, s4
	s_waitcnt lgkmcnt(2)
	v_pk_mul_f16 v42, v42, v34 op_sel_hi:[1,0]
	ds_load_b128 v[38:41], v26 offset:16
	v_fmac_f32_e32 v33, v31, v32
	v_cvt_f16_f32_e32 v48, v32
	s_delay_alu instid0(VALU_DEP_1) | instskip(SKIP_1) | instid1(VALU_DEP_2)
	v_pk_fma_f16 v14, v14, v48, v42 op_sel_hi:[1,0,1]
	v_add_nc_u32_e32 v48, 0x400, v21
	v_pk_fma_f16 v14, v43, v34, v14 op_sel:[0,1,0]
	ds_load_2addr_b32 v[42:43], v21 offset0:120 offset1:140
	s_waitcnt lgkmcnt(3)
	v_pk_fma_f16 v14, v44, v35, v14 op_sel_hi:[1,0,1]
	s_delay_alu instid0(VALU_DEP_1) | instskip(SKIP_4) | instid1(VALU_DEP_1)
	v_pk_fma_f16 v14, v45, v35, v14 op_sel:[0,1,0]
	ds_load_2addr_b32 v[34:35], v21 offset0:160 offset1:180
	ds_load_2addr_b32 v[44:45], v21 offset0:200 offset1:220
	s_waitcnt lgkmcnt(4)
	v_pk_fma_f16 v14, v46, v36, v14 op_sel_hi:[1,0,1]
	v_pk_fma_f16 v14, v47, v36, v14 op_sel:[0,1,0]
	v_add_nc_u32_e32 v36, 0x200, v21
	ds_load_2addr_b32 v[46:47], v48 offset0:24 offset1:44
	s_waitcnt lgkmcnt(3)
	v_pk_fma_f16 v14, v42, v37, v14 op_sel_hi:[1,0,1]
	s_delay_alu instid0(VALU_DEP_1) | instskip(SKIP_3) | instid1(VALU_DEP_1)
	v_pk_fma_f16 v14, v43, v37, v14 op_sel:[0,1,0]
	ds_load_2addr_b32 v[42:43], v36 offset0:112 offset1:132
	s_waitcnt lgkmcnt(3)
	v_pk_fma_f16 v14, v34, v38, v14 op_sel_hi:[1,0,1]
	v_pk_fma_f16 v14, v35, v38, v14 op_sel:[0,1,0]
	ds_load_b128 v[34:37], v26 offset:32
	s_waitcnt lgkmcnt(3)
	v_pk_fma_f16 v14, v44, v39, v14 op_sel_hi:[1,0,1]
	s_delay_alu instid0(VALU_DEP_1) | instskip(SKIP_3) | instid1(VALU_DEP_1)
	v_pk_fma_f16 v14, v45, v39, v14 op_sel:[0,1,0]
	ds_load_2addr_b32 v[44:45], v48 offset0:64 offset1:84
	s_waitcnt lgkmcnt(2)
	v_pk_fma_f16 v14, v42, v40, v14 op_sel_hi:[1,0,1]
	v_pk_fma_f16 v14, v43, v40, v14 op_sel:[0,1,0]
	ds_load_2addr_b32 v[42:43], v48 offset0:104 offset1:124
	v_pk_fma_f16 v14, v46, v41, v14 op_sel_hi:[1,0,1]
	s_delay_alu instid0(VALU_DEP_1) | instskip(SKIP_4) | instid1(VALU_DEP_1)
	v_pk_fma_f16 v14, v47, v41, v14 op_sel:[0,1,0]
	ds_load_b128 v[38:41], v26 offset:48
	ds_load_2addr_b32 v[46:47], v48 offset0:144 offset1:164
	s_waitcnt lgkmcnt(3)
	v_pk_fma_f16 v14, v44, v34, v14 op_sel_hi:[1,0,1]
	v_pk_fma_f16 v14, v45, v34, v14 op_sel:[0,1,0]
	ds_load_2addr_b32 v[44:45], v48 offset0:184 offset1:204
	s_waitcnt lgkmcnt(3)
	v_pk_fma_f16 v14, v42, v35, v14 op_sel_hi:[1,0,1]
	s_delay_alu instid0(VALU_DEP_1) | instskip(SKIP_4) | instid1(VALU_DEP_2)
	v_pk_fma_f16 v14, v43, v35, v14 op_sel:[0,1,0]
	ds_load_2addr_b32 v[34:35], v48 offset0:224 offset1:244
	s_waitcnt lgkmcnt(2)
	v_pk_fma_f16 v14, v46, v36, v14 op_sel_hi:[1,0,1]
	v_add_nc_u32_e32 v46, 0x800, v21
	v_pk_fma_f16 v14, v47, v36, v14 op_sel:[0,1,0]
	ds_load_2addr_b32 v[42:43], v46 offset0:8 offset1:28
	s_waitcnt lgkmcnt(2)
	v_pk_fma_f16 v14, v44, v37, v14 op_sel_hi:[1,0,1]
	s_delay_alu instid0(VALU_DEP_1) | instskip(SKIP_3) | instid1(VALU_DEP_1)
	v_pk_fma_f16 v14, v45, v37, v14 op_sel:[0,1,0]
	ds_load_2addr_b32 v[36:37], v46 offset0:48 offset1:68
	s_waitcnt lgkmcnt(2)
	v_pk_fma_f16 v14, v34, v38, v14 op_sel_hi:[1,0,1]
	v_pk_fma_f16 v14, v35, v38, v14 op_sel:[0,1,0]
	ds_load_2addr_b32 v[34:35], v46 offset0:88 offset1:108
	s_waitcnt lgkmcnt(0)
	s_barrier
	buffer_gl0_inv
	v_pk_fma_f16 v14, v42, v39, v14 op_sel_hi:[1,0,1]
	s_load_b32 s4, s[8:9], 0x4
	s_delay_alu instid0(VALU_DEP_1) | instskip(NEXT) | instid1(VALU_DEP_1)
	v_pk_fma_f16 v14, v43, v39, v14 op_sel:[0,1,0]
	v_pk_fma_f16 v14, v36, v40, v14 op_sel_hi:[1,0,1]
	s_delay_alu instid0(VALU_DEP_1) | instskip(NEXT) | instid1(VALU_DEP_1)
	v_pk_fma_f16 v14, v37, v40, v14 op_sel:[0,1,0]
	v_pk_fma_f16 v14, v34, v41, v14 op_sel_hi:[1,0,1]
	s_waitcnt lgkmcnt(0)
	s_lshl_b32 s4, s4, 5
	s_delay_alu instid0(SALU_CYCLE_1) | instskip(NEXT) | instid1(VALU_DEP_1)
	s_add_i32 s16, s4, s16
	v_pk_fma_f16 v14, v35, v41, v14 op_sel:[0,1,0]
	s_cmp_lt_i32 s16, s34
	s_cbranch_scc0 .LBB13_21
; %bb.20:                               ;   in Loop: Header=BB13_11 Depth=1
	v_mov_b32_e32 v32, v1
	v_mov_b32_e32 v31, v33
	s_branch .LBB13_11
.LBB13_21:
	v_mov_b32_e32 v5, v13
.LBB13_22:
	v_cmp_lt_i32_e32 vcc_lo, v20, v15
	s_cmp_eq_u64 s[24:25], 0
	s_cselect_b32 s3, -1, 0
	s_cmp_lg_u32 s14, 0
	v_cndmask_b32_e32 v2, v5, v20, vcc_lo
	v_cmp_lt_i32_e32 vcc_lo, v19, v15
	s_cselect_b32 s4, -1, 0
	s_delay_alu instid0(SALU_CYCLE_1) | instskip(SKIP_4) | instid1(VALU_DEP_2)
	s_or_b32 s3, s4, s3
	v_cndmask_b32_e32 v3, v5, v19, vcc_lo
	v_cmp_lt_i32_e32 vcc_lo, v18, v15
	v_cndmask_b32_e32 v4, v5, v18, vcc_lo
	v_cmp_lt_i32_e32 vcc_lo, v17, v15
	v_lshlrev_b32_e32 v4, 2, v4
	v_lshlrev_b32_e32 v3, 2, v3
	;; [unrolled: 1-line block ×3, first 2 shown]
	ds_bpermute_b32 v2, v2, v33
	s_waitcnt lgkmcnt(0)
	v_add_f32_e32 v2, v33, v2
	ds_bpermute_b32 v3, v3, v2
	s_waitcnt lgkmcnt(0)
	v_add_f32_e32 v2, v2, v3
	ds_bpermute_b32 v3, v4, v2
	v_cndmask_b32_e32 v4, v5, v17, vcc_lo
	v_cmp_lt_i32_e32 vcc_lo, v16, v15
	s_delay_alu instid0(VALU_DEP_2)
	v_lshlrev_b32_e32 v4, 2, v4
	s_waitcnt lgkmcnt(0)
	v_add_f32_e32 v2, v2, v3
	ds_bpermute_b32 v3, v4, v2
	v_cndmask_b32_e32 v4, v5, v16, vcc_lo
	s_and_b32 vcc_lo, exec_lo, s3
	s_delay_alu instid0(VALU_DEP_1)
	v_lshlrev_b32_e32 v4, 2, v4
	s_waitcnt lgkmcnt(0)
	v_dual_add_f32 v2, v2, v3 :: v_dual_add_nc_u32 v3, s15, v12
	ds_bpermute_b32 v4, v4, v2
	s_waitcnt lgkmcnt(0)
	v_add_f32_e32 v2, v2, v4
	s_cbranch_vccnz .LBB13_24
; %bb.23:
	v_ashrrev_i32_e32 v4, 31, v3
	s_delay_alu instid0(VALU_DEP_1) | instskip(NEXT) | instid1(VALU_DEP_1)
	v_lshlrev_b64 v[4:5], 2, v[3:4]
	v_add_co_u32 v4, vcc_lo, s24, v4
	s_delay_alu instid0(VALU_DEP_2) | instskip(SKIP_3) | instid1(VALU_DEP_1)
	v_add_co_ci_u32_e32 v5, vcc_lo, s25, v5, vcc_lo
	global_load_b32 v4, v[4:5], off
	s_waitcnt vmcnt(0)
	v_dual_max_f32 v5, v1, v1 :: v_dual_max_f32 v6, v4, v4
	v_max_f32_e32 v5, v5, v6
	s_delay_alu instid0(VALU_DEP_1) | instskip(NEXT) | instid1(VALU_DEP_1)
	v_sub_f32_e32 v1, v1, v5
	v_mul_f32_e32 v6, 0x3fb8aa3b, v1
	v_sub_f32_e32 v4, v4, v5
	s_delay_alu instid0(VALU_DEP_2) | instskip(NEXT) | instid1(VALU_DEP_2)
	v_rndne_f32_e32 v9, v6
	v_mul_f32_e32 v7, 0x3fb8aa3b, v4
	s_delay_alu instid0(VALU_DEP_1) | instskip(SKIP_1) | instid1(VALU_DEP_1)
	v_fma_f32 v10, 0x3fb8aa3b, v4, -v7
	v_rndne_f32_e32 v12, v7
	v_sub_f32_e32 v7, v7, v12
	s_delay_alu instid0(VALU_DEP_3) | instskip(SKIP_3) | instid1(VALU_DEP_3)
	v_fmac_f32_e32 v10, 0x32a5705f, v4
	v_fma_f32 v8, 0x3fb8aa3b, v1, -v6
	v_sub_f32_e32 v6, v6, v9
	v_cmp_ngt_f32_e32 vcc_lo, 0xc2ce8ed0, v1
	v_dual_add_f32 v7, v7, v10 :: v_dual_fmac_f32 v8, 0x32a5705f, v1
	s_delay_alu instid0(VALU_DEP_1) | instskip(NEXT) | instid1(VALU_DEP_1)
	v_exp_f32_e32 v7, v7
	v_add_f32_e32 v6, v6, v8
	v_cvt_i32_f32_e32 v8, v9
	v_cvt_i32_f32_e32 v9, v12
	s_delay_alu instid0(VALU_DEP_3) | instskip(SKIP_3) | instid1(VALU_DEP_1)
	v_exp_f32_e32 v6, v6
	s_waitcnt_depctr 0xfff
	v_ldexp_f32 v7, v7, v9
	v_ldexp_f32 v6, v6, v8
	v_cndmask_b32_e32 v6, 0, v6, vcc_lo
	v_cmp_ngt_f32_e32 vcc_lo, 0xc2ce8ed0, v4
	s_delay_alu instid0(VALU_DEP_4) | instskip(SKIP_1) | instid1(VALU_DEP_4)
	v_cndmask_b32_e32 v7, 0, v7, vcc_lo
	v_cmp_nlt_f32_e32 vcc_lo, 0x42b17218, v1
	v_cndmask_b32_e32 v1, 0x7f800000, v6, vcc_lo
	v_cmp_nlt_f32_e32 vcc_lo, 0x42b17218, v4
	s_delay_alu instid0(VALU_DEP_4) | instskip(NEXT) | instid1(VALU_DEP_1)
	v_cndmask_b32_e32 v4, 0x7f800000, v7, vcc_lo
	v_fmac_f32_e32 v4, v2, v1
	s_delay_alu instid0(VALU_DEP_1) | instskip(SKIP_2) | instid1(VALU_DEP_2)
	v_mov_b32_e32 v2, v4
	v_cvt_f16_f32_e32 v6, v1
	v_mov_b32_e32 v1, v5
	v_pk_mul_f16 v14, v14, v6 op_sel_hi:[1,0]
.LBB13_24:
	s_load_b32 s0, s[0:1], 0xd4
	s_mul_i32 s12, s12, s6
	s_delay_alu instid0(SALU_CYCLE_1) | instskip(NEXT) | instid1(VALU_DEP_1)
	v_add3_u32 v4, s12, s13, v11
	v_mad_u64_u32 v[5:6], null, v4, s7, v[3:4]
	s_waitcnt lgkmcnt(0)
	s_delay_alu instid0(VALU_DEP_1)
	v_mad_u64_u32 v[3:4], null, s0, v5, s[14:15]
	s_cmp_lg_u32 s0, 1
	s_cselect_b32 s0, -1, 0
	s_and_saveexec_b32 s1, s2
	s_cbranch_execz .LBB13_26
; %bb.25:
	v_div_scale_f32 v4, null, v2, v2, 1.0
	v_div_scale_f32 v7, vcc_lo, 1.0, v2, 1.0
	v_cvt_f32_f16_e32 v9, v14
	s_delay_alu instid0(VALU_DEP_3) | instskip(SKIP_2) | instid1(VALU_DEP_1)
	v_rcp_f32_e32 v5, v4
	s_waitcnt_depctr 0xfff
	v_fma_f32 v6, -v4, v5, 1.0
	v_fmac_f32_e32 v5, v6, v5
	s_delay_alu instid0(VALU_DEP_1) | instskip(NEXT) | instid1(VALU_DEP_1)
	v_mul_f32_e32 v6, v7, v5
	v_fma_f32 v8, -v4, v6, v7
	s_delay_alu instid0(VALU_DEP_1) | instskip(NEXT) | instid1(VALU_DEP_1)
	v_fmac_f32_e32 v6, v8, v5
	v_fma_f32 v4, -v4, v6, v7
	v_mul_lo_u32 v7, v3, 40
	s_delay_alu instid0(VALU_DEP_2) | instskip(SKIP_2) | instid1(VALU_DEP_3)
	v_div_fmas_f32 v4, v4, v5, v6
	v_mov_b32_e32 v5, 0
	v_lshrrev_b32_e32 v6, 16, v14
	v_div_fixup_f32 v8, v4, v2, 1.0
	v_lshl_add_u32 v4, v0, 1, v7
	s_delay_alu instid0(VALU_DEP_3) | instskip(NEXT) | instid1(VALU_DEP_3)
	v_cvt_f32_f16_e32 v6, v6
	v_cndmask_b32_e64 v8, v8, 1.0, s0
	s_delay_alu instid0(VALU_DEP_3) | instskip(NEXT) | instid1(VALU_DEP_2)
	v_lshlrev_b64 v[4:5], 2, v[4:5]
	v_mul_f32_e32 v7, v8, v6
	v_mul_f32_e32 v6, v8, v9
	s_delay_alu instid0(VALU_DEP_3) | instskip(NEXT) | instid1(VALU_DEP_4)
	v_add_co_u32 v4, vcc_lo, s28, v4
	v_add_co_ci_u32_e32 v5, vcc_lo, s29, v5, vcc_lo
	global_store_b64 v[4:5], v[6:7], off
.LBB13_26:
	s_or_b32 exec_lo, exec_lo, s1
	v_cmp_eq_u32_e32 vcc_lo, 0, v0
	s_and_b32 s0, vcc_lo, s0
	s_delay_alu instid0(SALU_CYCLE_1)
	s_and_saveexec_b32 s1, s0
	s_cbranch_execz .LBB13_28
; %bb.27:
	v_ashrrev_i32_e32 v4, 31, v3
	s_delay_alu instid0(VALU_DEP_1) | instskip(NEXT) | instid1(VALU_DEP_1)
	v_lshlrev_b64 v[3:4], 3, v[3:4]
	v_add_co_u32 v3, vcc_lo, s30, v3
	s_delay_alu instid0(VALU_DEP_2)
	v_add_co_ci_u32_e32 v4, vcc_lo, s31, v4, vcc_lo
	global_store_b64 v[3:4], v[1:2], off
.LBB13_28:
	s_nop 0
	s_sendmsg sendmsg(MSG_DEALLOC_VGPRS)
	s_endpgm
	.section	.rodata,"a",@progbits
	.p2align	6, 0x0
	.amdhsa_kernel _ZL15flash_attn_tileILi40ELi40ELi1ELi8ELb0EEvPKcS1_S1_S1_S1_PKiPfP15HIP_vector_typeIfLj2EEffffjfiS5_IjLj3EEiiiiiiiiiiiliiliiiiil
		.amdhsa_group_segment_fixed_size 4320
		.amdhsa_private_segment_fixed_size 0
		.amdhsa_kernarg_size 464
		.amdhsa_user_sgpr_count 13
		.amdhsa_user_sgpr_dispatch_ptr 0
		.amdhsa_user_sgpr_queue_ptr 0
		.amdhsa_user_sgpr_kernarg_segment_ptr 1
		.amdhsa_user_sgpr_dispatch_id 0
		.amdhsa_user_sgpr_private_segment_size 0
		.amdhsa_wavefront_size32 1
		.amdhsa_uses_dynamic_stack 0
		.amdhsa_enable_private_segment 0
		.amdhsa_system_sgpr_workgroup_id_x 1
		.amdhsa_system_sgpr_workgroup_id_y 1
		.amdhsa_system_sgpr_workgroup_id_z 1
		.amdhsa_system_sgpr_workgroup_info 0
		.amdhsa_system_vgpr_workitem_id 1
		.amdhsa_next_free_vgpr 49
		.amdhsa_next_free_sgpr 43
		.amdhsa_reserve_vcc 1
		.amdhsa_float_round_mode_32 0
		.amdhsa_float_round_mode_16_64 0
		.amdhsa_float_denorm_mode_32 3
		.amdhsa_float_denorm_mode_16_64 3
		.amdhsa_dx10_clamp 1
		.amdhsa_ieee_mode 1
		.amdhsa_fp16_overflow 0
		.amdhsa_workgroup_processor_mode 1
		.amdhsa_memory_ordered 1
		.amdhsa_forward_progress 0
		.amdhsa_shared_vgpr_count 0
		.amdhsa_exception_fp_ieee_invalid_op 0
		.amdhsa_exception_fp_denorm_src 0
		.amdhsa_exception_fp_ieee_div_zero 0
		.amdhsa_exception_fp_ieee_overflow 0
		.amdhsa_exception_fp_ieee_underflow 0
		.amdhsa_exception_fp_ieee_inexact 0
		.amdhsa_exception_int_div_zero 0
	.end_amdhsa_kernel
	.section	.text._ZL15flash_attn_tileILi40ELi40ELi1ELi8ELb0EEvPKcS1_S1_S1_S1_PKiPfP15HIP_vector_typeIfLj2EEffffjfiS5_IjLj3EEiiiiiiiiiiiliiliiiiil,"axG",@progbits,_ZL15flash_attn_tileILi40ELi40ELi1ELi8ELb0EEvPKcS1_S1_S1_S1_PKiPfP15HIP_vector_typeIfLj2EEffffjfiS5_IjLj3EEiiiiiiiiiiiliiliiiiil,comdat
.Lfunc_end13:
	.size	_ZL15flash_attn_tileILi40ELi40ELi1ELi8ELb0EEvPKcS1_S1_S1_S1_PKiPfP15HIP_vector_typeIfLj2EEffffjfiS5_IjLj3EEiiiiiiiiiiiliiliiiiil, .Lfunc_end13-_ZL15flash_attn_tileILi40ELi40ELi1ELi8ELb0EEvPKcS1_S1_S1_S1_PKiPfP15HIP_vector_typeIfLj2EEffffjfiS5_IjLj3EEiiiiiiiiiiiliiliiiiil
                                        ; -- End function
	.section	.AMDGPU.csdata,"",@progbits
; Kernel info:
; codeLenInByte = 4424
; NumSgprs: 45
; NumVgprs: 49
; ScratchSize: 0
; MemoryBound: 0
; FloatMode: 240
; IeeeMode: 1
; LDSByteSize: 4320 bytes/workgroup (compile time only)
; SGPRBlocks: 5
; VGPRBlocks: 6
; NumSGPRsForWavesPerEU: 45
; NumVGPRsForWavesPerEU: 49
; Occupancy: 16
; WaveLimiterHint : 1
; COMPUTE_PGM_RSRC2:SCRATCH_EN: 0
; COMPUTE_PGM_RSRC2:USER_SGPR: 13
; COMPUTE_PGM_RSRC2:TRAP_HANDLER: 0
; COMPUTE_PGM_RSRC2:TGID_X_EN: 1
; COMPUTE_PGM_RSRC2:TGID_Y_EN: 1
; COMPUTE_PGM_RSRC2:TGID_Z_EN: 1
; COMPUTE_PGM_RSRC2:TIDIG_COMP_CNT: 1
	.section	.text._ZL25flash_attn_mask_to_KV_maxILi1EEvPK7__half2Piiii,"axG",@progbits,_ZL25flash_attn_mask_to_KV_maxILi1EEvPK7__half2Piiii,comdat
	.globl	_ZL25flash_attn_mask_to_KV_maxILi1EEvPK7__half2Piiii ; -- Begin function _ZL25flash_attn_mask_to_KV_maxILi1EEvPK7__half2Piiii
	.p2align	8
	.type	_ZL25flash_attn_mask_to_KV_maxILi1EEvPK7__half2Piiii,@function
_ZL25flash_attn_mask_to_KV_maxILi1EEvPK7__half2Piiii: ; @_ZL25flash_attn_mask_to_KV_maxILi1EEvPK7__half2Piiii
; %bb.0:
	s_load_b128 s[4:7], s[0:1], 0x0
	s_mov_b32 s2, exec_lo
	v_cmpx_gt_u32_e32 32, v0
	s_cbranch_execz .LBB14_2
; %bb.1:
	v_dual_mov_b32 v2, 1 :: v_dual_lshlrev_b32 v1, 2, v0
	ds_store_b32 v1, v2
.LBB14_2:
	s_or_b32 exec_lo, exec_lo, s2
	s_clause 0x1
	s_load_b128 s[8:11], s[0:1], 0x10
	s_load_b32 s1, s[0:1], 0x20
	v_dual_mov_b32 v2, 0 :: v_dual_and_b32 v1, 31, v0
	v_lshrrev_b32_e32 v3, 3, v0
	s_waitcnt lgkmcnt(0)
	s_barrier
	s_delay_alu instid0(VALU_DEP_2) | instskip(SKIP_3) | instid1(SALU_CYCLE_1)
	v_lshlrev_b32_e32 v4, 2, v1
	buffer_gl0_inv
	s_mul_i32 s0, s15, s10
	s_mul_i32 s2, s14, s9
	s_add_i32 s2, s0, s2
	v_cmp_eq_u32_e64 s0, 0, v1
	s_ashr_i32 s3, s2, 31
	s_delay_alu instid0(SALU_CYCLE_1) | instskip(NEXT) | instid1(SALU_CYCLE_1)
	s_lshl_b64 s[10:11], s[2:3], 2
	s_add_u32 s3, s4, s10
	s_addc_u32 s4, s5, s11
	s_lshl_b32 s5, s8, 8
	s_branch .LBB14_4
	.p2align	6
.LBB14_3:                               ;   in Loop: Header=BB14_4 Depth=1
	s_or_b32 exec_lo, exec_lo, s9
	s_waitcnt lgkmcnt(0)
	s_barrier
	buffer_gl0_inv
	ds_load_b32 v1, v4
	s_waitcnt lgkmcnt(0)
	s_barrier
	buffer_gl0_inv
	;;#ASMSTART
	;;#ASMEND
	v_cmp_ne_u32_e32 vcc_lo, 0, v1
	s_cmp_lg_u32 vcc_lo, exec_lo
	s_cselect_b32 s8, -1, 0
	s_delay_alu instid0(SALU_CYCLE_1)
	s_and_b32 vcc_lo, exec_lo, s8
	s_cbranch_vccnz .LBB14_8
.LBB14_4:                               ; =>This Inner Loop Header: Depth=1
	s_mov_b32 s2, s5
	s_addk_i32 s5, 0xff00
	s_delay_alu instid0(SALU_CYCLE_1)
	s_cmp_lt_i32 s5, 0
	s_cbranch_scc1 .LBB14_7
; %bb.5:                                ;   in Loop: Header=BB14_4 Depth=1
	s_lshr_b32 s9, s5, 1
	s_mov_b32 s8, exec_lo
	v_add_nc_u32_e32 v1, s9, v0
	s_delay_alu instid0(VALU_DEP_1) | instskip(NEXT) | instid1(VALU_DEP_1)
	v_lshlrev_b64 v[5:6], 2, v[1:2]
	v_add_co_u32 v5, vcc_lo, s3, v5
	s_delay_alu instid0(VALU_DEP_2) | instskip(SKIP_4) | instid1(VALU_DEP_2)
	v_add_co_ci_u32_e32 v6, vcc_lo, s4, v6, vcc_lo
	global_load_b32 v1, v[5:6], off
	s_waitcnt vmcnt(0)
	v_lshrrev_b32_e32 v5, 16, v1
	v_cmp_class_f16_e64 s9, v1, 0x204
	v_and_b32_e32 v5, 0x7fff, v5
	s_delay_alu instid0(VALU_DEP_1) | instskip(NEXT) | instid1(VALU_DEP_3)
	v_cmp_eq_f16_e32 vcc_lo, 0x7c00, v5
	s_and_b32 s9, s9, vcc_lo
	s_delay_alu instid0(SALU_CYCLE_1) | instskip(SKIP_1) | instid1(VALU_DEP_1)
	v_cndmask_b32_e64 v1, 0, 1, s9
	;;#ASMSTART
	;;#ASMEND
	v_cmp_ne_u32_e32 vcc_lo, 0, v1
	s_and_saveexec_b32 s9, s0
	s_cbranch_execz .LBB14_3
; %bb.6:                                ;   in Loop: Header=BB14_4 Depth=1
	s_cmp_eq_u32 vcc_lo, s8
	s_cselect_b32 s8, -1, 0
	s_delay_alu instid0(SALU_CYCLE_1)
	v_cndmask_b32_e64 v1, 0, 1, s8
	ds_store_b32 v3, v1
	s_branch .LBB14_3
.LBB14_7:                               ;   in Loop: Header=BB14_4 Depth=1
                                        ; implicit-def: $sgpr5
	s_cbranch_execz .LBB14_4
.LBB14_8:
	s_mov_b32 s0, exec_lo
	v_cmpx_eq_u32_e32 0, v0
	s_cbranch_execz .LBB14_10
; %bb.9:
	s_mul_i32 s0, s1, s15
	v_dual_mov_b32 v0, 0 :: v_dual_mov_b32 v1, s2
	s_add_i32 s0, s0, s14
	s_delay_alu instid0(SALU_CYCLE_1) | instskip(NEXT) | instid1(SALU_CYCLE_1)
	s_ashr_i32 s1, s0, 31
	s_lshl_b64 s[0:1], s[0:1], 2
	s_delay_alu instid0(SALU_CYCLE_1)
	s_add_u32 s0, s6, s0
	s_addc_u32 s1, s7, s1
	global_store_b32 v0, v1, s[0:1]
.LBB14_10:
	s_nop 0
	s_sendmsg sendmsg(MSG_DEALLOC_VGPRS)
	s_endpgm
	.section	.rodata,"a",@progbits
	.p2align	6, 0x0
	.amdhsa_kernel _ZL25flash_attn_mask_to_KV_maxILi1EEvPK7__half2Piiii
		.amdhsa_group_segment_fixed_size 128
		.amdhsa_private_segment_fixed_size 0
		.amdhsa_kernarg_size 288
		.amdhsa_user_sgpr_count 14
		.amdhsa_user_sgpr_dispatch_ptr 0
		.amdhsa_user_sgpr_queue_ptr 0
		.amdhsa_user_sgpr_kernarg_segment_ptr 1
		.amdhsa_user_sgpr_dispatch_id 0
		.amdhsa_user_sgpr_private_segment_size 0
		.amdhsa_wavefront_size32 1
		.amdhsa_uses_dynamic_stack 0
		.amdhsa_enable_private_segment 0
		.amdhsa_system_sgpr_workgroup_id_x 1
		.amdhsa_system_sgpr_workgroup_id_y 1
		.amdhsa_system_sgpr_workgroup_id_z 0
		.amdhsa_system_sgpr_workgroup_info 0
		.amdhsa_system_vgpr_workitem_id 0
		.amdhsa_next_free_vgpr 7
		.amdhsa_next_free_sgpr 16
		.amdhsa_reserve_vcc 1
		.amdhsa_float_round_mode_32 0
		.amdhsa_float_round_mode_16_64 0
		.amdhsa_float_denorm_mode_32 3
		.amdhsa_float_denorm_mode_16_64 3
		.amdhsa_dx10_clamp 1
		.amdhsa_ieee_mode 1
		.amdhsa_fp16_overflow 0
		.amdhsa_workgroup_processor_mode 1
		.amdhsa_memory_ordered 1
		.amdhsa_forward_progress 0
		.amdhsa_shared_vgpr_count 0
		.amdhsa_exception_fp_ieee_invalid_op 0
		.amdhsa_exception_fp_denorm_src 0
		.amdhsa_exception_fp_ieee_div_zero 0
		.amdhsa_exception_fp_ieee_overflow 0
		.amdhsa_exception_fp_ieee_underflow 0
		.amdhsa_exception_fp_ieee_inexact 0
		.amdhsa_exception_int_div_zero 0
	.end_amdhsa_kernel
	.section	.text._ZL25flash_attn_mask_to_KV_maxILi1EEvPK7__half2Piiii,"axG",@progbits,_ZL25flash_attn_mask_to_KV_maxILi1EEvPK7__half2Piiii,comdat
.Lfunc_end14:
	.size	_ZL25flash_attn_mask_to_KV_maxILi1EEvPK7__half2Piiii, .Lfunc_end14-_ZL25flash_attn_mask_to_KV_maxILi1EEvPK7__half2Piiii
                                        ; -- End function
	.section	.AMDGPU.csdata,"",@progbits
; Kernel info:
; codeLenInByte = 456
; NumSgprs: 18
; NumVgprs: 7
; ScratchSize: 0
; MemoryBound: 0
; FloatMode: 240
; IeeeMode: 1
; LDSByteSize: 128 bytes/workgroup (compile time only)
; SGPRBlocks: 2
; VGPRBlocks: 0
; NumSGPRsForWavesPerEU: 18
; NumVGPRsForWavesPerEU: 7
; Occupancy: 16
; WaveLimiterHint : 0
; COMPUTE_PGM_RSRC2:SCRATCH_EN: 0
; COMPUTE_PGM_RSRC2:USER_SGPR: 14
; COMPUTE_PGM_RSRC2:TRAP_HANDLER: 0
; COMPUTE_PGM_RSRC2:TGID_X_EN: 1
; COMPUTE_PGM_RSRC2:TGID_Y_EN: 1
; COMPUTE_PGM_RSRC2:TGID_Z_EN: 0
; COMPUTE_PGM_RSRC2:TIDIG_COMP_CNT: 0
	.section	.text._ZL33flash_attn_stream_k_fixup_uniformILi40ELi1ELi8EEvPfPK15HIP_vector_typeIfLj2EEiiiiiiS1_IjLj3EES5_S5_,"axG",@progbits,_ZL33flash_attn_stream_k_fixup_uniformILi40ELi1ELi8EEvPfPK15HIP_vector_typeIfLj2EEiiiiiiS1_IjLj3EES5_S5_,comdat
	.globl	_ZL33flash_attn_stream_k_fixup_uniformILi40ELi1ELi8EEvPfPK15HIP_vector_typeIfLj2EEiiiiiiS1_IjLj3EES5_S5_ ; -- Begin function _ZL33flash_attn_stream_k_fixup_uniformILi40ELi1ELi8EEvPfPK15HIP_vector_typeIfLj2EEiiiiiiS1_IjLj3EES5_S5_
	.p2align	8
	.type	_ZL33flash_attn_stream_k_fixup_uniformILi40ELi1ELi8EEvPfPK15HIP_vector_typeIfLj2EEiiiiiiS1_IjLj3EES5_S5_,@function
_ZL33flash_attn_stream_k_fixup_uniformILi40ELi1ELi8EEvPfPK15HIP_vector_typeIfLj2EEiiiiiiS1_IjLj3EES5_S5_: ; @_ZL33flash_attn_stream_k_fixup_uniformILi40ELi1ELi8EEvPfPK15HIP_vector_typeIfLj2EEiiiiiiS1_IjLj3EES5_S5_
; %bb.0:
	s_clause 0x1
	s_load_b256 s[4:11], s[0:1], 0x1c
	s_load_b128 s[16:19], s[0:1], 0x3c
	s_waitcnt lgkmcnt(0)
	s_mul_hi_u32 s2, s7, s13
	s_delay_alu instid0(SALU_CYCLE_1) | instskip(NEXT) | instid1(SALU_CYCLE_1)
	s_add_i32 s2, s13, s2
	s_lshr_b32 s7, s2, s8
	s_delay_alu instid0(SALU_CYCLE_1) | instskip(NEXT) | instid1(SALU_CYCLE_1)
	s_mul_i32 s2, s7, s9
	s_sub_i32 s9, s13, s2
	s_load_b64 s[2:3], s[0:1], 0x10
	s_mul_hi_u32 s8, s9, s10
	s_delay_alu instid0(SALU_CYCLE_1) | instskip(NEXT) | instid1(SALU_CYCLE_1)
	s_add_i32 s8, s9, s8
	s_lshr_b32 s8, s8, s11
	s_delay_alu instid0(SALU_CYCLE_1) | instskip(NEXT) | instid1(SALU_CYCLE_1)
	s_mul_i32 s10, s8, s16
	s_sub_i32 s9, s9, s10
	s_delay_alu instid0(SALU_CYCLE_1) | instskip(NEXT) | instid1(SALU_CYCLE_1)
	s_mul_hi_u32 s10, s9, s17
	s_add_i32 s10, s9, s10
	s_delay_alu instid0(SALU_CYCLE_1) | instskip(NEXT) | instid1(SALU_CYCLE_1)
	s_lshr_b32 s10, s10, s18
	s_mul_i32 s11, s10, s19
	s_lshl_b32 s10, s10, 3
	s_sub_i32 s9, s9, s11
	s_delay_alu instid0(SALU_CYCLE_1) | instskip(SKIP_4) | instid1(SALU_CYCLE_1)
	s_add_i32 s9, s9, s14
	s_waitcnt lgkmcnt(0)
	s_cmp_lt_i32 s9, s2
	s_cselect_b32 s11, -1, 0
	s_add_i32 s10, s10, s15
	s_cmp_lt_i32 s10, s5
	s_cselect_b32 s12, -1, 0
	s_delay_alu instid0(SALU_CYCLE_1) | instskip(NEXT) | instid1(SALU_CYCLE_1)
	s_and_b32 s11, s11, s12
	s_and_not1_b32 vcc_lo, exec_lo, s11
	s_cbranch_vccnz .LBB15_6
; %bb.1:
	s_mul_i32 s7, s7, s2
	s_mul_i32 s8, s8, s5
	s_add_i32 s2, s9, s7
	s_add_i32 s5, s10, s8
	s_mul_i32 s7, s2, s3
	s_load_b128 s[0:3], s[0:1], 0x0
	s_add_i32 s5, s5, s7
	s_delay_alu instid0(SALU_CYCLE_1) | instskip(SKIP_1) | instid1(SALU_CYCLE_1)
	v_mad_u64_u32 v[1:2], null, s5, 40, v[0:1]
	s_mul_i32 s5, s13, s6
	s_add_i32 s9, s5, s6
	s_delay_alu instid0(VALU_DEP_1) | instskip(NEXT) | instid1(VALU_DEP_1)
	v_ashrrev_i32_e32 v2, 31, v1
	v_lshlrev_b64 v[1:2], 2, v[1:2]
	s_waitcnt lgkmcnt(0)
	s_delay_alu instid0(VALU_DEP_1) | instskip(NEXT) | instid1(VALU_DEP_2)
	v_add_co_u32 v1, vcc_lo, s0, v1
	v_add_co_ci_u32_e32 v2, vcc_lo, s1, v2, vcc_lo
	s_add_i32 s0, s14, s9
	s_delay_alu instid0(SALU_CYCLE_1) | instskip(SKIP_2) | instid1(SALU_CYCLE_1)
	s_lshl_b32 s0, s0, 3
	global_load_b32 v5, v[1:2], off
	s_add_i32 s0, s0, s15
	s_add_i32 s0, s0, -8
	s_delay_alu instid0(SALU_CYCLE_1) | instskip(NEXT) | instid1(SALU_CYCLE_1)
	s_ashr_i32 s1, s0, 31
	s_lshl_b64 s[0:1], s[0:1], 3
	s_delay_alu instid0(SALU_CYCLE_1)
	s_add_u32 s0, s2, s0
	s_addc_u32 s1, s3, s1
	s_add_i32 s7, s9, -2
	s_load_b32 s10, s[0:1], 0x4
	s_cmp_lt_i32 s7, s5
	s_cbranch_scc1 .LBB15_4
; %bb.2:
	s_load_b32 s11, s[0:1], 0x0
	s_lshl_b32 s16, s4, 5
	s_waitcnt lgkmcnt(0)
	v_mov_b32_e32 v6, s10
	s_ashr_i32 s17, s16, 31
	s_delay_alu instid0(SALU_CYCLE_1) | instskip(NEXT) | instid1(SALU_CYCLE_1)
	s_lshl_b64 s[0:1], s[16:17], 2
	s_add_u32 s7, s2, s0
	s_addc_u32 s8, s3, s1
	s_add_i32 s13, s13, 1
	s_mul_i32 s1, s14, 0x140
	s_mul_i32 s0, s6, s13
	;; [unrolled: 1-line block ×3, first 2 shown]
	s_add_i32 s4, s14, s4
	s_mulk_i32 s0, 0x140
	s_add_i32 s1, s6, s1
	s_add_i32 s4, s4, s9
	;; [unrolled: 1-line block ×3, first 2 shown]
	s_lshl_b32 s0, s4, 3
	v_add3_u32 v3, s1, v0, 0xfffffd80
	v_mov_b32_e32 v0, s11
	s_add_i32 s0, s15, s0
	s_add_i32 s4, s9, -1
	s_add_i32 s0, s0, -16
.LBB15_3:                               ; =>This Inner Loop Header: Depth=1
	s_delay_alu instid0(VALU_DEP_2) | instskip(SKIP_1) | instid1(SALU_CYCLE_1)
	v_ashrrev_i32_e32 v4, 31, v3
	s_ashr_i32 s1, s0, 31
	s_lshl_b64 s[10:11], s[0:1], 3
	s_delay_alu instid0(SALU_CYCLE_1) | instskip(NEXT) | instid1(VALU_DEP_1)
	s_add_u32 s10, s2, s10
	v_lshlrev_b64 v[7:8], 2, v[3:4]
	s_addc_u32 s11, s3, s11
	s_add_i32 s4, s4, -1
	s_add_i32 s0, s0, -8
	s_cmp_le_i32 s4, s5
	s_load_b64 s[10:11], s[10:11], 0x0
	v_add_co_u32 v7, vcc_lo, s7, v7
	v_add_co_ci_u32_e32 v8, vcc_lo, s8, v8, vcc_lo
	global_load_b32 v4, v[7:8], off
	v_max_f32_e32 v7, v0, v0
	s_waitcnt lgkmcnt(0)
	v_max_f32_e64 v8, s10, s10
	s_delay_alu instid0(VALU_DEP_1) | instskip(NEXT) | instid1(VALU_DEP_1)
	v_max_f32_e32 v7, v7, v8
	v_sub_f32_e32 v8, s10, v7
	s_delay_alu instid0(VALU_DEP_1) | instskip(NEXT) | instid1(VALU_DEP_1)
	v_dual_sub_f32 v0, v0, v7 :: v_dual_mul_f32 v9, 0x3fb8aa3b, v8
	v_fma_f32 v10, 0x3fb8aa3b, v8, -v9
	v_rndne_f32_e32 v11, v9
	s_delay_alu instid0(VALU_DEP_3) | instskip(NEXT) | instid1(VALU_DEP_2)
	v_mul_f32_e32 v12, 0x3fb8aa3b, v0
	v_dual_fmac_f32 v10, 0x32a5705f, v8 :: v_dual_sub_f32 v9, v9, v11
	v_cvt_i32_f32_e32 v11, v11
	s_delay_alu instid0(VALU_DEP_3) | instskip(SKIP_1) | instid1(VALU_DEP_4)
	v_fma_f32 v13, 0x3fb8aa3b, v0, -v12
	v_rndne_f32_e32 v14, v12
	v_add_f32_e32 v9, v9, v10
	v_cmp_ngt_f32_e32 vcc_lo, 0xc2ce8ed0, v8
	s_delay_alu instid0(VALU_DEP_3) | instskip(NEXT) | instid1(VALU_DEP_3)
	v_sub_f32_e32 v10, v12, v14
	v_exp_f32_e32 v9, v9
	s_waitcnt_depctr 0xfff
	v_ldexp_f32 v9, v9, v11
	v_cvt_i32_f32_e32 v11, v14
	s_delay_alu instid0(VALU_DEP_2) | instskip(SKIP_1) | instid1(VALU_DEP_2)
	v_cndmask_b32_e32 v9, 0, v9, vcc_lo
	v_cmp_nlt_f32_e32 vcc_lo, 0x42b17218, v8
	v_cndmask_b32_e32 v9, 0x7f800000, v9, vcc_lo
	v_cmp_ngt_f32_e32 vcc_lo, 0xc2ce8ed0, v0
	v_fmac_f32_e32 v13, 0x32a5705f, v0
	s_delay_alu instid0(VALU_DEP_1) | instskip(NEXT) | instid1(VALU_DEP_1)
	v_add_f32_e32 v10, v10, v13
	v_exp_f32_e32 v10, v10
	s_waitcnt_depctr 0xfff
	v_ldexp_f32 v10, v10, v11
	s_delay_alu instid0(VALU_DEP_1)
	v_dual_mov_b32 v11, v6 :: v_dual_cndmask_b32 v10, 0, v10
	v_cmp_le_f32_e32 vcc_lo, 0xc1a00000, v8
	s_waitcnt vmcnt(1)
	v_dual_cndmask_b32 v8, 0, v9 :: v_dual_mov_b32 v9, v5
	v_cmp_nlt_f32_e32 vcc_lo, 0x42b17218, v0
	v_cndmask_b32_e32 v5, 0x7f800000, v10, vcc_lo
	s_delay_alu instid0(VALU_DEP_3) | instskip(SKIP_2) | instid1(VALU_DEP_3)
	v_mul_f32_e32 v10, s11, v8
	v_cmp_le_f32_e32 vcc_lo, 0xc1a00000, v0
	v_mov_b32_e32 v0, v7
	v_mov_b32_e32 v6, v10
	s_waitcnt vmcnt(0)
	v_dual_cndmask_b32 v12, 0, v5 :: v_dual_mul_f32 v5, v4, v8
	s_delay_alu instid0(VALU_DEP_1) | instskip(NEXT) | instid1(VALU_DEP_2)
	v_dual_fmac_f32 v6, v11, v12 :: v_dual_add_nc_u32 v3, 0xfffffec0, v3
	v_fmac_f32_e32 v5, v9, v12
	s_cbranch_scc0 .LBB15_3
	s_branch .LBB15_5
.LBB15_4:
	s_waitcnt lgkmcnt(0)
	v_mov_b32_e32 v6, s10
.LBB15_5:
	s_waitcnt vmcnt(0)
	s_delay_alu instid0(VALU_DEP_1) | instskip(NEXT) | instid1(VALU_DEP_1)
	v_div_scale_f32 v0, null, v6, v6, v5
	v_rcp_f32_e32 v3, v0
	s_waitcnt_depctr 0xfff
	v_fma_f32 v4, -v0, v3, 1.0
	s_delay_alu instid0(VALU_DEP_1) | instskip(SKIP_1) | instid1(VALU_DEP_1)
	v_fmac_f32_e32 v3, v4, v3
	v_div_scale_f32 v4, vcc_lo, v5, v6, v5
	v_mul_f32_e32 v7, v4, v3
	s_delay_alu instid0(VALU_DEP_1) | instskip(NEXT) | instid1(VALU_DEP_1)
	v_fma_f32 v8, -v0, v7, v4
	v_fmac_f32_e32 v7, v8, v3
	s_delay_alu instid0(VALU_DEP_1) | instskip(NEXT) | instid1(VALU_DEP_1)
	v_fma_f32 v0, -v0, v7, v4
	v_div_fmas_f32 v0, v0, v3, v7
	s_delay_alu instid0(VALU_DEP_1)
	v_div_fixup_f32 v0, v0, v6, v5
	global_store_b32 v[1:2], v0, off
.LBB15_6:
	s_nop 0
	s_sendmsg sendmsg(MSG_DEALLOC_VGPRS)
	s_endpgm
	.section	.rodata,"a",@progbits
	.p2align	6, 0x0
	.amdhsa_kernel _ZL33flash_attn_stream_k_fixup_uniformILi40ELi1ELi8EEvPfPK15HIP_vector_typeIfLj2EEiiiiiiS1_IjLj3EES5_S5_
		.amdhsa_group_segment_fixed_size 0
		.amdhsa_private_segment_fixed_size 0
		.amdhsa_kernarg_size 76
		.amdhsa_user_sgpr_count 13
		.amdhsa_user_sgpr_dispatch_ptr 0
		.amdhsa_user_sgpr_queue_ptr 0
		.amdhsa_user_sgpr_kernarg_segment_ptr 1
		.amdhsa_user_sgpr_dispatch_id 0
		.amdhsa_user_sgpr_private_segment_size 0
		.amdhsa_wavefront_size32 1
		.amdhsa_uses_dynamic_stack 0
		.amdhsa_enable_private_segment 0
		.amdhsa_system_sgpr_workgroup_id_x 1
		.amdhsa_system_sgpr_workgroup_id_y 1
		.amdhsa_system_sgpr_workgroup_id_z 1
		.amdhsa_system_sgpr_workgroup_info 0
		.amdhsa_system_vgpr_workitem_id 0
		.amdhsa_next_free_vgpr 15
		.amdhsa_next_free_sgpr 20
		.amdhsa_reserve_vcc 1
		.amdhsa_float_round_mode_32 0
		.amdhsa_float_round_mode_16_64 0
		.amdhsa_float_denorm_mode_32 3
		.amdhsa_float_denorm_mode_16_64 3
		.amdhsa_dx10_clamp 1
		.amdhsa_ieee_mode 1
		.amdhsa_fp16_overflow 0
		.amdhsa_workgroup_processor_mode 1
		.amdhsa_memory_ordered 1
		.amdhsa_forward_progress 0
		.amdhsa_shared_vgpr_count 0
		.amdhsa_exception_fp_ieee_invalid_op 0
		.amdhsa_exception_fp_denorm_src 0
		.amdhsa_exception_fp_ieee_div_zero 0
		.amdhsa_exception_fp_ieee_overflow 0
		.amdhsa_exception_fp_ieee_underflow 0
		.amdhsa_exception_fp_ieee_inexact 0
		.amdhsa_exception_int_div_zero 0
	.end_amdhsa_kernel
	.section	.text._ZL33flash_attn_stream_k_fixup_uniformILi40ELi1ELi8EEvPfPK15HIP_vector_typeIfLj2EEiiiiiiS1_IjLj3EES5_S5_,"axG",@progbits,_ZL33flash_attn_stream_k_fixup_uniformILi40ELi1ELi8EEvPfPK15HIP_vector_typeIfLj2EEiiiiiiS1_IjLj3EES5_S5_,comdat
.Lfunc_end15:
	.size	_ZL33flash_attn_stream_k_fixup_uniformILi40ELi1ELi8EEvPfPK15HIP_vector_typeIfLj2EEiiiiiiS1_IjLj3EES5_S5_, .Lfunc_end15-_ZL33flash_attn_stream_k_fixup_uniformILi40ELi1ELi8EEvPfPK15HIP_vector_typeIfLj2EEiiiiiiS1_IjLj3EES5_S5_
                                        ; -- End function
	.section	.AMDGPU.csdata,"",@progbits
; Kernel info:
; codeLenInByte = 968
; NumSgprs: 22
; NumVgprs: 15
; ScratchSize: 0
; MemoryBound: 0
; FloatMode: 240
; IeeeMode: 1
; LDSByteSize: 0 bytes/workgroup (compile time only)
; SGPRBlocks: 2
; VGPRBlocks: 1
; NumSGPRsForWavesPerEU: 22
; NumVGPRsForWavesPerEU: 15
; Occupancy: 16
; WaveLimiterHint : 0
; COMPUTE_PGM_RSRC2:SCRATCH_EN: 0
; COMPUTE_PGM_RSRC2:USER_SGPR: 13
; COMPUTE_PGM_RSRC2:TRAP_HANDLER: 0
; COMPUTE_PGM_RSRC2:TGID_X_EN: 1
; COMPUTE_PGM_RSRC2:TGID_Y_EN: 1
; COMPUTE_PGM_RSRC2:TGID_Z_EN: 1
; COMPUTE_PGM_RSRC2:TIDIG_COMP_CNT: 0
	.section	.text._ZL33flash_attn_stream_k_fixup_generalILi40ELi1ELi8EEvPfPK15HIP_vector_typeIfLj2EEiiiiS1_IjLj3EES5_S5_S5_,"axG",@progbits,_ZL33flash_attn_stream_k_fixup_generalILi40ELi1ELi8EEvPfPK15HIP_vector_typeIfLj2EEiiiiS1_IjLj3EES5_S5_S5_,comdat
	.globl	_ZL33flash_attn_stream_k_fixup_generalILi40ELi1ELi8EEvPfPK15HIP_vector_typeIfLj2EEiiiiS1_IjLj3EES5_S5_S5_ ; -- Begin function _ZL33flash_attn_stream_k_fixup_generalILi40ELi1ELi8EEvPfPK15HIP_vector_typeIfLj2EEiiiiS1_IjLj3EES5_S5_S5_
	.p2align	8
	.type	_ZL33flash_attn_stream_k_fixup_generalILi40ELi1ELi8EEvPfPK15HIP_vector_typeIfLj2EEiiiiS1_IjLj3EES5_S5_S5_,@function
_ZL33flash_attn_stream_k_fixup_generalILi40ELi1ELi8EEvPfPK15HIP_vector_typeIfLj2EEiiiiS1_IjLj3EES5_S5_S5_: ; @_ZL33flash_attn_stream_k_fixup_generalILi40ELi1ELi8EEvPfPK15HIP_vector_typeIfLj2EEiiiiS1_IjLj3EES5_S5_S5_
; %bb.0:
	s_clause 0x1
	s_load_b128 s[4:7], s[0:1], 0x10
	s_load_b32 s20, s[0:1], 0x50
	s_mov_b32 s2, 0
	s_waitcnt lgkmcnt(0)
	s_mul_hi_i32 s3, s7, s13
	s_mul_i32 s12, s7, s13
	s_cmp_lg_u64 s[2:3], 0
	s_cbranch_scc0 .LBB16_21
; %bb.1:
	v_cvt_f32_ubyte0_e32 v1, 0
	v_cvt_f32_u32_e32 v2, s20
	s_sub_u32 s10, 0, s20
	s_subb_u32 s11, 0, 0
	s_delay_alu instid0(VALU_DEP_1) | instskip(NEXT) | instid1(VALU_DEP_1)
	v_fmamk_f32 v1, v1, 0x4f800000, v2
	v_rcp_f32_e32 v1, v1
	s_waitcnt_depctr 0xfff
	v_mul_f32_e32 v1, 0x5f7ffffc, v1
	s_delay_alu instid0(VALU_DEP_1) | instskip(NEXT) | instid1(VALU_DEP_1)
	v_mul_f32_e32 v2, 0x2f800000, v1
	v_trunc_f32_e32 v2, v2
	s_delay_alu instid0(VALU_DEP_1) | instskip(SKIP_1) | instid1(VALU_DEP_2)
	v_fmamk_f32 v1, v2, 0xcf800000, v1
	v_cvt_u32_f32_e32 v2, v2
	v_cvt_u32_f32_e32 v1, v1
	s_delay_alu instid0(VALU_DEP_2) | instskip(NEXT) | instid1(VALU_DEP_2)
	v_readfirstlane_b32 s8, v2
	v_readfirstlane_b32 s9, v1
	s_delay_alu instid0(VALU_DEP_2) | instskip(NEXT) | instid1(VALU_DEP_1)
	s_mul_i32 s16, s10, s8
	s_mul_hi_u32 s18, s10, s9
	s_mul_i32 s17, s11, s9
	s_add_i32 s16, s18, s16
	s_mul_i32 s19, s10, s9
	s_add_i32 s16, s16, s17
	s_mul_hi_u32 s18, s9, s19
	s_mul_hi_u32 s21, s8, s19
	s_mul_i32 s17, s8, s19
	s_mul_hi_u32 s19, s9, s16
	s_mul_i32 s9, s9, s16
	s_mul_hi_u32 s22, s8, s16
	s_add_u32 s9, s18, s9
	s_addc_u32 s18, 0, s19
	s_add_u32 s9, s9, s17
	s_mul_i32 s16, s8, s16
	s_addc_u32 s9, s18, s21
	s_addc_u32 s17, s22, 0
	s_add_u32 s9, s9, s16
	s_addc_u32 s16, 0, s17
	v_add_co_u32 v1, s9, v1, s9
	s_delay_alu instid0(VALU_DEP_1) | instskip(SKIP_1) | instid1(VALU_DEP_1)
	s_cmp_lg_u32 s9, 0
	s_addc_u32 s8, s8, s16
	v_readfirstlane_b32 s9, v1
	s_mul_i32 s16, s10, s8
	s_delay_alu instid0(VALU_DEP_1)
	s_mul_hi_u32 s17, s10, s9
	s_mul_i32 s11, s11, s9
	s_add_i32 s16, s17, s16
	s_mul_i32 s10, s10, s9
	s_add_i32 s16, s16, s11
	s_mul_hi_u32 s17, s8, s10
	s_mul_i32 s18, s8, s10
	s_mul_hi_u32 s10, s9, s10
	s_mul_hi_u32 s19, s9, s16
	s_mul_i32 s9, s9, s16
	s_mul_hi_u32 s11, s8, s16
	s_add_u32 s9, s10, s9
	s_addc_u32 s10, 0, s19
	s_add_u32 s9, s9, s18
	s_mul_i32 s16, s8, s16
	s_addc_u32 s9, s10, s17
	s_addc_u32 s10, s11, 0
	s_add_u32 s9, s9, s16
	s_addc_u32 s10, 0, s10
	v_add_co_u32 v1, s9, v1, s9
	s_delay_alu instid0(VALU_DEP_1) | instskip(SKIP_2) | instid1(SALU_CYCLE_1)
	s_cmp_lg_u32 s9, 0
	s_addc_u32 s16, s8, s10
	s_ashr_i32 s8, s3, 31
	s_add_u32 s10, s12, s8
	s_addc_u32 s11, s3, s8
	v_readfirstlane_b32 s3, v1
	s_mov_b32 s9, s8
	s_delay_alu instid0(SALU_CYCLE_1) | instskip(NEXT) | instid1(SALU_CYCLE_1)
	s_xor_b64 s[10:11], s[10:11], s[8:9]
	s_mul_i32 s18, s10, s16
	s_delay_alu instid0(VALU_DEP_1)
	s_mul_hi_u32 s19, s10, s3
	s_mul_hi_u32 s17, s10, s16
	;; [unrolled: 1-line block ×3, first 2 shown]
	s_mul_i32 s3, s11, s3
	s_add_u32 s18, s19, s18
	s_addc_u32 s17, 0, s17
	s_mul_hi_u32 s21, s11, s16
	s_add_u32 s3, s18, s3
	s_mul_i32 s16, s11, s16
	s_addc_u32 s3, s17, s22
	s_addc_u32 s17, s21, 0
	s_add_u32 s3, s3, s16
	s_addc_u32 s16, 0, s17
	s_mul_i32 s18, s20, s3
	s_add_u32 s17, s3, 1
	v_sub_co_u32 v1, s10, s10, s18
	s_mul_hi_u32 s18, s20, s3
	s_addc_u32 s19, s16, 0
	s_mul_i32 s21, s20, s16
	s_delay_alu instid0(VALU_DEP_1)
	v_sub_co_u32 v2, s22, v1, s20
	s_add_u32 s23, s3, 2
	s_addc_u32 s24, s16, 0
	s_add_i32 s18, s18, s21
	s_cmp_lg_u32 s10, 0
	v_readfirstlane_b32 s10, v2
	s_subb_u32 s11, s11, s18
	s_cmp_lg_u32 s22, 0
	s_subb_u32 s18, s11, 0
	s_delay_alu instid0(VALU_DEP_1) | instskip(SKIP_4) | instid1(SALU_CYCLE_1)
	s_cmp_ge_u32 s10, s20
	s_cselect_b32 s10, -1, 0
	s_cmp_eq_u32 s18, 0
	v_readfirstlane_b32 s18, v1
	s_cselect_b32 s10, s10, -1
	s_cmp_lg_u32 s10, 0
	s_cselect_b32 s10, s23, s17
	s_cselect_b32 s17, s24, s19
	s_cmp_ge_u32 s18, s20
	s_cselect_b32 s18, -1, 0
	s_cmp_eq_u32 s11, 0
	s_cselect_b32 s11, s18, -1
	s_delay_alu instid0(SALU_CYCLE_1) | instskip(SKIP_2) | instid1(SALU_CYCLE_1)
	s_cmp_lg_u32 s11, 0
	s_cselect_b32 s11, s17, s16
	s_cselect_b32 s10, s10, s3
	s_xor_b64 s[10:11], s[10:11], s[8:9]
	s_delay_alu instid0(SALU_CYCLE_1)
	s_sub_u32 s16, s10, s8
	s_load_b128 s[8:11], s[0:1], 0x44
	s_and_not1_b32 vcc_lo, exec_lo, s2
	s_cbranch_vccnz .LBB16_3
.LBB16_2:
	v_cvt_f32_u32_e32 v1, s20
	s_sub_i32 s3, 0, s20
	s_delay_alu instid0(VALU_DEP_1) | instskip(SKIP_2) | instid1(VALU_DEP_1)
	v_rcp_iflag_f32_e32 v1, v1
	s_waitcnt_depctr 0xfff
	v_mul_f32_e32 v1, 0x4f7ffffe, v1
	v_cvt_u32_f32_e32 v1, v1
	s_delay_alu instid0(VALU_DEP_1) | instskip(NEXT) | instid1(VALU_DEP_1)
	v_readfirstlane_b32 s2, v1
	s_mul_i32 s3, s3, s2
	s_delay_alu instid0(SALU_CYCLE_1) | instskip(NEXT) | instid1(SALU_CYCLE_1)
	s_mul_hi_u32 s3, s2, s3
	s_add_i32 s2, s2, s3
	s_delay_alu instid0(SALU_CYCLE_1) | instskip(NEXT) | instid1(SALU_CYCLE_1)
	s_mul_hi_u32 s2, s12, s2
	s_mul_i32 s3, s2, s20
	s_waitcnt lgkmcnt(0)
	s_add_i32 s11, s2, 1
	s_sub_i32 s3, s12, s3
	s_delay_alu instid0(SALU_CYCLE_1)
	s_sub_i32 s12, s3, s20
	s_cmp_ge_u32 s3, s20
	s_cselect_b32 s2, s11, s2
	s_cselect_b32 s3, s12, s3
	s_add_i32 s11, s2, 1
	s_cmp_ge_u32 s3, s20
	s_cselect_b32 s16, s11, s2
.LBB16_3:
	s_waitcnt lgkmcnt(0)
	s_add_i32 s11, s13, 1
	s_mov_b32 s2, 0
	s_mul_hi_i32 s3, s7, s11
	s_mul_i32 s11, s7, s11
	s_cmp_lg_u64 s[2:3], 0
	s_cbranch_scc0 .LBB16_22
; %bb.4:
	v_cvt_f32_ubyte0_e32 v1, 0
	v_cvt_f32_u32_e32 v2, s20
	s_sub_u32 s18, 0, s20
	s_subb_u32 s19, 0, 0
	s_delay_alu instid0(VALU_DEP_1) | instskip(NEXT) | instid1(VALU_DEP_1)
	v_fmamk_f32 v1, v1, 0x4f800000, v2
	v_rcp_f32_e32 v1, v1
	s_waitcnt_depctr 0xfff
	v_mul_f32_e32 v1, 0x5f7ffffc, v1
	s_delay_alu instid0(VALU_DEP_1) | instskip(NEXT) | instid1(VALU_DEP_1)
	v_mul_f32_e32 v2, 0x2f800000, v1
	v_trunc_f32_e32 v2, v2
	s_delay_alu instid0(VALU_DEP_1) | instskip(SKIP_1) | instid1(VALU_DEP_2)
	v_fmamk_f32 v1, v2, 0xcf800000, v1
	v_cvt_u32_f32_e32 v2, v2
	v_cvt_u32_f32_e32 v1, v1
	s_delay_alu instid0(VALU_DEP_2) | instskip(NEXT) | instid1(VALU_DEP_2)
	v_readfirstlane_b32 s12, v2
	v_readfirstlane_b32 s17, v1
	s_delay_alu instid0(VALU_DEP_2) | instskip(NEXT) | instid1(VALU_DEP_1)
	s_mul_i32 s21, s18, s12
	s_mul_hi_u32 s23, s18, s17
	s_mul_i32 s22, s19, s17
	s_add_i32 s21, s23, s21
	s_mul_i32 s24, s18, s17
	s_add_i32 s21, s21, s22
	s_mul_hi_u32 s23, s17, s24
	s_mul_hi_u32 s25, s12, s24
	s_mul_i32 s22, s12, s24
	s_mul_hi_u32 s24, s17, s21
	s_mul_i32 s17, s17, s21
	s_mul_hi_u32 s26, s12, s21
	s_add_u32 s17, s23, s17
	s_addc_u32 s23, 0, s24
	s_add_u32 s17, s17, s22
	s_mul_i32 s21, s12, s21
	s_addc_u32 s17, s23, s25
	s_addc_u32 s22, s26, 0
	s_add_u32 s17, s17, s21
	s_addc_u32 s21, 0, s22
	v_add_co_u32 v1, s17, v1, s17
	s_delay_alu instid0(VALU_DEP_1) | instskip(SKIP_1) | instid1(VALU_DEP_1)
	s_cmp_lg_u32 s17, 0
	s_addc_u32 s12, s12, s21
	v_readfirstlane_b32 s17, v1
	s_mul_i32 s21, s18, s12
	s_delay_alu instid0(VALU_DEP_1)
	s_mul_hi_u32 s22, s18, s17
	s_mul_i32 s19, s19, s17
	s_add_i32 s21, s22, s21
	s_mul_i32 s18, s18, s17
	s_add_i32 s21, s21, s19
	s_mul_hi_u32 s22, s12, s18
	s_mul_i32 s23, s12, s18
	s_mul_hi_u32 s18, s17, s18
	s_mul_hi_u32 s24, s17, s21
	s_mul_i32 s17, s17, s21
	s_mul_hi_u32 s19, s12, s21
	s_add_u32 s17, s18, s17
	s_addc_u32 s18, 0, s24
	s_add_u32 s17, s17, s23
	s_mul_i32 s21, s12, s21
	s_addc_u32 s17, s18, s22
	s_addc_u32 s18, s19, 0
	s_add_u32 s17, s17, s21
	s_addc_u32 s18, 0, s18
	v_add_co_u32 v1, s17, v1, s17
	s_delay_alu instid0(VALU_DEP_1) | instskip(SKIP_2) | instid1(SALU_CYCLE_1)
	s_cmp_lg_u32 s17, 0
	s_addc_u32 s12, s12, s18
	s_ashr_i32 s18, s3, 31
	s_add_u32 s22, s11, s18
	s_addc_u32 s23, s3, s18
	v_readfirstlane_b32 s3, v1
	s_mov_b32 s19, s18
	s_delay_alu instid0(SALU_CYCLE_1) | instskip(NEXT) | instid1(SALU_CYCLE_1)
	s_xor_b64 s[22:23], s[22:23], s[18:19]
	s_mul_i32 s21, s22, s12
	s_delay_alu instid0(VALU_DEP_1)
	s_mul_hi_u32 s24, s22, s3
	s_mul_hi_u32 s17, s22, s12
	;; [unrolled: 1-line block ×3, first 2 shown]
	s_mul_i32 s3, s23, s3
	s_add_u32 s21, s24, s21
	s_addc_u32 s17, 0, s17
	s_mul_hi_u32 s25, s23, s12
	s_add_u32 s3, s21, s3
	s_mul_i32 s12, s23, s12
	s_addc_u32 s3, s17, s26
	s_addc_u32 s17, s25, 0
	s_add_u32 s3, s3, s12
	s_addc_u32 s12, 0, s17
	s_mul_i32 s21, s20, s3
	s_add_u32 s17, s3, 1
	v_sub_co_u32 v1, s21, s22, s21
	s_mul_hi_u32 s22, s20, s3
	s_addc_u32 s24, s12, 0
	s_mul_i32 s25, s20, s12
	s_delay_alu instid0(VALU_DEP_1)
	v_sub_co_u32 v2, s26, v1, s20
	s_add_u32 s27, s3, 2
	s_addc_u32 s28, s12, 0
	s_add_i32 s22, s22, s25
	s_cmp_lg_u32 s21, 0
	v_readfirstlane_b32 s21, v2
	s_subb_u32 s22, s23, s22
	s_cmp_lg_u32 s26, 0
	s_subb_u32 s23, s22, 0
	s_delay_alu instid0(VALU_DEP_1) | instskip(SKIP_4) | instid1(SALU_CYCLE_1)
	s_cmp_ge_u32 s21, s20
	s_cselect_b32 s21, -1, 0
	s_cmp_eq_u32 s23, 0
	v_readfirstlane_b32 s23, v1
	s_cselect_b32 s21, s21, -1
	s_cmp_lg_u32 s21, 0
	s_cselect_b32 s17, s27, s17
	s_cselect_b32 s21, s28, s24
	s_cmp_ge_u32 s23, s20
	s_cselect_b32 s23, -1, 0
	s_cmp_eq_u32 s22, 0
	s_cselect_b32 s22, s23, -1
	s_delay_alu instid0(SALU_CYCLE_1) | instskip(SKIP_2) | instid1(SALU_CYCLE_1)
	s_cmp_lg_u32 s22, 0
	s_cselect_b32 s23, s21, s12
	s_cselect_b32 s22, s17, s3
	s_xor_b64 s[22:23], s[22:23], s[18:19]
	s_delay_alu instid0(SALU_CYCLE_1)
	s_sub_u32 s18, s22, s18
	s_and_not1_b32 vcc_lo, exec_lo, s2
	s_cbranch_vccnz .LBB16_6
.LBB16_5:
	v_cvt_f32_u32_e32 v1, s20
	s_sub_i32 s3, 0, s20
	s_delay_alu instid0(VALU_DEP_1) | instskip(SKIP_2) | instid1(VALU_DEP_1)
	v_rcp_iflag_f32_e32 v1, v1
	s_waitcnt_depctr 0xfff
	v_mul_f32_e32 v1, 0x4f7ffffe, v1
	v_cvt_u32_f32_e32 v1, v1
	s_delay_alu instid0(VALU_DEP_1) | instskip(NEXT) | instid1(VALU_DEP_1)
	v_readfirstlane_b32 s2, v1
	s_mul_i32 s3, s3, s2
	s_delay_alu instid0(SALU_CYCLE_1) | instskip(NEXT) | instid1(SALU_CYCLE_1)
	s_mul_hi_u32 s3, s2, s3
	s_add_i32 s2, s2, s3
	s_delay_alu instid0(SALU_CYCLE_1) | instskip(NEXT) | instid1(SALU_CYCLE_1)
	s_mul_hi_u32 s2, s11, s2
	s_mul_i32 s3, s2, s20
	s_delay_alu instid0(SALU_CYCLE_1)
	s_sub_i32 s3, s11, s3
	s_add_i32 s11, s2, 1
	s_sub_i32 s12, s3, s20
	s_cmp_ge_u32 s3, s20
	s_cselect_b32 s2, s11, s2
	s_cselect_b32 s3, s12, s3
	s_add_i32 s11, s2, 1
	s_cmp_ge_u32 s3, s20
	s_cselect_b32 s18, s11, s2
.LBB16_6:
	s_delay_alu instid0(SALU_CYCLE_1) | instskip(SKIP_3) | instid1(SALU_CYCLE_1)
	s_cmp_eq_u32 s16, s18
	s_mul_hi_u32 s2, s16, s8
	s_cselect_b32 s3, -1, 0
	s_add_i32 s2, s2, s16
	s_lshr_b32 s11, s2, s9
	s_delay_alu instid0(SALU_CYCLE_1) | instskip(NEXT) | instid1(SALU_CYCLE_1)
	s_mul_i32 s2, s11, s10
	s_cmp_eq_u32 s2, s16
	s_mul_hi_u32 s2, s18, s8
	s_cselect_b32 s12, -1, 0
	s_add_i32 s2, s2, s18
	s_delay_alu instid0(SALU_CYCLE_1) | instskip(NEXT) | instid1(SALU_CYCLE_1)
	s_lshr_b32 s2, s2, s9
	s_cmp_eq_u32 s11, s2
	s_mul_i32 s2, s2, s10
	s_cselect_b32 s17, -1, 0
	s_cmp_lg_u32 s2, s18
	s_cselect_b32 s2, -1, 0
	s_or_b32 s3, s3, s12
	s_and_b32 s2, s17, s2
	s_delay_alu instid0(SALU_CYCLE_1) | instskip(NEXT) | instid1(SALU_CYCLE_1)
	s_or_b32 s2, s3, s2
	s_and_b32 vcc_lo, exec_lo, s2
	s_cbranch_vccnz .LBB16_24
; %bb.7:
	s_load_b256 s[24:31], s[0:1], 0x20
	s_waitcnt lgkmcnt(0)
	s_mul_hi_u32 s2, s16, s24
	s_delay_alu instid0(SALU_CYCLE_1) | instskip(NEXT) | instid1(SALU_CYCLE_1)
	s_add_i32 s2, s2, s16
	s_lshr_b32 s17, s2, s25
	s_load_b32 s2, s[0:1], 0x40
	s_mul_i32 s3, s17, s26
	s_delay_alu instid0(SALU_CYCLE_1) | instskip(NEXT) | instid1(SALU_CYCLE_1)
	s_sub_i32 s3, s16, s3
	s_mul_hi_u32 s12, s3, s27
	s_delay_alu instid0(SALU_CYCLE_1) | instskip(NEXT) | instid1(SALU_CYCLE_1)
	s_add_i32 s12, s3, s12
	s_lshr_b32 s18, s12, s28
	s_delay_alu instid0(SALU_CYCLE_1) | instskip(NEXT) | instid1(SALU_CYCLE_1)
	s_mul_i32 s12, s18, s29
	s_sub_i32 s3, s3, s12
	s_delay_alu instid0(SALU_CYCLE_1) | instskip(NEXT) | instid1(SALU_CYCLE_1)
	s_mul_hi_u32 s12, s3, s30
	s_add_i32 s12, s3, s12
	s_delay_alu instid0(SALU_CYCLE_1)
	s_lshr_b32 s12, s12, s31
	s_waitcnt lgkmcnt(0)
	s_mul_i32 s2, s12, s2
	s_lshl_b32 s21, s12, 3
	s_sub_i32 s2, s3, s2
	s_mov_b32 s12, 0
	s_mul_hi_u32 s3, s2, s8
	s_delay_alu instid0(SALU_CYCLE_1) | instskip(NEXT) | instid1(SALU_CYCLE_1)
	s_add_i32 s2, s2, s3
	s_lshr_b32 s19, s2, s9
	s_delay_alu instid0(SALU_CYCLE_1) | instskip(NEXT) | instid1(SALU_CYCLE_1)
	s_add_i32 s19, s19, s14
	s_cmp_lt_i32 s19, s4
	s_cselect_b32 s2, -1, 0
	s_add_i32 s21, s21, s15
	s_delay_alu instid0(SALU_CYCLE_1) | instskip(SKIP_1) | instid1(SALU_CYCLE_1)
	s_cmp_lt_i32 s21, s6
	s_cselect_b32 s3, -1, 0
	s_and_b32 s2, s2, s3
	s_delay_alu instid0(SALU_CYCLE_1)
	s_and_not1_b32 vcc_lo, exec_lo, s2
	s_cbranch_vccnz .LBB16_24
; %bb.8:
	s_load_b128 s[0:3], s[0:1], 0x0
	s_lshl_b32 s22, s20, 5
	s_mov_b32 s23, s12
	s_lshl_b32 s24, s14, 3
	s_lshl_b64 s[22:23], s[22:23], 2
	s_mul_i32 s4, s17, s4
	s_add_i32 s24, s24, s15
	s_mul_i32 s18, s18, s6
	v_cvt_f32_ubyte0_e32 v3, 0
	v_cvt_f32_u32_e32 v4, s20
	s_waitcnt lgkmcnt(0)
	s_add_u32 s6, s2, s22
	s_addc_u32 s17, s3, s23
	s_add_i32 s4, s19, s4
	s_add_i32 s18, s21, s18
	s_mul_i32 s4, s4, s5
	s_delay_alu instid0(SALU_CYCLE_1) | instskip(NEXT) | instid1(SALU_CYCLE_1)
	s_add_i32 s18, s18, s4
	v_mad_u64_u32 v[1:2], null, s18, 40, v[0:1]
	s_delay_alu instid0(VALU_DEP_1) | instskip(NEXT) | instid1(VALU_DEP_1)
	v_ashrrev_i32_e32 v2, 31, v1
	v_lshlrev_b64 v[1:2], 2, v[1:2]
	s_delay_alu instid0(VALU_DEP_1) | instskip(NEXT) | instid1(VALU_DEP_2)
	v_add_co_u32 v1, vcc_lo, s0, v1
	v_add_co_ci_u32_e32 v2, vcc_lo, s1, v2, vcc_lo
	s_add_i32 s0, s14, s13
	s_delay_alu instid0(SALU_CYCLE_1) | instskip(SKIP_2) | instid1(SALU_CYCLE_1)
	s_lshl_b32 s0, s0, 3
	global_load_b32 v5, v[1:2], off
	s_add_i32 s0, s0, s15
	s_ashr_i32 s1, s0, 31
	s_delay_alu instid0(SALU_CYCLE_1) | instskip(NEXT) | instid1(SALU_CYCLE_1)
	s_lshl_b64 s[0:1], s[0:1], 3
	s_add_u32 s0, s2, s0
	s_addc_u32 s1, s3, s1
	s_add_i32 s19, s13, -1
	s_load_b64 s[0:1], s[0:1], 0x0
	v_fmamk_f32 v3, v3, 0x4f800000, v4
	v_cvt_f32_u32_e32 v4, s20
	s_add_i32 s14, s20, s14
	s_sub_i32 s18, 0, s20
	s_delay_alu instid0(VALU_DEP_1)
	v_rcp_iflag_f32_e32 v7, v4
	s_waitcnt_depctr 0xfff
	v_mul_f32_e32 v10, 0x4f7ffffe, v7
	s_waitcnt lgkmcnt(0)
	v_mov_b32_e32 v8, s0
	v_rcp_f32_e32 v3, v3
	v_mov_b32_e32 v7, s1
	s_waitcnt_depctr 0xfff
	v_mul_f32_e32 v3, 0x5f7ffffc, v3
	s_delay_alu instid0(VALU_DEP_1) | instskip(NEXT) | instid1(VALU_DEP_1)
	v_mul_f32_e32 v6, 0x2f800000, v3
	v_trunc_f32_e32 v6, v6
	s_delay_alu instid0(VALU_DEP_1) | instskip(SKIP_3) | instid1(VALU_DEP_4)
	v_fmamk_f32 v9, v6, 0xcf800000, v3
	v_mad_u64_u32 v[3:4], null, s24, 40, v[0:1]
	v_cvt_u32_f32_e32 v4, v6
	v_cvt_u32_f32_e32 v6, v10
	;; [unrolled: 1-line block ×3, first 2 shown]
.LBB16_9:                               ; =>This Inner Loop Header: Depth=1
	s_mul_hi_i32 s13, s19, s7
	s_mul_i32 s4, s19, s7
	s_cmp_lg_u64 s[12:13], 0
	s_mov_b32 s5, -1
                                        ; implicit-def: $sgpr0_sgpr1
	s_cbranch_scc0 .LBB16_11
; %bb.10:                               ;   in Loop: Header=BB16_9 Depth=1
	v_readfirstlane_b32 s0, v0
	v_readfirstlane_b32 s1, v4
	s_sub_u32 s5, 0, s20
	s_subb_u32 s21, 0, 0
	s_delay_alu instid0(VALU_DEP_2) | instskip(NEXT) | instid1(VALU_DEP_1)
	s_mul_hi_u32 s22, s5, s0
	s_mul_i32 s23, s5, s1
	s_mul_i32 s24, s21, s0
	s_add_i32 s22, s22, s23
	s_mul_i32 s23, s5, s0
	s_add_i32 s22, s22, s24
	s_mul_hi_u32 s24, s0, s23
	s_mul_i32 s25, s0, s22
	s_mul_hi_u32 s0, s0, s22
	s_add_u32 s24, s24, s25
	s_mul_i32 s26, s1, s23
	s_addc_u32 s0, 0, s0
	s_mul_hi_u32 s23, s1, s23
	s_mul_hi_u32 s25, s1, s22
	s_add_u32 s24, s24, s26
	s_addc_u32 s0, s0, s23
	s_mul_i32 s22, s1, s22
	s_addc_u32 s23, s25, 0
	s_add_u32 s0, s0, s22
	s_addc_u32 s22, 0, s23
	v_add_co_u32 v9, s0, v0, s0
	s_delay_alu instid0(VALU_DEP_1) | instskip(SKIP_1) | instid1(VALU_DEP_1)
	s_cmp_lg_u32 s0, 0
	s_addc_u32 s1, s1, s22
	v_readfirstlane_b32 s0, v9
	s_mul_i32 s22, s5, s1
	s_delay_alu instid0(VALU_DEP_1)
	s_mul_hi_u32 s23, s5, s0
	s_mul_i32 s21, s21, s0
	s_add_i32 s22, s23, s22
	s_mul_i32 s5, s5, s0
	s_add_i32 s22, s22, s21
	s_mul_hi_u32 s21, s1, s5
	s_mul_i32 s24, s1, s5
	s_mul_i32 s25, s0, s22
	s_mul_hi_u32 s5, s0, s5
	s_mul_hi_u32 s0, s0, s22
	s_add_u32 s5, s5, s25
	s_addc_u32 s0, 0, s0
	s_mul_hi_u32 s23, s1, s22
	s_add_u32 s5, s5, s24
	s_addc_u32 s0, s0, s21
	s_mul_i32 s5, s1, s22
	s_addc_u32 s21, s23, 0
	s_add_u32 s0, s0, s5
	s_addc_u32 s5, 0, s21
	v_add_co_u32 v9, s0, v9, s0
	s_delay_alu instid0(VALU_DEP_1) | instskip(SKIP_2) | instid1(SALU_CYCLE_1)
	s_cmp_lg_u32 s0, 0
	s_addc_u32 s5, s1, s5
	s_ashr_i32 s0, s13, 31
	s_add_u32 s22, s4, s0
	s_addc_u32 s23, s13, s0
	v_readfirstlane_b32 s13, v9
	s_mov_b32 s1, s0
	s_delay_alu instid0(SALU_CYCLE_1) | instskip(NEXT) | instid1(SALU_CYCLE_1)
	s_xor_b64 s[22:23], s[22:23], s[0:1]
	s_mul_i32 s21, s22, s5
	s_delay_alu instid0(VALU_DEP_1)
	s_mul_hi_u32 s24, s22, s13
	s_mul_hi_u32 s25, s22, s5
	s_add_u32 s21, s24, s21
	s_mul_i32 s26, s23, s13
	s_addc_u32 s24, 0, s25
	s_mul_hi_u32 s13, s23, s13
	s_mul_hi_u32 s25, s23, s5
	s_add_u32 s21, s21, s26
	s_addc_u32 s13, s24, s13
	s_mul_i32 s5, s23, s5
	s_addc_u32 s21, s25, 0
	s_add_u32 s5, s13, s5
	s_addc_u32 s13, 0, s21
	s_mul_i32 s24, s20, s5
	s_add_u32 s21, s5, 1
	v_sub_co_u32 v9, s22, s22, s24
	s_addc_u32 s24, s13, 0
	s_mul_i32 s26, s20, s13
	s_mul_hi_u32 s28, s20, s5
	s_delay_alu instid0(VALU_DEP_1)
	v_sub_co_u32 v10, s27, v9, s20
	s_add_u32 s25, s5, 2
	s_addc_u32 s29, s13, 0
	s_add_i32 s28, s28, s26
	s_cmp_lg_u32 s22, 0
	v_readfirstlane_b32 s22, v10
	s_subb_u32 s23, s23, s28
	s_cmp_lg_u32 s27, 0
	s_subb_u32 s26, s23, 0
	s_delay_alu instid0(VALU_DEP_1) | instskip(SKIP_4) | instid1(SALU_CYCLE_1)
	s_cmp_ge_u32 s22, s20
	s_cselect_b32 s22, -1, 0
	s_cmp_eq_u32 s26, 0
	v_readfirstlane_b32 s26, v9
	s_cselect_b32 s22, s22, -1
	s_cmp_lg_u32 s22, 0
	s_cselect_b32 s21, s25, s21
	s_cselect_b32 s22, s29, s24
	s_cmp_ge_u32 s26, s20
	s_cselect_b32 s24, -1, 0
	s_cmp_eq_u32 s23, 0
	s_cselect_b32 s23, s24, -1
	s_delay_alu instid0(SALU_CYCLE_1) | instskip(SKIP_4) | instid1(SALU_CYCLE_1)
	s_cmp_lg_u32 s23, 0
	s_cselect_b32 s23, s22, s13
	s_cselect_b32 s22, s21, s5
	s_mov_b32 s5, 0
	s_xor_b64 s[22:23], s[22:23], s[0:1]
	s_sub_u32 s0, s22, s0
.LBB16_11:                              ;   in Loop: Header=BB16_9 Depth=1
	s_and_not1_b32 vcc_lo, exec_lo, s5
	s_cbranch_vccnz .LBB16_13
; %bb.12:                               ;   in Loop: Header=BB16_9 Depth=1
	v_readfirstlane_b32 s0, v6
	s_delay_alu instid0(VALU_DEP_1) | instskip(NEXT) | instid1(SALU_CYCLE_1)
	s_mul_i32 s1, s18, s0
	s_mul_hi_u32 s1, s0, s1
	s_delay_alu instid0(SALU_CYCLE_1) | instskip(NEXT) | instid1(SALU_CYCLE_1)
	s_add_i32 s0, s0, s1
	s_mul_hi_u32 s0, s4, s0
	s_delay_alu instid0(SALU_CYCLE_1) | instskip(NEXT) | instid1(SALU_CYCLE_1)
	s_mul_i32 s1, s0, s20
	s_sub_i32 s1, s4, s1
	s_add_i32 s4, s0, 1
	s_sub_i32 s5, s1, s20
	s_cmp_ge_u32 s1, s20
	s_cselect_b32 s0, s4, s0
	s_cselect_b32 s1, s5, s1
	s_add_i32 s4, s0, 1
	s_cmp_ge_u32 s1, s20
	s_cselect_b32 s0, s4, s0
.LBB16_13:                              ;   in Loop: Header=BB16_9 Depth=1
	s_delay_alu instid0(SALU_CYCLE_1)
	s_cmp_lg_u32 s16, s0
	s_cbranch_scc0 .LBB16_17
; %bb.14:                               ;   in Loop: Header=BB16_9 Depth=1
	s_add_i32 s1, s14, s19
	s_mov_b32 s5, s12
	s_lshl_b32 s1, s1, 3
	s_mov_b32 s21, s16
	s_add_i32 s4, s1, s15
	s_mul_hi_u32 s1, s0, s8
	s_lshl_b64 s[4:5], s[4:5], 3
	s_delay_alu instid0(SALU_CYCLE_1) | instskip(SKIP_2) | instid1(SALU_CYCLE_1)
	s_add_u32 s4, s2, s4
	s_addc_u32 s5, s3, s5
	s_add_i32 s1, s1, s0
	s_lshr_b32 s1, s1, s9
	s_delay_alu instid0(SALU_CYCLE_1) | instskip(NEXT) | instid1(SALU_CYCLE_1)
	s_mul_i32 s13, s1, s10
	s_cmp_eq_u32 s13, s0
	s_cselect_b32 s13, -1, 0
	s_cmp_lt_u32 s1, s11
	s_cselect_b32 s1, -1, 0
	s_delay_alu instid0(SALU_CYCLE_1)
	s_or_b32 s1, s1, s13
	s_mov_b32 s13, -1
	s_and_b32 vcc_lo, exec_lo, s1
	s_mov_b32 s1, s19
	s_cbranch_vccnz .LBB16_16
; %bb.15:                               ;   in Loop: Header=BB16_9 Depth=1
	s_add_i32 s1, s19, -1
	s_mov_b32 s13, 0
	s_mov_b32 s21, s0
.LBB16_16:                              ;   in Loop: Header=BB16_9 Depth=1
	v_mad_u64_u32 v[9:10], null, 0x140, s19, v[3:4]
	s_load_b64 s[4:5], s[4:5], 0x0
	s_delay_alu instid0(VALU_DEP_1) | instskip(NEXT) | instid1(VALU_DEP_1)
	v_ashrrev_i32_e32 v10, 31, v9
	v_lshlrev_b64 v[9:10], 2, v[9:10]
	s_delay_alu instid0(VALU_DEP_1) | instskip(NEXT) | instid1(VALU_DEP_2)
	v_add_co_u32 v9, vcc_lo, s6, v9
	v_add_co_ci_u32_e32 v10, vcc_lo, s17, v10, vcc_lo
	s_waitcnt lgkmcnt(0)
	v_max_f32_e64 v11, s4, s4
	global_load_b32 v10, v[9:10], off
	v_max_f32_e32 v9, v8, v8
	s_delay_alu instid0(VALU_DEP_1) | instskip(NEXT) | instid1(VALU_DEP_1)
	v_max_f32_e32 v9, v9, v11
	v_sub_f32_e32 v12, v8, v9
	s_delay_alu instid0(VALU_DEP_1) | instskip(NEXT) | instid1(VALU_DEP_1)
	v_dual_mul_f32 v14, 0x3fb8aa3b, v12 :: v_dual_sub_f32 v11, s4, v9
	v_rndne_f32_e32 v18, v14
	s_delay_alu instid0(VALU_DEP_2) | instskip(SKIP_2) | instid1(VALU_DEP_4)
	v_mul_f32_e32 v13, 0x3fb8aa3b, v11
	v_fma_f32 v17, 0x3fb8aa3b, v12, -v14
	v_cmp_ngt_f32_e32 vcc_lo, 0xc2ce8ed0, v11
	v_sub_f32_e32 v14, v14, v18
	s_delay_alu instid0(VALU_DEP_4) | instskip(SKIP_2) | instid1(VALU_DEP_3)
	v_fma_f32 v15, 0x3fb8aa3b, v11, -v13
	v_rndne_f32_e32 v16, v13
	v_fmac_f32_e32 v17, 0x32a5705f, v12
	v_fmac_f32_e32 v15, 0x32a5705f, v11
	s_delay_alu instid0(VALU_DEP_2) | instskip(NEXT) | instid1(VALU_DEP_1)
	v_dual_sub_f32 v13, v13, v16 :: v_dual_add_f32 v14, v14, v17
	v_add_f32_e32 v13, v13, v15
	s_delay_alu instid0(VALU_DEP_2) | instskip(SKIP_2) | instid1(VALU_DEP_3)
	v_exp_f32_e32 v14, v14
	v_cvt_i32_f32_e32 v15, v16
	v_cvt_i32_f32_e32 v16, v18
	v_exp_f32_e32 v13, v13
	s_waitcnt_depctr 0xfff
	v_ldexp_f32 v14, v14, v16
	v_ldexp_f32 v13, v13, v15
	s_delay_alu instid0(VALU_DEP_1) | instskip(SKIP_1) | instid1(VALU_DEP_4)
	v_cndmask_b32_e32 v13, 0, v13, vcc_lo
	v_cmp_ngt_f32_e32 vcc_lo, 0xc2ce8ed0, v12
	v_cndmask_b32_e32 v14, 0, v14, vcc_lo
	v_cmp_nlt_f32_e32 vcc_lo, 0x42b17218, v11
	s_delay_alu instid0(VALU_DEP_4) | instskip(SKIP_1) | instid1(VALU_DEP_4)
	v_cndmask_b32_e32 v13, 0x7f800000, v13, vcc_lo
	v_cmp_nlt_f32_e32 vcc_lo, 0x42b17218, v12
	v_cndmask_b32_e32 v14, 0x7f800000, v14, vcc_lo
	v_cmp_le_f32_e32 vcc_lo, 0xc1a00000, v11
	s_delay_alu instid0(VALU_DEP_4) | instskip(SKIP_1) | instid1(VALU_DEP_4)
	v_cndmask_b32_e32 v11, 0, v13, vcc_lo
	v_cmp_le_f32_e32 vcc_lo, 0xc1a00000, v12
	v_cndmask_b32_e32 v12, 0, v14, vcc_lo
	s_waitcnt vmcnt(0)
	s_delay_alu instid0(VALU_DEP_3) | instskip(NEXT) | instid1(VALU_DEP_1)
	v_mul_f32_e32 v10, v10, v11
	v_dual_mul_f32 v11, s5, v11 :: v_dual_fmac_f32 v10, v5, v12
	s_delay_alu instid0(VALU_DEP_1)
	v_fmac_f32_e32 v11, v7, v12
	s_cbranch_execz .LBB16_18
	s_branch .LBB16_19
.LBB16_17:                              ;   in Loop: Header=BB16_9 Depth=1
                                        ; implicit-def: $sgpr13
                                        ; implicit-def: $vgpr10
                                        ; implicit-def: $vgpr9
                                        ; implicit-def: $vgpr11
                                        ; implicit-def: $sgpr1
                                        ; implicit-def: $sgpr21
.LBB16_18:                              ;   in Loop: Header=BB16_9 Depth=1
	s_waitcnt vmcnt(0)
	v_dual_mov_b32 v11, v7 :: v_dual_mov_b32 v10, v5
	v_mov_b32_e32 v9, v8
	s_add_i32 s1, s19, -1
	s_mov_b32 s13, 0
	s_mov_b32 s21, s16
.LBB16_19:                              ;   in Loop: Header=BB16_9 Depth=1
	s_and_not1_b32 vcc_lo, exec_lo, s13
	s_cbranch_vccz .LBB16_23
; %bb.20:                               ;   in Loop: Header=BB16_9 Depth=1
	v_dual_mov_b32 v7, v11 :: v_dual_mov_b32 v8, v9
	s_waitcnt vmcnt(0)
	v_mov_b32_e32 v5, v10
	s_mov_b32 s16, s21
	s_mov_b32 s19, s1
	s_branch .LBB16_9
.LBB16_21:
                                        ; implicit-def: $sgpr16_sgpr17
	s_load_b128 s[8:11], s[0:1], 0x44
	s_branch .LBB16_2
.LBB16_22:
                                        ; implicit-def: $sgpr18_sgpr19
	s_branch .LBB16_5
.LBB16_23:
	v_div_scale_f32 v0, null, v11, v11, v10
	s_delay_alu instid0(VALU_DEP_1) | instskip(SKIP_2) | instid1(VALU_DEP_1)
	v_rcp_f32_e32 v3, v0
	s_waitcnt_depctr 0xfff
	v_fma_f32 v4, -v0, v3, 1.0
	v_fmac_f32_e32 v3, v4, v3
	v_div_scale_f32 v4, vcc_lo, v10, v11, v10
	s_waitcnt vmcnt(0)
	s_delay_alu instid0(VALU_DEP_1) | instskip(NEXT) | instid1(VALU_DEP_1)
	v_mul_f32_e32 v5, v4, v3
	v_fma_f32 v6, -v0, v5, v4
	s_delay_alu instid0(VALU_DEP_1) | instskip(NEXT) | instid1(VALU_DEP_1)
	v_fmac_f32_e32 v5, v6, v3
	v_fma_f32 v0, -v0, v5, v4
	s_delay_alu instid0(VALU_DEP_1) | instskip(NEXT) | instid1(VALU_DEP_1)
	v_div_fmas_f32 v0, v0, v3, v5
	v_div_fixup_f32 v0, v0, v11, v10
	global_store_b32 v[1:2], v0, off
.LBB16_24:
	s_nop 0
	s_sendmsg sendmsg(MSG_DEALLOC_VGPRS)
	s_endpgm
	.section	.rodata,"a",@progbits
	.p2align	6, 0x0
	.amdhsa_kernel _ZL33flash_attn_stream_k_fixup_generalILi40ELi1ELi8EEvPfPK15HIP_vector_typeIfLj2EEiiiiS1_IjLj3EES5_S5_S5_
		.amdhsa_group_segment_fixed_size 0
		.amdhsa_private_segment_fixed_size 0
		.amdhsa_kernarg_size 336
		.amdhsa_user_sgpr_count 13
		.amdhsa_user_sgpr_dispatch_ptr 0
		.amdhsa_user_sgpr_queue_ptr 0
		.amdhsa_user_sgpr_kernarg_segment_ptr 1
		.amdhsa_user_sgpr_dispatch_id 0
		.amdhsa_user_sgpr_private_segment_size 0
		.amdhsa_wavefront_size32 1
		.amdhsa_uses_dynamic_stack 0
		.amdhsa_enable_private_segment 0
		.amdhsa_system_sgpr_workgroup_id_x 1
		.amdhsa_system_sgpr_workgroup_id_y 1
		.amdhsa_system_sgpr_workgroup_id_z 1
		.amdhsa_system_sgpr_workgroup_info 0
		.amdhsa_system_vgpr_workitem_id 0
		.amdhsa_next_free_vgpr 19
		.amdhsa_next_free_sgpr 32
		.amdhsa_reserve_vcc 1
		.amdhsa_float_round_mode_32 0
		.amdhsa_float_round_mode_16_64 0
		.amdhsa_float_denorm_mode_32 3
		.amdhsa_float_denorm_mode_16_64 3
		.amdhsa_dx10_clamp 1
		.amdhsa_ieee_mode 1
		.amdhsa_fp16_overflow 0
		.amdhsa_workgroup_processor_mode 1
		.amdhsa_memory_ordered 1
		.amdhsa_forward_progress 0
		.amdhsa_shared_vgpr_count 0
		.amdhsa_exception_fp_ieee_invalid_op 0
		.amdhsa_exception_fp_denorm_src 0
		.amdhsa_exception_fp_ieee_div_zero 0
		.amdhsa_exception_fp_ieee_overflow 0
		.amdhsa_exception_fp_ieee_underflow 0
		.amdhsa_exception_fp_ieee_inexact 0
		.amdhsa_exception_int_div_zero 0
	.end_amdhsa_kernel
	.section	.text._ZL33flash_attn_stream_k_fixup_generalILi40ELi1ELi8EEvPfPK15HIP_vector_typeIfLj2EEiiiiS1_IjLj3EES5_S5_S5_,"axG",@progbits,_ZL33flash_attn_stream_k_fixup_generalILi40ELi1ELi8EEvPfPK15HIP_vector_typeIfLj2EEiiiiS1_IjLj3EES5_S5_S5_,comdat
.Lfunc_end16:
	.size	_ZL33flash_attn_stream_k_fixup_generalILi40ELi1ELi8EEvPfPK15HIP_vector_typeIfLj2EEiiiiS1_IjLj3EES5_S5_S5_, .Lfunc_end16-_ZL33flash_attn_stream_k_fixup_generalILi40ELi1ELi8EEvPfPK15HIP_vector_typeIfLj2EEiiiiS1_IjLj3EES5_S5_S5_
                                        ; -- End function
	.section	.AMDGPU.csdata,"",@progbits
; Kernel info:
; codeLenInByte = 3212
; NumSgprs: 34
; NumVgprs: 19
; ScratchSize: 0
; MemoryBound: 0
; FloatMode: 240
; IeeeMode: 1
; LDSByteSize: 0 bytes/workgroup (compile time only)
; SGPRBlocks: 4
; VGPRBlocks: 2
; NumSGPRsForWavesPerEU: 34
; NumVGPRsForWavesPerEU: 19
; Occupancy: 16
; WaveLimiterHint : 0
; COMPUTE_PGM_RSRC2:SCRATCH_EN: 0
; COMPUTE_PGM_RSRC2:USER_SGPR: 13
; COMPUTE_PGM_RSRC2:TRAP_HANDLER: 0
; COMPUTE_PGM_RSRC2:TGID_X_EN: 1
; COMPUTE_PGM_RSRC2:TGID_Y_EN: 1
; COMPUTE_PGM_RSRC2:TGID_Z_EN: 1
; COMPUTE_PGM_RSRC2:TIDIG_COMP_CNT: 0
	.section	.text._ZL15flash_attn_tileILi40ELi40ELi16ELi4ELb0EEvPKcS1_S1_S1_S1_PKiPfP15HIP_vector_typeIfLj2EEffffjfiS5_IjLj3EEiiiiiiiiiiiliiliiiiil,"axG",@progbits,_ZL15flash_attn_tileILi40ELi40ELi16ELi4ELb0EEvPKcS1_S1_S1_S1_PKiPfP15HIP_vector_typeIfLj2EEffffjfiS5_IjLj3EEiiiiiiiiiiiliiliiiiil,comdat
	.globl	_ZL15flash_attn_tileILi40ELi40ELi16ELi4ELb0EEvPKcS1_S1_S1_S1_PKiPfP15HIP_vector_typeIfLj2EEffffjfiS5_IjLj3EEiiiiiiiiiiiliiliiiiil ; -- Begin function _ZL15flash_attn_tileILi40ELi40ELi16ELi4ELb0EEvPKcS1_S1_S1_S1_PKiPfP15HIP_vector_typeIfLj2EEffffjfiS5_IjLj3EEiiiiiiiiiiiliiliiiiil
	.p2align	8
	.type	_ZL15flash_attn_tileILi40ELi40ELi16ELi4ELb0EEvPKcS1_S1_S1_S1_PKiPfP15HIP_vector_typeIfLj2EEffffjfiS5_IjLj3EEiiiiiiiiiiiliiliiiiil,@function
_ZL15flash_attn_tileILi40ELi40ELi16ELi4ELb0EEvPKcS1_S1_S1_S1_PKiPfP15HIP_vector_typeIfLj2EEffffjfiS5_IjLj3EEiiiiiiiiiiiliiliiiiil: ; @_ZL15flash_attn_tileILi40ELi40ELi16ELi4ELb0EEvPKcS1_S1_S1_S1_PKiPfP15HIP_vector_typeIfLj2EEffffjfiS5_IjLj3EEiiiiiiiiiiiliiliiiiil
; %bb.0:
	s_clause 0x1
	s_load_b128 s[36:39], s[0:1], 0x5c
	s_load_b64 s[40:41], s[0:1], 0x80
	s_mov_b64 s[42:43], 0
	s_waitcnt lgkmcnt(0)
	s_ashr_i32 s2, s39, 31
	s_delay_alu instid0(SALU_CYCLE_1) | instskip(NEXT) | instid1(SALU_CYCLE_1)
	s_lshr_b32 s2, s2, 30
	s_add_i32 s2, s39, s2
	s_delay_alu instid0(SALU_CYCLE_1) | instskip(NEXT) | instid1(SALU_CYCLE_1)
	s_ashr_i32 s2, s2, 2
	v_cvt_f32_u32_e32 v1, s2
	s_sub_i32 s4, 0, s2
	s_delay_alu instid0(VALU_DEP_1) | instskip(SKIP_2) | instid1(VALU_DEP_1)
	v_rcp_iflag_f32_e32 v1, v1
	s_waitcnt_depctr 0xfff
	v_mul_f32_e32 v1, 0x4f7ffffe, v1
	v_cvt_u32_f32_e32 v1, v1
	s_delay_alu instid0(VALU_DEP_1) | instskip(NEXT) | instid1(VALU_DEP_1)
	v_readfirstlane_b32 s3, v1
	s_mul_i32 s4, s4, s3
	s_delay_alu instid0(SALU_CYCLE_1) | instskip(NEXT) | instid1(SALU_CYCLE_1)
	s_mul_hi_u32 s4, s3, s4
	s_add_i32 s3, s3, s4
	s_delay_alu instid0(SALU_CYCLE_1) | instskip(NEXT) | instid1(SALU_CYCLE_1)
	s_mul_hi_u32 s3, s15, s3
	s_mul_i32 s4, s3, s2
	s_add_i32 s5, s3, 1
	s_sub_i32 s4, s15, s4
	s_delay_alu instid0(SALU_CYCLE_1)
	s_sub_i32 s6, s4, s2
	s_cmp_ge_u32 s4, s2
	s_cselect_b32 s3, s5, s3
	s_cselect_b32 s4, s6, s4
	s_add_i32 s5, s3, 1
	s_cmp_ge_u32 s4, s2
	s_cselect_b32 s44, s5, s3
	s_abs_i32 s2, s41
	s_abs_i32 s7, s39
	v_cvt_f32_u32_e32 v1, s2
	s_sub_i32 s4, 0, s2
	s_lshl_b32 s5, s15, 2
	s_mul_i32 s6, s44, s39
	s_delay_alu instid0(VALU_DEP_1) | instskip(SKIP_3) | instid1(VALU_DEP_1)
	v_rcp_iflag_f32_e32 v1, v1
	s_sub_i32 s34, s5, s6
	s_waitcnt_depctr 0xfff
	v_mul_f32_e32 v1, 0x4f7ffffe, v1
	v_cvt_u32_f32_e32 v1, v1
	s_delay_alu instid0(VALU_DEP_1) | instskip(NEXT) | instid1(VALU_DEP_1)
	v_readfirstlane_b32 s3, v1
	s_mul_i32 s4, s4, s3
	s_delay_alu instid0(SALU_CYCLE_1) | instskip(NEXT) | instid1(SALU_CYCLE_1)
	s_mul_hi_u32 s4, s3, s4
	s_add_i32 s3, s3, s4
	s_xor_b32 s4, s39, s41
	s_mul_hi_u32 s3, s7, s3
	s_ashr_i32 s4, s4, 31
	s_mul_i32 s5, s3, s2
	s_add_i32 s6, s3, 1
	s_sub_i32 s5, s7, s5
	s_delay_alu instid0(SALU_CYCLE_1)
	s_sub_i32 s7, s5, s2
	s_cmp_ge_u32 s5, s2
	s_cselect_b32 s3, s6, s3
	s_cselect_b32 s5, s7, s5
	s_add_i32 s6, s3, 1
	s_cmp_ge_u32 s5, s2
	s_cselect_b32 s2, s6, s3
	s_delay_alu instid0(SALU_CYCLE_1) | instskip(NEXT) | instid1(SALU_CYCLE_1)
	s_xor_b32 s2, s2, s4
	s_sub_i32 s11, s2, s4
	s_clause 0x1
	s_load_b512 s[16:31], s[0:1], 0x0
	s_load_b64 s[2:3], s[0:1], 0xb8
	s_abs_i32 s10, s11
	s_delay_alu instid0(SALU_CYCLE_1) | instskip(NEXT) | instid1(VALU_DEP_1)
	v_cvt_f32_u32_e32 v1, s10
	v_rcp_iflag_f32_e32 v1, v1
	s_waitcnt_depctr 0xfff
	v_mul_f32_e32 v1, 0x4f7ffffe, v1
	s_waitcnt lgkmcnt(0)
	s_cmp_eq_u64 s[22:23], 0
	s_delay_alu instid0(VALU_DEP_1) | instskip(NEXT) | instid1(VALU_DEP_1)
	v_cvt_u32_f32_e32 v1, v1
	v_readfirstlane_b32 s12, v1
	s_cbranch_scc1 .LBB17_2
; %bb.1:
	s_abs_i32 s2, s2
	s_abs_i32 s6, s44
	v_cvt_f32_u32_e32 v1, s2
	s_sub_i32 s5, 0, s2
	s_delay_alu instid0(VALU_DEP_1) | instskip(SKIP_2) | instid1(VALU_DEP_1)
	v_rcp_iflag_f32_e32 v1, v1
	s_waitcnt_depctr 0xfff
	v_mul_f32_e32 v1, 0x4f7ffffe, v1
	v_cvt_u32_f32_e32 v1, v1
	s_delay_alu instid0(VALU_DEP_1) | instskip(NEXT) | instid1(VALU_DEP_1)
	v_readfirstlane_b32 s4, v1
	s_mul_i32 s5, s5, s4
	s_delay_alu instid0(SALU_CYCLE_1) | instskip(NEXT) | instid1(SALU_CYCLE_1)
	s_mul_hi_u32 s5, s4, s5
	s_add_i32 s7, s4, s5
	s_load_b64 s[4:5], s[0:1], 0xc8
	s_mul_hi_u32 s7, s6, s7
	s_delay_alu instid0(SALU_CYCLE_1) | instskip(NEXT) | instid1(SALU_CYCLE_1)
	s_mul_i32 s7, s7, s2
	s_sub_i32 s6, s6, s7
	s_ashr_i32 s7, s44, 31
	s_sub_i32 s8, s6, s2
	s_cmp_ge_u32 s6, s2
	s_cselect_b32 s6, s8, s6
	s_delay_alu instid0(SALU_CYCLE_1) | instskip(SKIP_2) | instid1(SALU_CYCLE_1)
	s_sub_i32 s8, s6, s2
	s_cmp_ge_u32 s6, s2
	s_cselect_b32 s2, s8, s6
	s_xor_b32 s2, s2, s7
	s_delay_alu instid0(SALU_CYCLE_1)
	s_sub_i32 s2, s2, s7
	s_waitcnt lgkmcnt(0)
	s_mul_i32 s5, s2, s5
	s_mul_hi_u32 s6, s2, s4
	s_ashr_i32 s7, s2, 31
	s_add_i32 s5, s6, s5
	s_mul_i32 s7, s7, s4
	s_mul_i32 s2, s2, s4
	s_add_i32 s5, s5, s7
	s_add_u32 s42, s22, s2
	s_addc_u32 s43, s23, s5
.LBB17_2:
	s_clause 0x1
	s_load_b128 s[4:7], s[0:1], 0x70
	s_load_b32 s8, s[0:1], 0x40
	v_and_b32_e32 v31, 0x3ff, v0
	v_bfe_u32 v25, v0, 10, 10
	s_lshl_b32 s33, s13, 4
	s_delay_alu instid0(VALU_DEP_2) | instskip(SKIP_1) | instid1(VALU_DEP_3)
	v_lshlrev_b32_e32 v24, 1, v31
	v_cmp_gt_u32_e64 s2, 20, v31
	v_lshl_add_u32 v8, v25, 1, s33
	s_delay_alu instid0(VALU_DEP_3)
	v_lshlrev_b32_e32 v0, 2, v24
	s_waitcnt lgkmcnt(0)
	s_mul_i32 s7, s44, s6
	s_mul_i32 s9, s34, s5
	s_ashr_i32 s15, s7, 31
	s_add_u32 s7, s16, s7
	s_addc_u32 s15, s17, s15
	s_ashr_i32 s16, s9, 31
	s_add_u32 s9, s7, s9
	s_mov_b32 s6, s5
	s_addc_u32 s15, s15, s16
	s_ashr_i32 s7, s5, 31
	s_ashr_i32 s5, s4, 31
	s_lshr_b64 s[6:7], s[6:7], 2
	s_lshr_b64 s[4:5], s[4:5], 2
	s_mul_i32 s16, s7, 12
	s_mul_hi_u32 s17, s6, 12
	s_mul_i32 s22, s6, 12
	s_and_saveexec_b32 s23, s2
	s_cbranch_execz .LBB17_4
; %bb.3:
	v_mul_hi_u32 v1, v8, s36
	s_lshl_b64 s[46:47], s[6:7], 2
	s_delay_alu instid0(SALU_CYCLE_1) | instskip(SKIP_2) | instid1(SALU_CYCLE_1)
	s_add_u32 s35, s9, s46
	s_addc_u32 s41, s15, s47
	s_lshl_b64 s[46:47], s[6:7], 3
	s_add_u32 s45, s9, s46
	s_delay_alu instid0(VALU_DEP_1)
	v_add_nc_u32_e32 v1, v8, v1
	s_addc_u32 s46, s15, s47
	s_add_i32 s47, s17, s16
	s_add_u32 s48, s9, s22
	s_addc_u32 s47, s15, s47
	v_lshrrev_b32_e32 v1, s37, v1
	s_delay_alu instid0(VALU_DEP_1) | instskip(NEXT) | instid1(VALU_DEP_1)
	v_mul_lo_u32 v1, v1, s38
	v_sub_nc_u32_e32 v5, v8, v1
	s_delay_alu instid0(VALU_DEP_1) | instskip(NEXT) | instid1(VALU_DEP_1)
	v_mad_u64_u32 v[1:2], null, s4, v5, 0
	v_mad_u64_u32 v[3:4], null, s5, v5, v[2:3]
	s_delay_alu instid0(VALU_DEP_1) | instskip(NEXT) | instid1(VALU_DEP_1)
	v_mov_b32_e32 v2, v3
	v_lshlrev_b64 v[1:2], 2, v[1:2]
	s_delay_alu instid0(VALU_DEP_1) | instskip(NEXT) | instid1(VALU_DEP_2)
	v_add_co_u32 v3, vcc_lo, s9, v1
	v_add_co_ci_u32_e32 v4, vcc_lo, s15, v2, vcc_lo
	v_add_co_u32 v5, vcc_lo, s35, v1
	v_add_co_ci_u32_e32 v6, vcc_lo, s41, v2, vcc_lo
	;; [unrolled: 2-line block ×8, first 2 shown]
	s_clause 0x3
	global_load_b64 v[1:2], v[1:2], off
	global_load_b64 v[3:4], v[3:4], off
	;; [unrolled: 1-line block ×4, first 2 shown]
	v_mul_u32_u24_e32 v7, 0xa0, v25
	s_delay_alu instid0(VALU_DEP_1) | instskip(NEXT) | instid1(VALU_DEP_1)
	v_or_b32_e32 v7, v7, v31
	v_lshlrev_b32_e32 v7, 2, v7
	s_waitcnt vmcnt(3)
	v_fma_mixlo_f16 v1, v1, s8, 0
	s_waitcnt vmcnt(2)
	v_fma_mixlo_f16 v3, v3, s8, 0
	;; [unrolled: 2-line block ×4, first 2 shown]
	v_fma_mixhi_f16 v1, v2, s8, 0
	v_fma_mixhi_f16 v3, v4, s8, 0
	;; [unrolled: 1-line block ×3, first 2 shown]
	s_delay_alu instid0(VALU_DEP_4)
	v_fma_mixhi_f16 v9, v10, s8, 0
	ds_store_2addr_b32 v7, v1, v3 offset1:20
	ds_store_2addr_b32 v7, v5, v9 offset0:40 offset1:60
.LBB17_4:
	s_or_b32 exec_lo, exec_lo, s23
	v_lshlrev_b32_e32 v9, 3, v25
	s_delay_alu instid0(VALU_DEP_1) | instskip(NEXT) | instid1(VALU_DEP_1)
	v_or_b32_e32 v1, 4, v9
	v_lshrrev_b32_e32 v30, 2, v1
	s_and_saveexec_b32 s23, s2
	s_cbranch_execnz .LBB17_13
; %bb.5:
	s_or_b32 exec_lo, exec_lo, s23
	v_or_b32_e32 v29, 5, v9
	s_and_saveexec_b32 s23, s2
	s_cbranch_execnz .LBB17_14
.LBB17_6:
	s_or_b32 exec_lo, exec_lo, s23
	v_or_b32_e32 v28, 6, v9
	s_and_saveexec_b32 s23, s2
	s_cbranch_execnz .LBB17_15
.LBB17_7:
	s_or_b32 exec_lo, exec_lo, s23
	v_or_b32_e32 v27, 7, v9
	s_and_saveexec_b32 s6, s2
	s_cbranch_execz .LBB17_9
.LBB17_8:
	s_delay_alu instid0(VALU_DEP_1) | instskip(SKIP_1) | instid1(VALU_DEP_1)
	v_lshrrev_b32_e32 v1, 2, v27
	s_add_i32 s17, s17, s16
	v_add_nc_u32_e32 v1, s33, v1
	s_delay_alu instid0(VALU_DEP_1) | instskip(NEXT) | instid1(VALU_DEP_1)
	v_mul_hi_u32 v2, v1, s36
	v_add_nc_u32_e32 v2, v1, v2
	s_delay_alu instid0(VALU_DEP_1) | instskip(NEXT) | instid1(VALU_DEP_1)
	v_lshrrev_b32_e32 v2, s37, v2
	v_mul_lo_u32 v2, v2, s38
	s_delay_alu instid0(VALU_DEP_1) | instskip(NEXT) | instid1(VALU_DEP_1)
	v_sub_nc_u32_e32 v5, v1, v2
	v_mad_u64_u32 v[1:2], null, s4, v5, 0
	s_add_u32 s4, s9, s22
	s_delay_alu instid0(VALU_DEP_1) | instskip(SKIP_1) | instid1(VALU_DEP_1)
	v_mad_u64_u32 v[3:4], null, s5, v5, v[2:3]
	s_addc_u32 s5, s15, s17
	v_mov_b32_e32 v2, v3
	s_delay_alu instid0(VALU_DEP_1) | instskip(NEXT) | instid1(VALU_DEP_1)
	v_lshlrev_b64 v[1:2], 2, v[1:2]
	v_add_co_u32 v1, vcc_lo, s4, v1
	s_delay_alu instid0(VALU_DEP_2) | instskip(NEXT) | instid1(VALU_DEP_2)
	v_add_co_ci_u32_e32 v2, vcc_lo, s5, v2, vcc_lo
	v_add_co_u32 v0, vcc_lo, v1, v0
	s_delay_alu instid0(VALU_DEP_2) | instskip(SKIP_4) | instid1(VALU_DEP_1)
	v_add_co_ci_u32_e32 v1, vcc_lo, 0, v2, vcc_lo
	v_mul_u32_u24_e32 v2, 20, v27
	global_load_b64 v[0:1], v[0:1], off
	s_waitcnt vmcnt(0)
	v_fma_mixlo_f16 v0, v0, s8, 0
	v_fma_mixhi_f16 v0, v1, s8, 0
	v_add_lshl_u32 v1, v2, v31, 2
	ds_store_b32 v1, v0
.LBB17_9:
	s_or_b32 exec_lo, exec_lo, s6
	s_cmp_eq_u64 s[26:27], 0
	s_waitcnt lgkmcnt(0)
	s_barrier
	buffer_gl0_inv
	s_cbranch_scc1 .LBB17_11
; %bb.10:
	s_load_b32 s4, s[0:1], 0xd0
	s_mov_b32 s5, 0
	s_waitcnt lgkmcnt(0)
	s_mul_i32 s4, s4, s44
	s_delay_alu instid0(SALU_CYCLE_1) | instskip(NEXT) | instid1(SALU_CYCLE_1)
	s_add_i32 s4, s4, s13
	s_lshl_b64 s[4:5], s[4:5], 2
	s_delay_alu instid0(SALU_CYCLE_1)
	s_add_u32 s4, s26, s4
	s_addc_u32 s5, s27, s5
	s_load_b32 s40, s[4:5], 0x0
.LBB17_11:
	v_mbcnt_lo_u32_b32 v16, -1, 0
	s_lshl_b32 s35, s14, 5
	s_waitcnt lgkmcnt(0)
	s_cmp_lt_i32 s35, s40
	s_cbranch_scc1 .LBB17_16
; %bb.12:
	v_mbcnt_lo_u32_b32 v10, -1, 0
	v_mov_b32_e32 v17, 32
	s_mov_b32 s4, 0
	s_mov_b32 s5, 0xfeffffff
	s_delay_alu instid0(VALU_DEP_2)
	v_xor_b32_e32 v22, 16, v10
	v_xor_b32_e32 v21, 8, v10
	v_xor_b32_e32 v20, 4, v10
	v_xor_b32_e32 v19, 2, v10
	v_xor_b32_e32 v18, 1, v10
	s_branch .LBB17_17
.LBB17_13:
	s_delay_alu instid0(VALU_DEP_1) | instskip(SKIP_1) | instid1(VALU_DEP_2)
	v_add_nc_u32_e32 v2, s33, v30
	v_mul_u32_u24_e32 v1, 20, v1
	v_mul_hi_u32 v3, v2, s36
	s_delay_alu instid0(VALU_DEP_2) | instskip(NEXT) | instid1(VALU_DEP_2)
	v_add_lshl_u32 v1, v1, v31, 2
	v_add_nc_u32_e32 v3, v2, v3
	s_delay_alu instid0(VALU_DEP_1) | instskip(NEXT) | instid1(VALU_DEP_1)
	v_lshrrev_b32_e32 v3, s37, v3
	v_mul_lo_u32 v3, v3, s38
	s_delay_alu instid0(VALU_DEP_1) | instskip(NEXT) | instid1(VALU_DEP_1)
	v_sub_nc_u32_e32 v6, v2, v3
	v_mad_u64_u32 v[2:3], null, s4, v6, 0
	s_delay_alu instid0(VALU_DEP_1) | instskip(NEXT) | instid1(VALU_DEP_1)
	v_mad_u64_u32 v[4:5], null, s5, v6, v[3:4]
	v_mov_b32_e32 v3, v4
	s_delay_alu instid0(VALU_DEP_1) | instskip(NEXT) | instid1(VALU_DEP_1)
	v_lshlrev_b64 v[2:3], 2, v[2:3]
	v_add_co_u32 v2, vcc_lo, s9, v2
	s_delay_alu instid0(VALU_DEP_2) | instskip(NEXT) | instid1(VALU_DEP_2)
	v_add_co_ci_u32_e32 v3, vcc_lo, s15, v3, vcc_lo
	v_add_co_u32 v2, vcc_lo, v2, v0
	s_delay_alu instid0(VALU_DEP_2) | instskip(SKIP_3) | instid1(VALU_DEP_1)
	v_add_co_ci_u32_e32 v3, vcc_lo, 0, v3, vcc_lo
	global_load_b64 v[2:3], v[2:3], off
	s_waitcnt vmcnt(0)
	v_fma_mixlo_f16 v2, v2, s8, 0
	v_fma_mixhi_f16 v2, v3, s8, 0
	ds_store_b32 v1, v2
	s_or_b32 exec_lo, exec_lo, s23
	v_or_b32_e32 v29, 5, v9
	s_and_saveexec_b32 s23, s2
	s_cbranch_execz .LBB17_6
.LBB17_14:
	s_delay_alu instid0(VALU_DEP_1) | instskip(SKIP_1) | instid1(SALU_CYCLE_1)
	v_lshrrev_b32_e32 v1, 2, v29
	s_lshl_b64 s[46:47], s[6:7], 2
	s_add_u32 s35, s9, s46
	s_addc_u32 s41, s15, s47
	s_delay_alu instid0(VALU_DEP_1) | instskip(NEXT) | instid1(VALU_DEP_1)
	v_add_nc_u32_e32 v1, s33, v1
	v_mul_hi_u32 v2, v1, s36
	s_delay_alu instid0(VALU_DEP_1) | instskip(NEXT) | instid1(VALU_DEP_1)
	v_add_nc_u32_e32 v2, v1, v2
	v_lshrrev_b32_e32 v2, s37, v2
	s_delay_alu instid0(VALU_DEP_1) | instskip(NEXT) | instid1(VALU_DEP_1)
	v_mul_lo_u32 v2, v2, s38
	v_sub_nc_u32_e32 v5, v1, v2
	s_delay_alu instid0(VALU_DEP_1) | instskip(NEXT) | instid1(VALU_DEP_1)
	v_mad_u64_u32 v[1:2], null, s4, v5, 0
	v_mad_u64_u32 v[3:4], null, s5, v5, v[2:3]
	s_delay_alu instid0(VALU_DEP_1) | instskip(SKIP_1) | instid1(VALU_DEP_2)
	v_mov_b32_e32 v2, v3
	v_mul_u32_u24_e32 v3, 20, v29
	v_lshlrev_b64 v[1:2], 2, v[1:2]
	s_delay_alu instid0(VALU_DEP_1) | instskip(NEXT) | instid1(VALU_DEP_2)
	v_add_co_u32 v1, vcc_lo, s35, v1
	v_add_co_ci_u32_e32 v2, vcc_lo, s41, v2, vcc_lo
	s_delay_alu instid0(VALU_DEP_2) | instskip(NEXT) | instid1(VALU_DEP_2)
	v_add_co_u32 v1, vcc_lo, v1, v0
	v_add_co_ci_u32_e32 v2, vcc_lo, 0, v2, vcc_lo
	global_load_b64 v[1:2], v[1:2], off
	s_waitcnt vmcnt(0)
	v_fma_mixlo_f16 v1, v1, s8, 0
	s_delay_alu instid0(VALU_DEP_1)
	v_fma_mixhi_f16 v1, v2, s8, 0
	v_add_lshl_u32 v2, v3, v31, 2
	ds_store_b32 v2, v1
	s_or_b32 exec_lo, exec_lo, s23
	v_or_b32_e32 v28, 6, v9
	s_and_saveexec_b32 s23, s2
	s_cbranch_execz .LBB17_7
.LBB17_15:
	s_delay_alu instid0(VALU_DEP_1) | instskip(SKIP_1) | instid1(SALU_CYCLE_1)
	v_lshrrev_b32_e32 v1, 2, v28
	s_lshl_b64 s[6:7], s[6:7], 3
	s_add_u32 s6, s9, s6
	s_addc_u32 s7, s15, s7
	s_delay_alu instid0(VALU_DEP_1) | instskip(NEXT) | instid1(VALU_DEP_1)
	v_add_nc_u32_e32 v1, s33, v1
	v_mul_hi_u32 v2, v1, s36
	s_delay_alu instid0(VALU_DEP_1) | instskip(NEXT) | instid1(VALU_DEP_1)
	v_add_nc_u32_e32 v2, v1, v2
	v_lshrrev_b32_e32 v2, s37, v2
	s_delay_alu instid0(VALU_DEP_1) | instskip(NEXT) | instid1(VALU_DEP_1)
	v_mul_lo_u32 v2, v2, s38
	v_sub_nc_u32_e32 v5, v1, v2
	s_delay_alu instid0(VALU_DEP_1) | instskip(NEXT) | instid1(VALU_DEP_1)
	v_mad_u64_u32 v[1:2], null, s4, v5, 0
	v_mad_u64_u32 v[3:4], null, s5, v5, v[2:3]
	s_delay_alu instid0(VALU_DEP_1) | instskip(SKIP_1) | instid1(VALU_DEP_2)
	v_mov_b32_e32 v2, v3
	v_mul_u32_u24_e32 v3, 20, v28
	v_lshlrev_b64 v[1:2], 2, v[1:2]
	s_delay_alu instid0(VALU_DEP_1) | instskip(NEXT) | instid1(VALU_DEP_2)
	v_add_co_u32 v1, vcc_lo, s6, v1
	v_add_co_ci_u32_e32 v2, vcc_lo, s7, v2, vcc_lo
	s_delay_alu instid0(VALU_DEP_2) | instskip(NEXT) | instid1(VALU_DEP_2)
	v_add_co_u32 v1, vcc_lo, v1, v0
	v_add_co_ci_u32_e32 v2, vcc_lo, 0, v2, vcc_lo
	global_load_b64 v[1:2], v[1:2], off
	s_waitcnt vmcnt(0)
	v_fma_mixlo_f16 v1, v1, s8, 0
	s_delay_alu instid0(VALU_DEP_1)
	v_fma_mixhi_f16 v1, v2, s8, 0
	v_add_lshl_u32 v2, v3, v31, 2
	ds_store_b32 v2, v1
	s_or_b32 exec_lo, exec_lo, s23
	v_or_b32_e32 v27, 7, v9
	s_and_saveexec_b32 s6, s2
	s_cbranch_execnz .LBB17_8
	s_branch .LBB17_9
.LBB17_16:
	s_mov_b32 s4, -1
                                        ; implicit-def: $sgpr5
                                        ; implicit-def: $vgpr10
                                        ; implicit-def: $vgpr17
                                        ; implicit-def: $vgpr22
                                        ; implicit-def: $vgpr21
                                        ; implicit-def: $vgpr20
                                        ; implicit-def: $vgpr19
                                        ; implicit-def: $vgpr18
.LBB17_17:
	s_delay_alu instid0(SALU_CYCLE_1) | instskip(SKIP_2) | instid1(VALU_DEP_3)
	v_cndmask_b32_e64 v0, 0, 1, s4
	v_dual_mov_b32 v7, s5 :: v_dual_mov_b32 v66, s4
	v_dual_mov_b32 v39, s4 :: v_dual_mov_b32 v6, s5
	v_cmp_ne_u32_e32 vcc_lo, 1, v0
	v_dual_mov_b32 v5, s5 :: v_dual_mov_b32 v4, s5
	v_dual_mov_b32 v3, s5 :: v_dual_mov_b32 v2, s5
	v_dual_mov_b32 v1, s5 :: v_dual_mov_b32 v0, s5
	v_dual_mov_b32 v69, s4 :: v_dual_mov_b32 v68, s4
	v_dual_mov_b32 v67, s4 :: v_dual_mov_b32 v72, s4
	v_dual_mov_b32 v71, s4 :: v_dual_mov_b32 v70, s4
	v_dual_mov_b32 v73, s4 :: v_dual_mov_b32 v38, s4
	v_dual_mov_b32 v37, s4 :: v_dual_mov_b32 v36, s4
	v_dual_mov_b32 v35, s4 :: v_dual_mov_b32 v34, s4
	v_dual_mov_b32 v33, s4 :: v_dual_mov_b32 v32, s4
	s_cbranch_vccnz .LBB17_30
; %bb.18:
	s_clause 0x1
	s_load_b128 s[4:7], s[0:1], 0x98
	s_load_b64 s[8:9], s[0:1], 0x8c
	s_sub_i32 s13, 0, s10
	v_dual_mov_b32 v32, 0 :: v_dual_add_nc_u32 v3, 1, v8
	s_mul_i32 s13, s13, s12
	v_mul_hi_u32 v0, s36, v8
	s_mul_hi_u32 s13, s12, s13
	s_delay_alu instid0(VALU_DEP_2)
	v_mul_hi_u32 v2, s36, v3
	s_abs_i32 s15, s34
	s_add_i32 s12, s12, s13
	s_ashr_i32 s13, s3, 1
	s_mul_hi_u32 s3, s15, s12
	s_ashr_i32 s12, s44, 31
	v_lshrrev_b32_e32 v1, 2, v31
	s_ashr_i32 s22, s34, 31
	s_ashr_i32 s11, s11, 31
	s_load_b64 s[16:17], s[0:1], 0xa8
	s_mul_i32 s23, s3, s10
	v_dual_mov_b32 v58, 0xfeffffff :: v_dual_add_nc_u32 v7, v9, v1
	s_waitcnt lgkmcnt(0)
	s_ashr_i32 s41, s6, 2
	s_mul_i32 s5, s44, s5
	s_mul_hi_u32 s6, s44, s4
	s_ashr_i32 s45, s8, 2
	s_mul_i32 s8, s12, s4
	s_add_i32 s5, s6, s5
	s_mul_i32 s4, s44, s4
	s_add_i32 s5, s5, s8
	s_add_u32 s4, s18, s4
	v_dual_mov_b32 v17, 32 :: v_dual_add_nc_u32 v0, v8, v0
	v_dual_mov_b32 v36, 0 :: v_dual_add_nc_u32 v1, v3, v2
	s_addc_u32 s5, s19, s5
	s_sub_i32 s8, s15, s23
	s_xor_b32 s6, s22, s11
	s_add_i32 s11, s3, 1
	s_sub_i32 s15, s8, s10
	v_dual_mov_b32 v34, 0 :: v_dual_lshlrev_b32 v9, 2, v31
	s_cmp_ge_u32 s8, s10
	v_lshrrev_b32_e32 v2, s37, v0
	v_lshrrev_b32_e32 v1, s37, v1
	s_cselect_b32 s3, s11, s3
	s_cselect_b32 s8, s15, s8
	s_add_i32 s11, s3, 1
	v_dual_mov_b32 v33, 0 :: v_dual_and_b32 v18, 12, v9
	s_cmp_ge_u32 s8, s10
	v_mul_lo_u32 v6, v2, s38
	v_mul_lo_u32 v11, v1, s38
	s_cselect_b32 s3, s11, s3
	v_mul_u32_u24_e32 v4, 0x60, v7
	s_xor_b32 s3, s3, s6
	v_dual_mov_b32 v35, 0 :: v_dual_lshlrev_b32 v10, 2, v18
	s_sub_i32 s3, s3, s6
	v_lshl_add_u32 v5, v25, 5, v31
	s_mul_i32 s6, s3, s9
	s_delay_alu instid0(VALU_DEP_2)
	v_add3_u32 v40, v4, v10, 0x2400
	v_sub_nc_u32_e32 v4, v8, v6
	v_sub_nc_u32_e32 v6, v3, v11
	s_mul_i32 s8, s44, s17
	s_mul_hi_u32 s10, s44, s16
	s_ashr_i32 s11, s6, 31
	s_add_u32 s46, s4, s6
	s_mul_i32 s12, s12, s16
	s_addc_u32 s47, s5, s11
	s_add_i32 s4, s10, s8
	s_mul_i32 s9, s44, s16
	s_mul_i32 s3, s3, s7
	s_add_i32 s4, s4, s12
	v_mul_lo_u32 v0, s45, v7
	v_mul_lo_u32 v2, s45, v5
	;; [unrolled: 1-line block ×6, first 2 shown]
	s_add_u32 s5, s20, s9
	s_addc_u32 s4, s21, s4
	s_ashr_i32 s6, s3, 31
	s_add_u32 s36, s5, s3
	v_cmp_gt_u32_e64 s3, 32, v7
	v_mul_u32_u24_e32 v7, 0x50, v7
	s_movk_i32 s5, 0x2440
	v_cmp_gt_u32_e32 vcc_lo, 32, v5
	v_mad_u32_u24 v41, 0x60, v5, s5
	s_movk_i32 s5, 0x50
	v_ashrrev_i32_e32 v1, 31, v0
	v_ashrrev_i32_e32 v3, 31, v2
	v_lshl_add_u32 v44, v25, 9, 0x1400
	v_dual_mov_b32 v37, 0 :: v_dual_lshlrev_b32 v12, 4, v31
	v_mad_u32_u24 v45, v5, s5, 0x2440
	v_ashrrev_i32_e32 v5, 31, v4
	v_add3_u32 v46, v7, v10, 0x2400
	v_ashrrev_i32_e32 v7, 31, v6
	v_dual_mov_b32 v38, 0 :: v_dual_add_nc_u32 v47, 0x2400, v9
	v_lshlrev_b64 v[8:9], 2, v[2:3]
	v_lshlrev_b64 v[10:11], 2, v[0:1]
	v_dual_mov_b32 v39, 0 :: v_dual_add_nc_u32 v48, v44, v12
	v_lshlrev_b64 v[12:13], 2, v[4:5]
	v_lshlrev_b64 v[14:15], 2, v[6:7]
	v_mul_u32_u24_e32 v23, 0x60, v31
	v_mul_u32_u24_e32 v26, 0x280, v25
	v_dual_mov_b32 v60, 0xfeffffff :: v_dual_lshlrev_b32 v49, 2, v18
	v_xor_b32_e32 v22, 16, v16
	v_xor_b32_e32 v21, 8, v16
	;; [unrolled: 1-line block ×5, first 2 shown]
	v_dual_mov_b32 v59, 0xfeffffff :: v_dual_mov_b32 v64, 0xfeffffff
	v_dual_mov_b32 v63, 0xfeffffff :: v_dual_mov_b32 v62, 0xfeffffff
	;; [unrolled: 1-line block ×6, first 2 shown]
	v_mov_b32_e32 v53, 0
	v_mov_b32_e32 v51, 0
	s_addc_u32 s37, s4, s6
	s_add_u32 s22, s0, 0xd0
	s_addc_u32 s23, s1, 0
.LBB17_19:                              ; =>This Inner Loop Header: Depth=1
	s_mul_hi_i32 s5, s35, s45
	s_mul_i32 s4, s35, s45
	s_delay_alu instid0(SALU_CYCLE_1) | instskip(NEXT) | instid1(SALU_CYCLE_1)
	s_lshl_b64 s[6:7], s[4:5], 2
	s_add_u32 s5, s46, s6
	s_addc_u32 s6, s47, s7
	s_and_saveexec_b32 s7, vcc_lo
	s_cbranch_execz .LBB17_21
; %bb.20:                               ;   in Loop: Header=BB17_19 Depth=1
	v_add_co_u32 v0, s4, s5, v8
	s_delay_alu instid0(VALU_DEP_1)
	v_add_co_ci_u32_e64 v1, s4, s6, v9, s4
	global_load_b128 v[0:3], v[0:1], off offset:64
	s_waitcnt vmcnt(0)
	ds_store_b128 v41, v[0:3]
.LBB17_21:                              ;   in Loop: Header=BB17_19 Depth=1
	s_or_b32 exec_lo, exec_lo, s7
	s_and_saveexec_b32 s7, s3
	s_cbranch_execz .LBB17_23
; %bb.22:                               ;   in Loop: Header=BB17_19 Depth=1
	v_add_co_u32 v0, s4, s5, v10
	s_delay_alu instid0(VALU_DEP_1) | instskip(NEXT) | instid1(VALU_DEP_2)
	v_add_co_ci_u32_e64 v1, s4, s6, v11, s4
	v_add_co_u32 v0, s4, v0, v49
	s_delay_alu instid0(VALU_DEP_1)
	v_add_co_ci_u32_e64 v1, s4, 0, v1, s4
	global_load_b128 v[0:3], v[0:1], off
	s_waitcnt vmcnt(0)
	ds_store_b128 v40, v[0:3]
.LBB17_23:                              ;   in Loop: Header=BB17_19 Depth=1
	s_or_b32 exec_lo, exec_lo, s7
	s_waitcnt lgkmcnt(0)
	s_barrier
	buffer_gl0_inv
	ds_load_b128 v[66:69], v23 offset:9216
	ds_load_b128 v[70:73], v26
	ds_load_b128 v[74:77], v26 offset:80
	ds_load_b128 v[78:81], v26 offset:160
	;; [unrolled: 1-line block ×7, first 2 shown]
	v_dual_mov_b32 v0, 0 :: v_dual_mov_b32 v1, 0
	v_dual_mov_b32 v2, 0 :: v_dual_mov_b32 v3, 0
	v_dual_mov_b32 v4, 0 :: v_dual_mov_b32 v5, 0
	v_dual_mov_b32 v6, 0 :: v_dual_mov_b32 v7, 0
	s_mul_hi_i32 s27, s35, s41
	s_waitcnt lgkmcnt(7)
	;;#ASMSTART
	v_dot2_f32_f16 v0, v66, v70, v0
	;;#ASMEND
	;;#ASMSTART
	v_dot2_f32_f16 v0, v67, v71, v0
	;;#ASMEND
	;;#ASMSTART
	v_dot2_f32_f16 v0, v68, v72, v0
	;;#ASMEND
	;;#ASMSTART
	v_dot2_f32_f16 v0, v69, v73, v0
	;;#ASMEND
	s_waitcnt lgkmcnt(6)
	;;#ASMSTART
	v_dot2_f32_f16 v1, v66, v74, v1
	;;#ASMEND
	;;#ASMSTART
	v_dot2_f32_f16 v1, v67, v75, v1
	;;#ASMEND
	;;#ASMSTART
	v_dot2_f32_f16 v1, v68, v76, v1
	;;#ASMEND
	;;#ASMSTART
	v_dot2_f32_f16 v1, v69, v77, v1
	;;#ASMEND
	;; [unrolled: 13-line block ×8, first 2 shown]
	ds_load_b128 v[66:69], v23 offset:9232
	ds_load_b128 v[70:73], v26 offset:16
	;; [unrolled: 1-line block ×9, first 2 shown]
	s_mul_i32 s26, s35, s41
	s_waitcnt lgkmcnt(7)
	;;#ASMSTART
	v_dot2_f32_f16 v0, v66, v70, v0
	;;#ASMEND
	;;#ASMSTART
	v_dot2_f32_f16 v0, v67, v71, v0
	;;#ASMEND
	;;#ASMSTART
	v_dot2_f32_f16 v0, v68, v72, v0
	;;#ASMEND
	;;#ASMSTART
	v_dot2_f32_f16 v0, v69, v73, v0
	;;#ASMEND
	s_waitcnt lgkmcnt(6)
	;;#ASMSTART
	v_dot2_f32_f16 v1, v66, v74, v1
	;;#ASMEND
	;;#ASMSTART
	v_dot2_f32_f16 v1, v67, v75, v1
	;;#ASMEND
	;;#ASMSTART
	v_dot2_f32_f16 v1, v68, v76, v1
	;;#ASMEND
	;;#ASMSTART
	v_dot2_f32_f16 v1, v69, v77, v1
	;;#ASMEND
	;; [unrolled: 13-line block ×8, first 2 shown]
	ds_load_b128 v[66:69], v23 offset:9248
	ds_load_b128 v[70:73], v26 offset:32
	;; [unrolled: 1-line block ×9, first 2 shown]
	s_waitcnt lgkmcnt(7)
	;;#ASMSTART
	v_dot2_f32_f16 v0, v66, v70, v0
	;;#ASMEND
	;;#ASMSTART
	v_dot2_f32_f16 v0, v67, v71, v0
	;;#ASMEND
	;;#ASMSTART
	v_dot2_f32_f16 v0, v68, v72, v0
	;;#ASMEND
	;;#ASMSTART
	v_dot2_f32_f16 v0, v69, v73, v0
	;;#ASMEND
	s_waitcnt lgkmcnt(6)
	;;#ASMSTART
	v_dot2_f32_f16 v1, v66, v74, v1
	;;#ASMEND
	;;#ASMSTART
	v_dot2_f32_f16 v1, v67, v75, v1
	;;#ASMEND
	;;#ASMSTART
	v_dot2_f32_f16 v1, v68, v76, v1
	;;#ASMEND
	;;#ASMSTART
	v_dot2_f32_f16 v1, v69, v77, v1
	;;#ASMEND
	;; [unrolled: 13-line block ×8, first 2 shown]
	ds_load_b128 v[66:69], v23 offset:9264
	ds_load_b128 v[70:73], v26 offset:48
	;; [unrolled: 1-line block ×9, first 2 shown]
	s_waitcnt lgkmcnt(7)
	;;#ASMSTART
	v_dot2_f32_f16 v0, v66, v70, v0
	;;#ASMEND
	;;#ASMSTART
	v_dot2_f32_f16 v0, v67, v71, v0
	;;#ASMEND
	;;#ASMSTART
	v_dot2_f32_f16 v0, v68, v72, v0
	;;#ASMEND
	;;#ASMSTART
	v_dot2_f32_f16 v0, v69, v73, v0
	;;#ASMEND
	s_waitcnt lgkmcnt(6)
	;;#ASMSTART
	v_dot2_f32_f16 v1, v66, v74, v1
	;;#ASMEND
	;;#ASMSTART
	v_dot2_f32_f16 v1, v67, v75, v1
	;;#ASMEND
	;;#ASMSTART
	v_dot2_f32_f16 v1, v68, v76, v1
	;;#ASMEND
	;;#ASMSTART
	v_dot2_f32_f16 v1, v69, v77, v1
	;;#ASMEND
	;; [unrolled: 13-line block ×8, first 2 shown]
	ds_load_b128 v[66:69], v23 offset:9280
	ds_load_b128 v[70:73], v26 offset:64
	ds_load_b128 v[74:77], v26 offset:144
	ds_load_b128 v[78:81], v26 offset:224
	v_add_nc_u32_e32 v82, s35, v31
	s_lshl_b64 s[26:27], s[26:27], 2
	s_delay_alu instid0(SALU_CYCLE_1) | instskip(SKIP_1) | instid1(VALU_DEP_1)
	s_add_u32 s26, s36, s26
	s_addc_u32 s27, s37, s27
	v_add_nc_u32_e32 v102, v82, v42
	v_add_nc_u32_e32 v104, v82, v43
	ds_load_b128 v[82:85], v26 offset:304
	ds_load_b128 v[86:89], v26 offset:384
	;; [unrolled: 1-line block ×5, first 2 shown]
	s_waitcnt lgkmcnt(7)
	;;#ASMSTART
	v_dot2_f32_f16 v0, v66, v70, v0
	;;#ASMEND
	;;#ASMSTART
	v_dot2_f32_f16 v0, v67, v71, v0
	;;#ASMEND
	;; [unrolled: 3-line block ×4, first 2 shown]
	v_max_f32_e32 v73, v61, v61
	s_waitcnt lgkmcnt(6)
	;;#ASMSTART
	v_dot2_f32_f16 v1, v66, v74, v1
	;;#ASMEND
	;;#ASMSTART
	v_dot2_f32_f16 v1, v67, v75, v1
	;;#ASMEND
	;;#ASMSTART
	v_dot2_f32_f16 v1, v68, v76, v1
	;;#ASMEND
	;;#ASMSTART
	v_dot2_f32_f16 v1, v69, v77, v1
	;;#ASMEND
	s_waitcnt lgkmcnt(5)
	;;#ASMSTART
	v_dot2_f32_f16 v2, v66, v78, v2
	;;#ASMEND
	;;#ASMSTART
	v_dot2_f32_f16 v2, v67, v79, v2
	;;#ASMEND
	;;#ASMSTART
	v_dot2_f32_f16 v2, v68, v80, v2
	;;#ASMEND
	;;#ASMSTART
	v_dot2_f32_f16 v2, v69, v81, v2
	;;#ASMEND
	;; [unrolled: 13-line block ×3, first 2 shown]
	s_waitcnt lgkmcnt(3)
	;;#ASMSTART
	v_dot2_f32_f16 v4, v66, v86, v4
	;;#ASMEND
	;;#ASMSTART
	v_dot2_f32_f16 v4, v67, v87, v4
	;;#ASMEND
	v_ashrrev_i32_e32 v103, 31, v102
	;;#ASMSTART
	v_dot2_f32_f16 v4, v68, v88, v4
	;;#ASMEND
	;;#ASMSTART
	v_dot2_f32_f16 v4, v69, v89, v4
	;;#ASMEND
	s_waitcnt lgkmcnt(2)
	;;#ASMSTART
	v_dot2_f32_f16 v5, v66, v90, v5
	;;#ASMEND
	;;#ASMSTART
	v_dot2_f32_f16 v5, v67, v91, v5
	;;#ASMEND
	v_ashrrev_i32_e32 v105, 31, v104
	;;#ASMSTART
	v_dot2_f32_f16 v5, v68, v92, v5
	;;#ASMEND
	;;#ASMSTART
	v_dot2_f32_f16 v5, v69, v93, v5
	;;#ASMEND
	s_waitcnt lgkmcnt(1)
	;;#ASMSTART
	v_dot2_f32_f16 v6, v66, v94, v6
	;;#ASMEND
	;;#ASMSTART
	v_dot2_f32_f16 v6, v67, v95, v6
	;;#ASMEND
	v_lshlrev_b64 v[70:71], 1, v[102:103]
	;;#ASMSTART
	v_dot2_f32_f16 v6, v68, v96, v6
	;;#ASMEND
	;;#ASMSTART
	v_dot2_f32_f16 v6, v69, v97, v6
	;;#ASMEND
	s_waitcnt lgkmcnt(0)
	;;#ASMSTART
	v_dot2_f32_f16 v7, v66, v98, v7
	;;#ASMEND
	;;#ASMSTART
	v_dot2_f32_f16 v7, v67, v99, v7
	;;#ASMEND
	v_lshlrev_b64 v[66:67], 1, v[104:105]
	;;#ASMSTART
	v_dot2_f32_f16 v7, v68, v100, v7
	;;#ASMEND
	v_add_co_u32 v68, s4, s42, v70
	;;#ASMSTART
	v_dot2_f32_f16 v7, v69, v101, v7
	;;#ASMEND
	v_add_co_ci_u32_e64 v69, s4, s43, v71, s4
	s_delay_alu instid0(VALU_DEP_3) | instskip(NEXT) | instid1(VALU_DEP_1)
	v_add_co_u32 v66, s4, s42, v66
	v_add_co_ci_u32_e64 v67, s4, s43, v67, s4
	s_clause 0x1
	flat_load_u16 v68, v[68:69]
	flat_load_u16 v66, v[66:67]
	v_cmp_gt_i32_e64 s4, 32, v22
	v_max_f32_e32 v69, v59, v59
	v_dual_max_f32 v71, v60, v60 :: v_dual_max_f32 v72, v63, v63
	v_max_f32_e32 v75, v62, v62
	s_delay_alu instid0(VALU_DEP_4)
	v_cndmask_b32_e64 v67, v16, v22, s4
	v_max_f32_e32 v70, v58, v58
	v_cmp_gt_i32_e64 s4, 32, v21
	s_waitcnt vmcnt(0) lgkmcnt(0)
	s_barrier
	v_lshlrev_b32_e32 v67, 2, v67
	buffer_gl0_inv
	v_cvt_f32_f16_e32 v68, v68
	v_cvt_f32_f16_e32 v66, v66
	s_delay_alu instid0(VALU_DEP_2) | instskip(NEXT) | instid1(VALU_DEP_2)
	v_dual_max_f32 v76, v65, v65 :: v_dual_add_f32 v79, v3, v68
	v_dual_add_f32 v77, v1, v68 :: v_dual_add_f32 v82, v7, v66
	v_max_f32_e32 v74, v64, v64
	s_delay_alu instid0(VALU_DEP_3) | instskip(NEXT) | instid1(VALU_DEP_3)
	v_dual_add_f32 v78, v0, v68 :: v_dual_add_f32 v3, 0x40051340, v79
	v_dual_add_f32 v1, 0x40051340, v77 :: v_dual_add_f32 v68, v2, v68
	v_add_f32_e32 v81, v4, v66
	s_delay_alu instid0(VALU_DEP_3) | instskip(NEXT) | instid1(VALU_DEP_3)
	v_dual_add_f32 v80, v5, v66 :: v_dual_max_f32 v3, v71, v3
	v_dual_add_f32 v0, 0x40051340, v78 :: v_dual_max_f32 v1, v69, v1
	s_delay_alu instid0(VALU_DEP_2)
	v_dual_add_f32 v66, v6, v66 :: v_dual_add_f32 v5, 0x40051340, v80
	v_dual_add_f32 v2, 0x40051340, v68 :: v_dual_add_f32 v7, 0x40051340, v82
	ds_bpermute_b32 v69, v67, v1
	v_add_f32_e32 v4, 0x40051340, v81
	v_dual_add_f32 v6, 0x40051340, v66 :: v_dual_max_f32 v5, v73, v5
	v_max_f32_e32 v7, v75, v7
	ds_bpermute_b32 v71, v67, v3
	v_max_f32_e32 v0, v70, v0
	v_max_f32_e32 v2, v72, v2
	ds_bpermute_b32 v73, v67, v5
	ds_bpermute_b32 v75, v67, v7
	v_max_f32_e32 v4, v74, v4
	v_max_f32_e32 v6, v76, v6
	v_cndmask_b32_e64 v76, v16, v21, s4
	v_cmp_gt_i32_e64 s4, 32, v20
	s_waitcnt lgkmcnt(3)
	v_max_f32_e32 v69, v69, v69
	ds_bpermute_b32 v70, v67, v0
	s_waitcnt lgkmcnt(3)
	v_max_f32_e32 v71, v71, v71
	ds_bpermute_b32 v72, v67, v2
	v_max_f32_e32 v1, v1, v69
	s_waitcnt lgkmcnt(3)
	v_max_f32_e32 v73, v73, v73
	s_waitcnt lgkmcnt(2)
	v_max_f32_e32 v75, v75, v75
	ds_bpermute_b32 v74, v67, v4
	ds_bpermute_b32 v67, v67, v6
	v_dual_max_f32 v5, v5, v73 :: v_dual_lshlrev_b32 v76, 2, v76
	v_max_f32_e32 v7, v7, v75
	s_waitcnt lgkmcnt(3)
	v_dual_max_f32 v3, v3, v71 :: v_dual_max_f32 v70, v70, v70
	s_delay_alu instid0(VALU_DEP_1)
	v_max_f32_e32 v0, v0, v70
	s_waitcnt lgkmcnt(2)
	v_max_f32_e32 v72, v72, v72
	s_waitcnt lgkmcnt(0)
	v_dual_max_f32 v74, v74, v74 :: v_dual_max_f32 v67, v67, v67
	ds_bpermute_b32 v69, v76, v0
	ds_bpermute_b32 v70, v76, v3
	v_max_f32_e32 v4, v4, v74
	ds_bpermute_b32 v74, v76, v7
	s_waitcnt lgkmcnt(2)
	v_max_f32_e32 v69, v69, v69
	ds_bpermute_b32 v73, v76, v4
	v_max_f32_e32 v6, v6, v67
	ds_bpermute_b32 v67, v76, v1
	;; [unrolled: 2-line block ×3, first 2 shown]
	s_waitcnt lgkmcnt(2)
	v_max_f32_e32 v73, v73, v73
	ds_bpermute_b32 v75, v76, v6
	s_waitcnt lgkmcnt(2)
	v_max_f32_e32 v67, v67, v67
	ds_bpermute_b32 v71, v76, v2
	v_cndmask_b32_e64 v76, v16, v20, s4
	s_waitcnt lgkmcnt(2)
	v_max_f32_e32 v72, v72, v72
	v_dual_max_f32 v70, v70, v70 :: v_dual_max_f32 v1, v1, v67
	v_max_f32_e32 v74, v74, v74
	v_lshlrev_b32_e32 v76, 2, v76
	s_delay_alu instid0(VALU_DEP_4) | instskip(SKIP_1) | instid1(VALU_DEP_4)
	v_max_f32_e32 v5, v5, v72
	v_cmp_gt_i32_e64 s4, 32, v19
	v_max_f32_e32 v7, v7, v74
	s_waitcnt lgkmcnt(1)
	v_dual_max_f32 v75, v75, v75 :: v_dual_max_f32 v0, v0, v69
	v_max_f32_e32 v3, v3, v70
	s_waitcnt lgkmcnt(0)
	v_max_f32_e32 v71, v71, v71
	ds_bpermute_b32 v67, v76, v1
	v_max_f32_e32 v4, v4, v73
	ds_bpermute_b32 v69, v76, v0
	ds_bpermute_b32 v70, v76, v3
	v_max_f32_e32 v2, v2, v71
	v_max_f32_e32 v6, v6, v75
	ds_bpermute_b32 v72, v76, v5
	ds_bpermute_b32 v74, v76, v7
	;; [unrolled: 1-line block ×3, first 2 shown]
	s_waitcnt lgkmcnt(5)
	v_max_f32_e32 v67, v67, v67
	ds_bpermute_b32 v73, v76, v4
	s_waitcnt lgkmcnt(5)
	v_max_f32_e32 v69, v69, v69
	ds_bpermute_b32 v75, v76, v6
	v_cndmask_b32_e64 v76, v16, v19, s4
	s_waitcnt lgkmcnt(5)
	v_max_f32_e32 v70, v70, v70
	s_waitcnt lgkmcnt(4)
	v_max_f32_e32 v72, v72, v72
	s_waitcnt lgkmcnt(3)
	v_dual_max_f32 v74, v74, v74 :: v_dual_max_f32 v1, v1, v67
	s_waitcnt lgkmcnt(2)
	v_dual_max_f32 v71, v71, v71 :: v_dual_lshlrev_b32 v76, 2, v76
	v_cmp_gt_i32_e64 s4, 32, v18
	s_delay_alu instid0(VALU_DEP_3)
	v_max_f32_e32 v7, v7, v74
	ds_bpermute_b32 v67, v76, v1
	ds_bpermute_b32 v74, v76, v7
	s_waitcnt lgkmcnt(3)
	v_max_f32_e32 v73, v73, v73
	v_dual_max_f32 v0, v0, v69 :: v_dual_max_f32 v3, v3, v70
	s_waitcnt lgkmcnt(2)
	v_max_f32_e32 v75, v75, v75
	v_dual_max_f32 v2, v2, v71 :: v_dual_max_f32 v5, v5, v72
	ds_bpermute_b32 v69, v76, v0
	v_max_f32_e32 v4, v4, v73
	v_max_f32_e32 v6, v6, v75
	ds_bpermute_b32 v70, v76, v3
	ds_bpermute_b32 v71, v76, v2
	;; [unrolled: 1-line block ×4, first 2 shown]
	s_waitcnt lgkmcnt(6)
	v_max_f32_e32 v67, v67, v67
	s_waitcnt lgkmcnt(4)
	v_max_f32_e32 v69, v69, v69
	ds_bpermute_b32 v75, v76, v6
	v_cndmask_b32_e64 v76, v16, v18, s4
	s_waitcnt lgkmcnt(3)
	v_dual_max_f32 v70, v70, v70 :: v_dual_max_f32 v71, v71, v71
	s_waitcnt lgkmcnt(1)
	v_dual_max_f32 v72, v72, v72 :: v_dual_max_f32 v73, v73, v73
	v_lshlrev_b32_e32 v76, 2, v76
	v_dual_max_f32 v74, v74, v74 :: v_dual_max_f32 v1, v1, v67
	v_dual_max_f32 v0, v0, v69 :: v_dual_max_f32 v3, v3, v70
	s_delay_alu instid0(VALU_DEP_4)
	v_dual_max_f32 v2, v2, v71 :: v_dual_max_f32 v5, v5, v72
	v_max_f32_e32 v4, v4, v73
	ds_bpermute_b32 v67, v76, v1
	ds_bpermute_b32 v69, v76, v0
	;; [unrolled: 1-line block ×6, first 2 shown]
	s_waitcnt lgkmcnt(6)
	v_max_f32_e32 v75, v75, v75
	s_delay_alu instid0(VALU_DEP_1)
	v_dual_max_f32 v7, v7, v74 :: v_dual_max_f32 v6, v6, v75
	ds_bpermute_b32 v74, v76, v7
	ds_bpermute_b32 v75, v76, v6
	s_waitcnt lgkmcnt(7)
	v_max_f32_e32 v67, v67, v67
	s_waitcnt lgkmcnt(5)
	v_dual_max_f32 v69, v69, v69 :: v_dual_max_f32 v70, v70, v70
	s_waitcnt lgkmcnt(3)
	v_dual_max_f32 v71, v71, v71 :: v_dual_max_f32 v72, v72, v72
	s_delay_alu instid0(VALU_DEP_2) | instskip(SKIP_2) | instid1(VALU_DEP_3)
	v_max_f32_e32 v0, v0, v69
	s_waitcnt lgkmcnt(1)
	v_dual_max_f32 v74, v74, v74 :: v_dual_max_f32 v73, v73, v73
	v_max_f32_e32 v2, v2, v71
	v_max_f32_e32 v1, v1, v67
	s_waitcnt lgkmcnt(0)
	v_max_f32_e32 v75, v75, v75
	v_max_f32_e32 v3, v3, v70
	v_dual_max_f32 v5, v5, v72 :: v_dual_sub_f32 v76, v63, v2
	v_max_f32_e32 v4, v4, v73
	s_delay_alu instid0(VALU_DEP_4) | instskip(NEXT) | instid1(VALU_DEP_4)
	v_dual_max_f32 v6, v6, v75 :: v_dual_max_f32 v7, v7, v74
	v_dual_sub_f32 v74, v60, v3 :: v_dual_sub_f32 v75, v58, v0
	s_delay_alu instid0(VALU_DEP_4)
	v_dual_sub_f32 v67, v78, v0 :: v_dual_sub_f32 v78, v80, v5
	v_sub_f32_e32 v69, v77, v1
	v_dual_sub_f32 v71, v68, v2 :: v_dual_sub_f32 v60, v61, v5
	v_sub_f32_e32 v68, v79, v3
	v_sub_f32_e32 v77, v59, v1
	v_dual_sub_f32 v63, v64, v4 :: v_dual_sub_f32 v58, v65, v6
	v_sub_f32_e32 v61, v66, v6
	s_delay_alu instid0(VALU_DEP_4) | instskip(SKIP_3) | instid1(VALU_DEP_4)
	v_dual_sub_f32 v65, v82, v7 :: v_dual_mul_f32 v70, 0x3fb8aa3b, v68
	v_sub_f32_e32 v59, v62, v7
	v_mul_f32_e32 v66, 0x3fb8aa3b, v67
	v_mul_f32_e32 v62, 0x3fb8aa3b, v69
	;; [unrolled: 1-line block ×3, first 2 shown]
	v_sub_f32_e32 v64, v81, v4
	v_dual_mul_f32 v72, 0x3fb8aa3b, v71 :: v_dual_mul_f32 v73, 0x3fb8aa3b, v78
	s_delay_alu instid0(VALU_DEP_4) | instskip(SKIP_1) | instid1(VALU_DEP_4)
	v_fma_f32 v82, 0x3fb8aa3b, v69, -v62
	v_rndne_f32_e32 v83, v62
	v_mul_f32_e32 v79, 0x3fb8aa3b, v64
	v_fma_f32 v84, 0x3fb8aa3b, v67, -v66
	v_rndne_f32_e32 v85, v66
	v_fma_f32 v90, 0x3fb8aa3b, v78, -v73
	v_sub_f32_e32 v62, v62, v83
	v_rndne_f32_e32 v91, v73
	v_fmac_f32_e32 v82, 0x32a5705f, v69
	v_fma_f32 v86, 0x3fb8aa3b, v68, -v70
	v_rndne_f32_e32 v87, v70
	v_mul_f32_e32 v81, 0x3fb8aa3b, v61
	v_rndne_f32_e32 v93, v79
	v_fmac_f32_e32 v84, 0x32a5705f, v67
	v_dual_fmac_f32 v90, 0x32a5705f, v78 :: v_dual_sub_f32 v73, v73, v91
	v_sub_f32_e32 v66, v66, v85
	v_add_f32_e32 v62, v62, v82
	v_fma_f32 v88, 0x3fb8aa3b, v71, -v72
	v_rndne_f32_e32 v89, v72
	v_add_f32_e32 v73, v73, v90
	v_fma_f32 v92, 0x3fb8aa3b, v64, -v79
	v_fma_f32 v94, 0x3fb8aa3b, v65, -v80
	v_rndne_f32_e32 v95, v80
	v_sub_f32_e32 v70, v70, v87
	v_fma_f32 v96, 0x3fb8aa3b, v61, -v81
	v_rndne_f32_e32 v97, v81
	v_dual_fmac_f32 v86, 0x32a5705f, v68 :: v_dual_sub_f32 v79, v79, v93
	v_add_f32_e32 v66, v66, v84
	v_exp_f32_e32 v62, v62
	s_delay_alu instid0(VALU_DEP_3)
	v_sub_f32_e32 v81, v81, v97
	v_cvt_i32_f32_e32 v83, v83
	v_fmac_f32_e32 v92, 0x32a5705f, v64
	v_fmac_f32_e32 v88, 0x32a5705f, v71
	;; [unrolled: 1-line block ×3, first 2 shown]
	v_sub_f32_e32 v80, v80, v95
	s_delay_alu instid0(VALU_DEP_4) | instskip(SKIP_3) | instid1(VALU_DEP_3)
	v_dual_fmac_f32 v96, 0x32a5705f, v61 :: v_dual_add_f32 v79, v79, v92
	v_sub_f32_e32 v72, v72, v89
	v_add_f32_e32 v70, v70, v86
	v_exp_f32_e32 v66, v66
	v_add_f32_e32 v81, v81, v96
	v_cvt_i32_f32_e32 v85, v85
	v_add_f32_e32 v72, v72, v88
	v_add_f32_e32 v80, v80, v94
	v_exp_f32_e32 v70, v70
	v_ldexp_f32 v62, v62, v83
	v_cmp_ngt_f32_e64 s20, 0xc2ce8ed0, v69
	v_cvt_i32_f32_e32 v87, v87
	v_exp_f32_e32 v72, v72
	v_exp_f32_e32 v80, v80
	v_ldexp_f32 v66, v66, v85
	v_cndmask_b32_e64 v62, 0, v62, s20
	v_cmp_ngt_f32_e64 s20, 0xc2ce8ed0, v67
	v_cvt_i32_f32_e32 v89, v89
	v_exp_f32_e32 v73, v73
	v_cvt_i32_f32_e32 v82, v95
	v_ldexp_f32 v70, v70, v87
	v_cndmask_b32_e64 v66, 0, v66, s20
	v_cmp_ngt_f32_e64 s20, 0xc2ce8ed0, v68
	v_cvt_i32_f32_e32 v91, v91
	v_exp_f32_e32 v79, v79
	v_ldexp_f32 v72, v72, v89
	v_ldexp_f32 v80, v80, v82
	v_cndmask_b32_e64 v82, 0, v70, s20
	v_cmp_ngt_f32_e64 s20, 0xc2ce8ed0, v71
	v_cvt_i32_f32_e32 v93, v93
	v_ldexp_f32 v73, v73, v91
	v_exp_f32_e32 v81, v81
	v_cvt_i32_f32_e32 v84, v97
	v_cndmask_b32_e64 v72, 0, v72, s20
	v_cmp_ngt_f32_e64 s20, 0xc2ce8ed0, v78
	v_ldexp_f32 v79, v79, v93
	v_cmp_ngt_f32_e64 s16, 0xc2ce8ed0, v75
	v_cmp_nlt_f32_e64 s13, 0x42b17218, v75
	v_cmp_ngt_f32_e64 s18, 0xc2ce8ed0, v77
	v_cndmask_b32_e64 v83, 0, v73, s20
	v_cmp_ngt_f32_e64 s20, 0xc2ce8ed0, v64
	v_ldexp_f32 v81, v81, v84
	v_cmp_nlt_f32_e64 s15, 0x42b17218, v77
	v_cmp_ngt_f32_e64 s19, 0xc2ce8ed0, v76
	v_cmp_nlt_f32_e64 s17, 0x42b17218, v76
	v_cndmask_b32_e64 v79, 0, v79, s20
	v_cmp_ngt_f32_e64 s20, 0xc2ce8ed0, v65
	v_cmp_ngt_f32_e64 s7, 0xc2ce8ed0, v74
	v_cmp_nlt_f32_e64 s4, 0x42b17218, v74
	v_cmp_ngt_f32_e64 s10, 0xc2ce8ed0, v63
	v_cmp_nlt_f32_e64 s6, 0x42b17218, v63
	v_cndmask_b32_e64 v80, 0, v80, s20
	v_cmp_ngt_f32_e64 s20, 0xc2ce8ed0, v61
	v_cmp_ngt_f32_e64 s12, 0xc2ce8ed0, v60
	v_cmp_nlt_f32_e64 s8, 0x42b17218, v60
	v_cmp_ngt_f32_e64 s9, 0xc2ce8ed0, v58
	v_cmp_nlt_f32_e64 s5, 0x42b17218, v58
	v_cndmask_b32_e64 v81, 0, v81, s20
	v_cmp_nlt_f32_e64 s20, 0x42b17218, v69
	v_cmp_ngt_f32_e64 s11, 0xc2ce8ed0, v59
	s_delay_alu instid0(VALU_DEP_2) | instskip(SKIP_1) | instid1(VALU_DEP_1)
	v_cndmask_b32_e64 v70, 0x7f800000, v62, s20
	v_cmp_nlt_f32_e64 s20, 0x42b17218, v67
	v_cndmask_b32_e64 v73, 0x7f800000, v66, s20
	v_cmp_nlt_f32_e64 s20, 0x42b17218, v68
	s_delay_alu instid0(VALU_DEP_1) | instskip(SKIP_1) | instid1(VALU_DEP_2)
	v_cndmask_b32_e64 v68, 0x7f800000, v82, s20
	v_cmp_nlt_f32_e64 s20, 0x42b17218, v71
	v_cvt_f16_f32_e32 v62, v68
	s_delay_alu instid0(VALU_DEP_2) | instskip(SKIP_1) | instid1(VALU_DEP_2)
	v_cndmask_b32_e64 v72, 0x7f800000, v72, s20
	v_cmp_nlt_f32_e64 s20, 0x42b17218, v78
	v_cvt_f16_f32_e32 v82, v72
	s_delay_alu instid0(VALU_DEP_2) | instskip(SKIP_2) | instid1(VALU_DEP_3)
	v_cndmask_b32_e64 v67, 0x7f800000, v83, s20
	v_cmp_nlt_f32_e64 s20, 0x42b17218, v64
	v_cvt_f16_f32_e32 v83, v73
	v_cvt_f16_f32_e32 v64, v67
	s_delay_alu instid0(VALU_DEP_3) | instskip(SKIP_1) | instid1(VALU_DEP_2)
	v_cndmask_b32_e64 v71, 0x7f800000, v79, s20
	v_cmp_nlt_f32_e64 s20, 0x42b17218, v65
	v_cvt_f16_f32_e32 v79, v71
	s_delay_alu instid0(VALU_DEP_2) | instskip(SKIP_2) | instid1(VALU_DEP_4)
	v_cndmask_b32_e64 v66, 0x7f800000, v80, s20
	v_cmp_nlt_f32_e64 s20, 0x42b17218, v61
	v_cvt_f16_f32_e32 v61, v70
	v_pack_b32_f16 v80, v79, v64
	s_delay_alu instid0(VALU_DEP_4) | instskip(NEXT) | instid1(VALU_DEP_4)
	v_cvt_f16_f32_e32 v65, v66
	v_cndmask_b32_e64 v69, 0x7f800000, v81, s20
	v_cmp_nlt_f32_e64 s20, 0x42b17218, v59
	v_pack_b32_f16 v79, v82, v62
	s_delay_alu instid0(VALU_DEP_3) | instskip(NEXT) | instid1(VALU_DEP_1)
	v_cvt_f16_f32_e32 v78, v69
	v_pack_b32_f16 v81, v78, v65
	v_pack_b32_f16 v78, v83, v61
	ds_store_b128 v48, v[78:81]
	s_and_saveexec_b32 s48, vcc_lo
	s_cbranch_execz .LBB17_25
; %bb.24:                               ;   in Loop: Header=BB17_19 Depth=1
	v_add_co_u32 v61, s21, s26, v12
	s_delay_alu instid0(VALU_DEP_1)
	v_add_co_ci_u32_e64 v62, s21, s27, v13, s21
	global_load_b128 v[78:81], v[61:62], off offset:64
	s_waitcnt vmcnt(0)
	ds_store_b128 v45, v[78:81]
.LBB17_25:                              ;   in Loop: Header=BB17_19 Depth=1
	s_or_b32 exec_lo, exec_lo, s48
	s_and_saveexec_b32 s48, s3
	s_cbranch_execz .LBB17_27
; %bb.26:                               ;   in Loop: Header=BB17_19 Depth=1
	v_add_co_u32 v61, s21, s26, v14
	s_delay_alu instid0(VALU_DEP_1) | instskip(NEXT) | instid1(VALU_DEP_2)
	v_add_co_ci_u32_e64 v62, s21, s27, v15, s21
	v_add_co_u32 v61, s21, v61, v49
	s_delay_alu instid0(VALU_DEP_1)
	v_add_co_ci_u32_e64 v62, s21, 0, v62, s21
	global_load_b128 v[78:81], v[61:62], off
	s_waitcnt vmcnt(0)
	ds_store_b128 v46, v[78:81]
.LBB17_27:                              ;   in Loop: Header=BB17_19 Depth=1
	s_or_b32 exec_lo, exec_lo, s48
	v_dual_mul_f32 v61, 0x3fb8aa3b, v75 :: v_dual_mul_f32 v62, 0x3fb8aa3b, v77
	s_waitcnt lgkmcnt(0)
	s_barrier
	buffer_gl0_inv
	v_fma_f32 v65, 0x3fb8aa3b, v75, -v61
	v_rndne_f32_e32 v78, v61
	v_mul_f32_e32 v64, 0x3fb8aa3b, v76
	v_fma_f32 v79, 0x3fb8aa3b, v77, -v62
	v_rndne_f32_e32 v80, v62
	v_fmac_f32_e32 v65, 0x32a5705f, v75
	v_sub_f32_e32 v61, v61, v78
	v_fma_f32 v81, 0x3fb8aa3b, v76, -v64
	v_rndne_f32_e32 v82, v64
	v_dual_sub_f32 v62, v62, v80 :: v_dual_fmac_f32 v79, 0x32a5705f, v77
	s_delay_alu instid0(VALU_DEP_4) | instskip(SKIP_1) | instid1(VALU_DEP_4)
	v_add_f32_e32 v61, v61, v65
	v_cvt_i32_f32_e32 v77, v80
	v_dual_sub_f32 v64, v64, v82 :: v_dual_fmac_f32 v81, 0x32a5705f, v76
	s_delay_alu instid0(VALU_DEP_4) | instskip(SKIP_2) | instid1(VALU_DEP_4)
	v_dual_add_f32 v62, v62, v79 :: v_dual_mul_f32 v65, 0x3fb8aa3b, v74
	v_cvt_i32_f32_e32 v76, v78
	v_cvt_i32_f32_e32 v78, v82
	v_add_f32_e32 v64, v64, v81
	s_delay_alu instid0(VALU_DEP_4) | instskip(SKIP_2) | instid1(VALU_DEP_3)
	v_exp_f32_e32 v62, v62
	v_fma_f32 v80, 0x3fb8aa3b, v74, -v65
	v_mul_f32_e32 v79, 0x3fb8aa3b, v60
	v_exp_f32_e32 v64, v64
	s_delay_alu instid0(VALU_DEP_2) | instskip(SKIP_2) | instid1(TRANS32_DEP_3)
	v_fmac_f32_e32 v80, 0x32a5705f, v74
	v_mul_f32_e32 v74, 0x3fb8aa3b, v59
	v_exp_f32_e32 v61, v61
	v_ldexp_f32 v62, v62, v77
	s_waitcnt_depctr 0xfff
	v_ldexp_f32 v64, v64, v78
	v_cndmask_b32_e64 v62, 0, v62, s18
	v_ldexp_f32 v61, v61, v76
	s_delay_alu instid0(VALU_DEP_3) | instskip(NEXT) | instid1(VALU_DEP_3)
	v_cndmask_b32_e64 v64, 0, v64, s19
	v_cndmask_b32_e64 v62, 0x7f800000, v62, s15
	v_mul_f32_e32 v75, 0x3fb8aa3b, v63
	v_rndne_f32_e32 v76, v65
	v_cndmask_b32_e64 v61, 0, v61, s16
	v_cndmask_b32_e64 v64, 0x7f800000, v64, s17
	v_fmac_f32_e32 v70, v56, v62
	v_fma_f32 v77, 0x3fb8aa3b, v63, -v75
	v_rndne_f32_e32 v78, v75
	v_cndmask_b32_e64 v61, 0x7f800000, v61, s13
	v_fmac_f32_e32 v72, v57, v64
	v_fma_f32 v57, 0x3fb8aa3b, v60, -v79
	v_fmac_f32_e32 v77, 0x32a5705f, v63
	v_rndne_f32_e32 v63, v79
	v_sub_f32_e32 v65, v65, v76
	s_delay_alu instid0(VALU_DEP_2) | instskip(NEXT) | instid1(VALU_DEP_2)
	v_dual_fmac_f32 v57, 0x32a5705f, v60 :: v_dual_sub_f32 v60, v79, v63
	v_dual_fmac_f32 v73, v55, v61 :: v_dual_add_f32 v56, v65, v80
	v_mul_f32_e32 v65, 0x3fb8aa3b, v58
	v_sub_f32_e32 v55, v75, v78
	s_delay_alu instid0(VALU_DEP_4)
	v_add_f32_e32 v57, v60, v57
	v_cvt_i32_f32_e32 v60, v76
	v_exp_f32_e32 v56, v56
	v_fma_f32 v75, 0x3fb8aa3b, v58, -v65
	v_fma_f32 v79, 0x3fb8aa3b, v59, -v74
	v_rndne_f32_e32 v80, v74
	v_exp_f32_e32 v57, v57
	v_cvt_i32_f32_e32 v63, v63
	v_fmac_f32_e32 v75, 0x32a5705f, v58
	v_fmac_f32_e32 v79, 0x32a5705f, v59
	v_sub_f32_e32 v59, v74, v80
	s_delay_alu instid0(TRANS32_DEP_2) | instskip(NEXT) | instid1(VALU_DEP_2)
	v_ldexp_f32 v56, v56, v60
	v_add_f32_e32 v59, v59, v79
	s_delay_alu instid0(TRANS32_DEP_1) | instskip(NEXT) | instid1(VALU_DEP_3)
	v_ldexp_f32 v57, v57, v63
	v_cndmask_b32_e64 v56, 0, v56, s7
	v_cvt_i32_f32_e32 v63, v80
	s_delay_alu instid0(VALU_DEP_4) | instskip(NEXT) | instid1(VALU_DEP_3)
	v_exp_f32_e32 v59, v59
	v_cndmask_b32_e64 v57, 0, v57, s12
	s_delay_alu instid0(VALU_DEP_3) | instskip(SKIP_2) | instid1(VALU_DEP_3)
	v_cndmask_b32_e64 v56, 0x7f800000, v56, s4
	v_add_f32_e32 v55, v55, v77
	v_rndne_f32_e32 v77, v65
	v_fmac_f32_e32 v68, v52, v56
	s_delay_alu instid0(VALU_DEP_3) | instskip(NEXT) | instid1(VALU_DEP_2)
	v_exp_f32_e32 v55, v55
	v_sub_f32_e32 v58, v65, v77
	v_cvt_i32_f32_e32 v65, v78
	v_cvt_i32_f32_e32 v60, v77
	v_ldexp_f32 v59, v59, v63
	s_delay_alu instid0(VALU_DEP_4)
	v_add_f32_e32 v58, v58, v75
	s_waitcnt_depctr 0xfff
	v_ldexp_f32 v55, v55, v65
	v_exp_f32_e32 v58, v58
	v_cndmask_b32_e64 v65, 0x7f800000, v57, s8
	v_cndmask_b32_e64 v57, 0, v59, s11
	v_cvt_f16_f32_e32 v59, v64
	v_cndmask_b32_e64 v55, 0, v55, s10
	s_delay_alu instid0(VALU_DEP_4) | instskip(NEXT) | instid1(VALU_DEP_4)
	v_fmac_f32_e32 v67, v54, v65
	v_cndmask_b32_e64 v75, 0x7f800000, v57, s20
	v_cvt_f16_f32_e32 v57, v61
	s_delay_alu instid0(VALU_DEP_4) | instskip(NEXT) | instid1(TRANS32_DEP_1)
	v_cndmask_b32_e64 v63, 0x7f800000, v55, s6
	v_ldexp_f32 v58, v58, v60
	v_pk_mul_f16 v64, v59, v37 op_sel_hi:[0,1]
	v_fmac_f32_e32 v66, v51, v75
	v_cvt_f16_f32_e32 v37, v56
	v_fmac_f32_e32 v71, v53, v63
	v_cndmask_b32_e64 v55, 0, v58, s9
	v_cvt_f16_f32_e32 v58, v62
	s_delay_alu instid0(VALU_DEP_2)
	v_cndmask_b32_e64 v74, 0x7f800000, v55, s5
	ds_load_2addr_b32 v[60:61], v47 offset1:20
	ds_load_b128 v[52:55], v44
	v_pk_mul_f16 v51, v58, v38 op_sel_hi:[0,1]
	v_cvt_f16_f32_e32 v38, v63
	v_cvt_f16_f32_e32 v63, v75
	v_fmac_f32_e32 v69, v50, v74
	v_pk_mul_f16 v50, v57, v39 op_sel_hi:[0,1]
	ds_load_b128 v[56:59], v44 offset:16
	v_cvt_f16_f32_e32 v39, v65
	v_cvt_f16_f32_e32 v62, v74
	v_pk_mul_f16 v65, v37, v36 op_sel_hi:[0,1]
	v_pk_mul_f16 v74, v38, v35 op_sel_hi:[0,1]
	;; [unrolled: 1-line block ×5, first 2 shown]
	ds_load_2addr_b32 v[62:63], v47 offset0:40 offset1:60
	ds_load_b128 v[32:35], v44 offset:32
	ds_load_b128 v[36:39], v44 offset:48
	s_waitcnt lgkmcnt(4)
	v_pk_fma_f16 v50, v60, v52, v50 op_sel_hi:[1,0,1]
	v_pk_fma_f16 v51, v60, v52, v51 op_sel:[0,1,0]
	v_pk_fma_f16 v52, v60, v53, v64 op_sel_hi:[1,0,1]
	v_pk_fma_f16 v53, v60, v53, v65 op_sel:[0,1,0]
	;; [unrolled: 2-line block ×4, first 2 shown]
	s_waitcnt lgkmcnt(3)
	v_pk_fma_f16 v60, v61, v56, v50 op_sel_hi:[1,0,1]
	v_pk_fma_f16 v56, v61, v56, v51 op_sel:[0,1,0]
	v_pk_fma_f16 v74, v61, v57, v52 op_sel_hi:[1,0,1]
	v_pk_fma_f16 v57, v61, v57, v53 op_sel:[0,1,0]
	v_pk_fma_f16 v64, v61, v58, v64 op_sel_hi:[1,0,1]
	v_pk_fma_f16 v58, v61, v58, v54 op_sel:[0,1,0]
	v_pk_fma_f16 v65, v61, v59, v65 op_sel_hi:[1,0,1]
	v_pk_fma_f16 v59, v61, v59, v55 op_sel:[0,1,0]
	ds_load_2addr_b32 v[54:55], v47 offset0:80 offset1:100
	ds_load_b128 v[50:53], v44 offset:64
	s_waitcnt lgkmcnt(3)
	v_pk_fma_f16 v60, v62, v32, v60 op_sel_hi:[1,0,1]
	v_pk_fma_f16 v56, v62, v32, v56 op_sel:[0,1,0]
	v_pk_fma_f16 v61, v62, v33, v74 op_sel_hi:[1,0,1]
	v_pk_fma_f16 v57, v62, v33, v57 op_sel:[0,1,0]
	v_pk_fma_f16 v64, v62, v34, v64 op_sel_hi:[1,0,1]
	v_pk_fma_f16 v58, v62, v34, v58 op_sel:[0,1,0]
	v_pk_fma_f16 v65, v62, v35, v65 op_sel_hi:[1,0,1]
	v_pk_fma_f16 v59, v62, v35, v59 op_sel:[0,1,0]
	ds_load_b128 v[32:35], v44 offset:80
	s_waitcnt lgkmcnt(3)
	v_pk_fma_f16 v60, v63, v36, v60 op_sel_hi:[1,0,1]
	v_pk_fma_f16 v56, v63, v36, v56 op_sel:[0,1,0]
	v_pk_fma_f16 v61, v63, v37, v61 op_sel_hi:[1,0,1]
	v_pk_fma_f16 v62, v63, v37, v57 op_sel:[0,1,0]
	v_pk_fma_f16 v64, v63, v38, v64 op_sel_hi:[1,0,1]
	v_pk_fma_f16 v74, v63, v38, v58 op_sel:[0,1,0]
	v_pk_fma_f16 v65, v63, v39, v65 op_sel_hi:[1,0,1]
	v_pk_fma_f16 v59, v63, v39, v59 op_sel:[0,1,0]
	ds_load_2addr_b32 v[57:58], v47 offset0:120 offset1:140
	ds_load_b128 v[36:39], v44 offset:96
	s_waitcnt lgkmcnt(3)
	v_pk_fma_f16 v60, v54, v50, v60 op_sel_hi:[1,0,1]
	v_pk_fma_f16 v56, v54, v50, v56 op_sel:[0,1,0]
	v_pk_fma_f16 v61, v54, v51, v61 op_sel_hi:[1,0,1]
	v_pk_fma_f16 v62, v54, v51, v62 op_sel:[0,1,0]
	v_pk_fma_f16 v63, v54, v52, v64 op_sel_hi:[1,0,1]
	v_pk_fma_f16 v64, v54, v52, v74 op_sel:[0,1,0]
	v_pk_fma_f16 v65, v54, v53, v65 op_sel_hi:[1,0,1]
	v_pk_fma_f16 v54, v54, v53, v59 op_sel:[0,1,0]
	ds_load_b128 v[50:53], v44 offset:112
	;; [unrolled: 21-line block ×3, first 2 shown]
	s_waitcnt lgkmcnt(3)
	v_pk_fma_f16 v75, v58, v50, v55 op_sel_hi:[1,0,1]
	v_pk_fma_f16 v50, v58, v50, v56 op_sel:[0,1,0]
	v_pk_fma_f16 v76, v58, v51, v61 op_sel_hi:[1,0,1]
	v_pk_fma_f16 v51, v58, v51, v62 op_sel:[0,1,0]
	ds_load_2addr_b32 v[61:62], v47 offset0:200 offset1:220
	ds_load_b128 v[54:57], v44 offset:160
	v_pk_fma_f16 v63, v58, v52, v63 op_sel_hi:[1,0,1]
	v_pk_fma_f16 v52, v58, v52, v64 op_sel:[0,1,0]
	v_pk_fma_f16 v64, v58, v53, v65 op_sel_hi:[1,0,1]
	v_pk_fma_f16 v53, v58, v53, v74 op_sel:[0,1,0]
	s_waitcnt lgkmcnt(3)
	v_pk_fma_f16 v58, v59, v32, v75 op_sel_hi:[1,0,1]
	v_pk_fma_f16 v50, v59, v32, v50 op_sel:[0,1,0]
	v_pk_fma_f16 v65, v59, v33, v76 op_sel_hi:[1,0,1]
	v_pk_fma_f16 v51, v59, v33, v51 op_sel:[0,1,0]
	;; [unrolled: 2-line block ×4, first 2 shown]
	ds_load_b128 v[32:35], v44 offset:176
	s_waitcnt lgkmcnt(3)
	v_pk_fma_f16 v58, v60, v36, v58 op_sel_hi:[1,0,1]
	v_pk_fma_f16 v50, v60, v36, v50 op_sel:[0,1,0]
	v_add_nc_u32_e32 v36, 0x200, v47
	v_pk_fma_f16 v65, v60, v37, v65 op_sel_hi:[1,0,1]
	v_pk_fma_f16 v51, v60, v37, v51 op_sel:[0,1,0]
	v_pk_fma_f16 v63, v60, v38, v63 op_sel_hi:[1,0,1]
	v_pk_fma_f16 v52, v60, v38, v52 op_sel:[0,1,0]
	;; [unrolled: 2-line block ×3, first 2 shown]
	s_waitcnt lgkmcnt(1)
	v_pk_fma_f16 v60, v61, v54, v58 op_sel_hi:[1,0,1]
	ds_load_2addr_b32 v[58:59], v36 offset0:112 offset1:132
	ds_load_b128 v[36:39], v44 offset:192
	v_pk_fma_f16 v54, v61, v54, v50 op_sel:[0,1,0]
	v_pk_fma_f16 v65, v61, v55, v65 op_sel_hi:[1,0,1]
	v_pk_fma_f16 v55, v61, v55, v51 op_sel:[0,1,0]
	v_pk_fma_f16 v63, v61, v56, v63 op_sel_hi:[1,0,1]
	;; [unrolled: 2-line block ×3, first 2 shown]
	v_pk_fma_f16 v57, v61, v57, v53 op_sel:[0,1,0]
	ds_load_b128 v[50:53], v44 offset:208
	v_add_nc_u32_e32 v75, 0x400, v47
	s_waitcnt lgkmcnt(3)
	v_pk_fma_f16 v60, v62, v32, v60 op_sel_hi:[1,0,1]
	v_pk_fma_f16 v61, v62, v32, v54 op_sel:[0,1,0]
	v_pk_fma_f16 v65, v62, v33, v65 op_sel_hi:[1,0,1]
	v_pk_fma_f16 v74, v62, v33, v55 op_sel:[0,1,0]
	v_pk_fma_f16 v63, v62, v34, v63 op_sel_hi:[1,0,1]
	v_pk_fma_f16 v56, v62, v34, v56 op_sel:[0,1,0]
	v_pk_fma_f16 v64, v62, v35, v64 op_sel_hi:[1,0,1]
	v_pk_fma_f16 v57, v62, v35, v57 op_sel:[0,1,0]
	ds_load_2addr_b32 v[54:55], v75 offset0:24 offset1:44
	ds_load_b128 v[32:35], v44 offset:224
	s_waitcnt lgkmcnt(3)
	v_pk_fma_f16 v60, v58, v36, v60 op_sel_hi:[1,0,1]
	v_pk_fma_f16 v61, v58, v36, v61 op_sel:[0,1,0]
	v_pk_fma_f16 v62, v58, v37, v65 op_sel_hi:[1,0,1]
	v_pk_fma_f16 v65, v58, v37, v74 op_sel:[0,1,0]
	v_pk_fma_f16 v63, v58, v38, v63 op_sel_hi:[1,0,1]
	v_pk_fma_f16 v56, v58, v38, v56 op_sel:[0,1,0]
	v_pk_fma_f16 v64, v58, v39, v64 op_sel_hi:[1,0,1]
	v_pk_fma_f16 v57, v58, v39, v57 op_sel:[0,1,0]
	ds_load_b128 v[36:39], v44 offset:240
	s_waitcnt lgkmcnt(3)
	v_pk_fma_f16 v58, v59, v50, v60 op_sel_hi:[1,0,1]
	v_pk_fma_f16 v60, v59, v50, v61 op_sel:[0,1,0]
	v_pk_fma_f16 v61, v59, v51, v62 op_sel_hi:[1,0,1]
	v_pk_fma_f16 v62, v59, v51, v65 op_sel:[0,1,0]
	v_pk_fma_f16 v63, v59, v52, v63 op_sel_hi:[1,0,1]
	v_pk_fma_f16 v65, v59, v52, v56 op_sel:[0,1,0]
	v_pk_fma_f16 v64, v59, v53, v64 op_sel_hi:[1,0,1]
	v_pk_fma_f16 v59, v59, v53, v57 op_sel:[0,1,0]
	ds_load_2addr_b32 v[56:57], v75 offset0:64 offset1:84
	ds_load_b128 v[50:53], v44 offset:256
	s_waitcnt lgkmcnt(3)
	v_pk_fma_f16 v58, v54, v32, v58 op_sel_hi:[1,0,1]
	v_pk_fma_f16 v60, v54, v32, v60 op_sel:[0,1,0]
	v_pk_fma_f16 v61, v54, v33, v61 op_sel_hi:[1,0,1]
	v_pk_fma_f16 v62, v54, v33, v62 op_sel:[0,1,0]
	v_pk_fma_f16 v63, v54, v34, v63 op_sel_hi:[1,0,1]
	v_pk_fma_f16 v65, v54, v34, v65 op_sel:[0,1,0]
	v_pk_fma_f16 v64, v54, v35, v64 op_sel_hi:[1,0,1]
	v_pk_fma_f16 v54, v54, v35, v59 op_sel:[0,1,0]
	ds_load_b128 v[32:35], v44 offset:272
	;; [unrolled: 21-line block ×4, first 2 shown]
	s_waitcnt lgkmcnt(3)
	v_pk_fma_f16 v74, v59, v50, v55 op_sel_hi:[1,0,1]
	v_pk_fma_f16 v50, v59, v50, v56 op_sel:[0,1,0]
	v_pk_fma_f16 v76, v59, v51, v57 op_sel_hi:[1,0,1]
	v_pk_fma_f16 v51, v59, v51, v62 op_sel:[0,1,0]
	v_pk_fma_f16 v77, v59, v52, v63 op_sel_hi:[1,0,1]
	ds_load_2addr_b32 v[62:63], v75 offset0:184 offset1:204
	ds_load_b128 v[54:57], v44 offset:352
	v_pk_fma_f16 v52, v59, v52, v65 op_sel:[0,1,0]
	v_pk_fma_f16 v64, v59, v53, v64 op_sel_hi:[1,0,1]
	v_pk_fma_f16 v58, v59, v53, v58 op_sel:[0,1,0]
	s_waitcnt lgkmcnt(3)
	v_pk_fma_f16 v59, v60, v32, v74 op_sel_hi:[1,0,1]
	v_pk_fma_f16 v32, v60, v32, v50 op_sel:[0,1,0]
	v_pk_fma_f16 v65, v60, v33, v76 op_sel_hi:[1,0,1]
	v_pk_fma_f16 v33, v60, v33, v51 op_sel:[0,1,0]
	;; [unrolled: 2-line block ×3, first 2 shown]
	v_pk_fma_f16 v64, v60, v35, v64 op_sel_hi:[1,0,1]
	ds_load_b128 v[50:53], v44 offset:368
	v_pk_fma_f16 v35, v60, v35, v58 op_sel:[0,1,0]
	s_waitcnt lgkmcnt(3)
	v_pk_fma_f16 v58, v61, v36, v59 op_sel_hi:[1,0,1]
	v_pk_fma_f16 v36, v61, v36, v32 op_sel:[0,1,0]
	v_pk_fma_f16 v60, v61, v37, v65 op_sel_hi:[1,0,1]
	v_pk_fma_f16 v37, v61, v37, v33 op_sel:[0,1,0]
	;; [unrolled: 2-line block ×4, first 2 shown]
	s_waitcnt lgkmcnt(1)
	v_pk_fma_f16 v61, v62, v54, v58 op_sel_hi:[1,0,1]
	ds_load_2addr_b32 v[58:59], v75 offset0:224 offset1:244
	ds_load_b128 v[32:35], v44 offset:384
	v_pk_fma_f16 v54, v62, v54, v36 op_sel:[0,1,0]
	v_pk_fma_f16 v60, v62, v55, v60 op_sel_hi:[1,0,1]
	v_pk_fma_f16 v55, v62, v55, v37 op_sel:[0,1,0]
	v_pk_fma_f16 v65, v62, v56, v65 op_sel_hi:[1,0,1]
	;; [unrolled: 2-line block ×3, first 2 shown]
	v_pk_fma_f16 v57, v62, v57, v39 op_sel:[0,1,0]
	ds_load_b128 v[36:39], v44 offset:400
	v_add_nc_u32_e32 v75, 0x800, v47
	s_waitcnt lgkmcnt(3)
	v_pk_fma_f16 v62, v63, v50, v61 op_sel_hi:[1,0,1]
	v_pk_fma_f16 v54, v63, v50, v54 op_sel:[0,1,0]
	v_pk_fma_f16 v74, v63, v51, v60 op_sel_hi:[1,0,1]
	v_pk_fma_f16 v55, v63, v51, v55 op_sel:[0,1,0]
	;; [unrolled: 2-line block ×4, first 2 shown]
	ds_load_2addr_b32 v[60:61], v75 offset0:8 offset1:28
	ds_load_b128 v[50:53], v44 offset:416
	s_waitcnt lgkmcnt(3)
	v_pk_fma_f16 v62, v58, v32, v62 op_sel_hi:[1,0,1]
	v_pk_fma_f16 v54, v58, v32, v54 op_sel:[0,1,0]
	v_pk_fma_f16 v63, v58, v33, v74 op_sel_hi:[1,0,1]
	v_pk_fma_f16 v55, v58, v33, v55 op_sel:[0,1,0]
	;; [unrolled: 2-line block ×4, first 2 shown]
	ds_load_b128 v[32:35], v44 offset:432
	s_waitcnt lgkmcnt(3)
	v_pk_fma_f16 v74, v59, v36, v62 op_sel_hi:[1,0,1]
	v_pk_fma_f16 v36, v59, v36, v54 op_sel:[0,1,0]
	v_pk_fma_f16 v76, v59, v37, v63 op_sel_hi:[1,0,1]
	v_pk_fma_f16 v37, v59, v37, v55 op_sel:[0,1,0]
	;; [unrolled: 2-line block ×3, first 2 shown]
	ds_load_2addr_b32 v[62:63], v75 offset0:48 offset1:68
	ds_load_b128 v[54:57], v44 offset:448
	v_pk_fma_f16 v64, v59, v39, v64 op_sel_hi:[1,0,1]
	v_pk_fma_f16 v58, v59, v39, v58 op_sel:[0,1,0]
	s_waitcnt lgkmcnt(3)
	v_pk_fma_f16 v59, v60, v50, v74 op_sel_hi:[1,0,1]
	v_pk_fma_f16 v50, v60, v50, v36 op_sel:[0,1,0]
	v_pk_fma_f16 v74, v60, v51, v76 op_sel_hi:[1,0,1]
	v_pk_fma_f16 v51, v60, v51, v37 op_sel:[0,1,0]
	;; [unrolled: 2-line block ×4, first 2 shown]
	ds_load_b128 v[36:39], v44 offset:464
	s_waitcnt lgkmcnt(3)
	v_pk_fma_f16 v58, v61, v32, v59 op_sel_hi:[1,0,1]
	v_pk_fma_f16 v32, v61, v32, v50 op_sel:[0,1,0]
	v_pk_fma_f16 v50, v61, v33, v74 op_sel_hi:[1,0,1]
	v_pk_fma_f16 v51, v61, v33, v51 op_sel:[0,1,0]
	;; [unrolled: 2-line block ×4, first 2 shown]
	s_waitcnt lgkmcnt(1)
	v_pk_fma_f16 v61, v62, v54, v58 op_sel_hi:[1,0,1]
	v_pk_fma_f16 v54, v62, v54, v32 op_sel:[0,1,0]
	ds_load_2addr_b32 v[58:59], v75 offset0:88 offset1:108
	ds_load_b128 v[32:35], v44 offset:480
	v_pk_fma_f16 v65, v62, v55, v50 op_sel_hi:[1,0,1]
	v_pk_fma_f16 v55, v62, v55, v51 op_sel:[0,1,0]
	v_pk_fma_f16 v60, v62, v56, v60 op_sel_hi:[1,0,1]
	v_pk_fma_f16 v56, v62, v56, v52 op_sel:[0,1,0]
	;; [unrolled: 2-line block ×3, first 2 shown]
	ds_load_b128 v[50:53], v44 offset:496
	s_waitcnt lgkmcnt(0)
	s_barrier
	buffer_gl0_inv
	s_load_b32 s4, s[22:23], 0x4
	v_pk_fma_f16 v61, v63, v36, v61 op_sel_hi:[1,0,1]
	v_pk_fma_f16 v36, v63, v36, v54 op_sel:[0,1,0]
	v_pk_fma_f16 v54, v63, v37, v65 op_sel_hi:[1,0,1]
	v_pk_fma_f16 v37, v63, v37, v55 op_sel:[0,1,0]
	;; [unrolled: 2-line block ×9, first 2 shown]
	v_pk_fma_f16 v37, v59, v51, v36 op_sel_hi:[1,0,1]
	s_waitcnt lgkmcnt(0)
	s_lshl_b32 s4, s4, 5
	v_pk_fma_f16 v36, v59, v51, v33 op_sel:[0,1,0]
	v_pk_fma_f16 v35, v59, v52, v54 op_sel_hi:[1,0,1]
	v_pk_fma_f16 v34, v59, v52, v34 op_sel:[0,1,0]
	v_pk_fma_f16 v33, v59, v53, v55 op_sel_hi:[1,0,1]
	v_pk_fma_f16 v32, v59, v53, v56 op_sel:[0,1,0]
	s_add_i32 s35, s4, s35
	s_delay_alu instid0(SALU_CYCLE_1)
	s_cmp_ge_i32 s35, s40
	s_cbranch_scc1 .LBB17_29
; %bb.28:                               ;   in Loop: Header=BB17_19 Depth=1
	v_dual_mov_b32 v58, v0 :: v_dual_mov_b32 v59, v1
	v_dual_mov_b32 v63, v2 :: v_dual_mov_b32 v60, v3
	;; [unrolled: 1-line block ×8, first 2 shown]
	s_branch .LBB17_19
.LBB17_29:
	v_mov_b32_e32 v10, v16
.LBB17_30:
	v_cmp_lt_i32_e32 vcc_lo, v22, v17
	s_cmp_lg_u64 s[24:25], 0
	s_cselect_b32 s3, -1, 0
	s_cmp_eq_u32 s14, 0
	v_cndmask_b32_e32 v8, v10, v22, vcc_lo
	v_cmp_lt_i32_e32 vcc_lo, v21, v17
	s_cselect_b32 s4, -1, 0
	s_delay_alu instid0(SALU_CYCLE_1) | instskip(SKIP_2) | instid1(VALU_DEP_2)
	s_and_b32 s3, s4, s3
	v_cndmask_b32_e32 v21, v10, v21, vcc_lo
	v_cmp_lt_i32_e32 vcc_lo, v20, v17
	v_lshlrev_b32_e32 v21, 2, v21
	v_lshlrev_b32_e32 v8, 2, v8
	ds_bpermute_b32 v9, v8, v73
	s_waitcnt lgkmcnt(0)
	v_add_f32_e32 v9, v73, v9
	ds_bpermute_b32 v11, v8, v70
	ds_bpermute_b32 v12, v8, v72
	ds_bpermute_b32 v13, v8, v68
	ds_bpermute_b32 v14, v8, v71
	ds_bpermute_b32 v15, v8, v67
	ds_bpermute_b32 v16, v8, v69
	ds_bpermute_b32 v8, v8, v66
	ds_bpermute_b32 v22, v21, v9
	v_cndmask_b32_e32 v20, v10, v20, vcc_lo
	v_cmp_lt_i32_e32 vcc_lo, v19, v17
	v_cndmask_b32_e32 v19, v10, v19, vcc_lo
	v_cmp_lt_i32_e32 vcc_lo, v18, v17
	s_waitcnt lgkmcnt(6)
	v_dual_add_f32 v11, v70, v11 :: v_dual_add_f32 v12, v72, v12
	s_waitcnt lgkmcnt(4)
	v_dual_add_f32 v13, v68, v13 :: v_dual_add_f32 v14, v71, v14
	;; [unrolled: 2-line block ×3, first 2 shown]
	s_waitcnt lgkmcnt(1)
	v_add_f32_e32 v8, v66, v8
	ds_bpermute_b32 v23, v21, v11
	ds_bpermute_b32 v26, v21, v12
	;; [unrolled: 1-line block ×7, first 2 shown]
	s_waitcnt lgkmcnt(7)
	v_dual_add_f32 v9, v9, v22 :: v_dual_lshlrev_b32 v20, 2, v20
	s_waitcnt lgkmcnt(5)
	v_dual_add_f32 v11, v11, v23 :: v_dual_add_f32 v12, v12, v26
	s_waitcnt lgkmcnt(3)
	v_dual_add_f32 v13, v13, v40 :: v_dual_add_f32 v14, v14, v41
	s_waitcnt lgkmcnt(2)
	v_add_f32_e32 v15, v15, v42
	ds_bpermute_b32 v22, v20, v11
	s_waitcnt lgkmcnt(1)
	v_add_f32_e32 v8, v8, v21
	ds_bpermute_b32 v21, v20, v9
	v_add_f32_e32 v16, v16, v43
	ds_bpermute_b32 v23, v20, v12
	ds_bpermute_b32 v26, v20, v13
	;; [unrolled: 1-line block ×4, first 2 shown]
	v_lshlrev_b32_e32 v19, 2, v19
	s_waitcnt lgkmcnt(5)
	v_add_f32_e32 v11, v11, v22
	s_waitcnt lgkmcnt(4)
	v_add_f32_e32 v9, v9, v21
	ds_bpermute_b32 v42, v20, v16
	s_waitcnt lgkmcnt(4)
	v_add_f32_e32 v12, v12, v23
	ds_bpermute_b32 v20, v20, v8
	s_waitcnt lgkmcnt(3)
	v_dual_add_f32 v13, v13, v26 :: v_dual_add_f32 v14, v14, v40
	s_waitcnt lgkmcnt(2)
	v_add_f32_e32 v15, v15, v41
	ds_bpermute_b32 v21, v19, v11
	ds_bpermute_b32 v22, v19, v12
	;; [unrolled: 1-line block ×3, first 2 shown]
	s_waitcnt lgkmcnt(4)
	v_add_f32_e32 v16, v16, v42
	ds_bpermute_b32 v40, v19, v15
	s_waitcnt lgkmcnt(4)
	v_add_f32_e32 v8, v8, v20
	ds_bpermute_b32 v20, v19, v9
	ds_bpermute_b32 v23, v19, v13
	;; [unrolled: 1-line block ×3, first 2 shown]
	v_cndmask_b32_e32 v10, v10, v18, vcc_lo
	ds_bpermute_b32 v19, v19, v8
	s_waitcnt lgkmcnt(6)
	v_dual_add_f32 v11, v11, v21 :: v_dual_add_f32 v12, v12, v22
	s_waitcnt lgkmcnt(5)
	v_add_f32_e32 v14, v14, v26
	s_and_b32 vcc_lo, exec_lo, s3
	s_waitcnt lgkmcnt(4)
	v_add_f32_e32 v15, v15, v40
	s_waitcnt lgkmcnt(3)
	v_dual_add_f32 v9, v9, v20 :: v_dual_lshlrev_b32 v10, 2, v10
	s_waitcnt lgkmcnt(2)
	v_add_f32_e32 v13, v13, v23
	s_waitcnt lgkmcnt(0)
	v_add_f32_e32 v17, v8, v19
	ds_bpermute_b32 v8, v10, v9
	ds_bpermute_b32 v18, v10, v11
	v_add_f32_e32 v16, v16, v41
	ds_bpermute_b32 v19, v10, v12
	ds_bpermute_b32 v20, v10, v13
	;; [unrolled: 1-line block ×4, first 2 shown]
	s_waitcnt lgkmcnt(4)
	v_dual_add_f32 v8, v9, v8 :: v_dual_add_f32 v9, v11, v18
	ds_bpermute_b32 v23, v10, v16
	ds_bpermute_b32 v26, v10, v17
	s_waitcnt lgkmcnt(4)
	v_dual_add_f32 v10, v12, v19 :: v_dual_add_f32 v11, v13, v20
	s_waitcnt lgkmcnt(2)
	v_dual_add_f32 v12, v14, v21 :: v_dual_add_f32 v13, v15, v22
	;; [unrolled: 2-line block ×3, first 2 shown]
	s_cbranch_vccz .LBB17_32
; %bb.31:
	s_ashr_i32 s35, s34, 31
	v_dual_mov_b32 v16, 0 :: v_dual_max_f32 v17, v1, v1
	s_lshl_b64 s[4:5], s[34:35], 2
	v_dual_max_f32 v18, v2, v2 :: v_dual_max_f32 v21, v5, v5
	s_add_u32 s4, s24, s4
	s_addc_u32 s5, s25, s5
	v_max_f32_e32 v19, v3, v3
	global_load_b128 v[40:43], v16, s[4:5]
	v_max_f32_e32 v16, v0, v0
	v_max_f32_e32 v20, v4, v4
	s_waitcnt vmcnt(0)
	v_dual_max_f32 v22, v6, v6 :: v_dual_max_f32 v23, v40, v40
	v_dual_max_f32 v45, v43, v43 :: v_dual_max_f32 v44, v42, v42
	s_delay_alu instid0(VALU_DEP_1) | instskip(SKIP_1) | instid1(VALU_DEP_2)
	v_dual_max_f32 v19, v19, v45 :: v_dual_max_f32 v18, v18, v44
	v_max_f32_e32 v26, v41, v41
	v_dual_max_f32 v22, v22, v44 :: v_dual_sub_f32 v49, v3, v19
	s_delay_alu instid0(VALU_DEP_3) | instskip(NEXT) | instid1(VALU_DEP_3)
	v_dual_sub_f32 v47, v2, v18 :: v_dual_max_f32 v46, v7, v7
	v_dual_max_f32 v17, v17, v26 :: v_dual_max_f32 v16, v16, v23
	v_dual_max_f32 v21, v21, v26 :: v_dual_max_f32 v20, v20, v23
	s_delay_alu instid0(VALU_DEP_3) | instskip(NEXT) | instid1(VALU_DEP_3)
	v_max_f32_e32 v23, v46, v45
	v_dual_sub_f32 v45, v1, v17 :: v_dual_sub_f32 v44, v40, v16
	v_dual_sub_f32 v53, v6, v22 :: v_dual_sub_f32 v26, v0, v16
	s_delay_alu instid0(VALU_DEP_4)
	v_dual_sub_f32 v46, v41, v17 :: v_dual_sub_f32 v51, v4, v20
	v_sub_f32_e32 v52, v5, v21
	v_sub_f32_e32 v54, v7, v23
	v_mov_b32_e32 v0, v16
	v_sub_f32_e32 v48, v42, v18
	v_dual_sub_f32 v50, v43, v19 :: v_dual_mov_b32 v1, v17
	v_dual_sub_f32 v40, v40, v20 :: v_dual_mov_b32 v3, v19
	;; [unrolled: 1-line block ×4, first 2 shown]
	v_mov_b32_e32 v4, v20
	v_dual_mov_b32 v6, v22 :: v_dual_mul_f32 v55, 0x3fb8aa3b, v51
	v_mov_b32_e32 v7, v23
	v_dual_mul_f32 v17, 0x3fb8aa3b, v44 :: v_dual_mul_f32 v20, 0x3fb8aa3b, v47
	v_mul_f32_e32 v59, 0x3fb8aa3b, v53
	v_dual_sub_f32 v41, v41, v21 :: v_dual_mul_f32 v16, 0x3fb8aa3b, v26
	v_mul_f32_e32 v57, 0x3fb8aa3b, v52
	s_delay_alu instid0(VALU_DEP_4) | instskip(SKIP_3) | instid1(VALU_DEP_4)
	v_rndne_f32_e32 v66, v17
	v_dual_mul_f32 v22, 0x3fb8aa3b, v49 :: v_dual_mul_f32 v19, 0x3fb8aa3b, v46
	v_fma_f32 v65, 0x3fb8aa3b, v44, -v17
	v_fma_f32 v71, 0x3fb8aa3b, v47, -v20
	v_sub_f32_e32 v17, v17, v66
	s_delay_alu instid0(VALU_DEP_4)
	v_fma_f32 v75, 0x3fb8aa3b, v49, -v22
	v_rndne_f32_e32 v76, v22
	v_rndne_f32_e32 v80, v55
	v_mul_f32_e32 v60, 0x3fb8aa3b, v42
	v_dual_mul_f32 v18, 0x3fb8aa3b, v45 :: v_dual_mul_f32 v61, 0x3fb8aa3b, v54
	v_rndne_f32_e32 v70, v19
	v_mul_f32_e32 v56, 0x3fb8aa3b, v40
	v_fma_f32 v79, 0x3fb8aa3b, v51, -v55
	v_rndne_f32_e32 v84, v57
	v_dual_fmac_f32 v71, 0x32a5705f, v47 :: v_dual_sub_f32 v22, v22, v76
	v_sub_f32_e32 v55, v55, v80
	v_rndne_f32_e32 v90, v60
	v_fmac_f32_e32 v75, 0x32a5705f, v49
	v_mul_f32_e32 v23, 0x3fb8aa3b, v50
	v_fma_f32 v63, 0x3fb8aa3b, v26, -v16
	v_rndne_f32_e32 v64, v16
	v_fma_f32 v67, 0x3fb8aa3b, v45, -v18
	v_rndne_f32_e32 v68, v18
	v_fma_f32 v69, 0x3fb8aa3b, v46, -v19
	v_fma_f32 v83, 0x3fb8aa3b, v52, -v57
	;; [unrolled: 1-line block ×3, first 2 shown]
	v_sub_f32_e32 v60, v60, v90
	v_sub_f32_e32 v19, v19, v70
	v_fma_f32 v81, 0x3fb8aa3b, v40, -v56
	v_rndne_f32_e32 v82, v56
	v_dual_sub_f32 v57, v57, v84 :: v_dual_add_f32 v22, v22, v75
	v_fma_f32 v77, 0x3fb8aa3b, v50, -v23
	v_rndne_f32_e32 v88, v59
	v_dual_fmac_f32 v63, 0x32a5705f, v26 :: v_dual_sub_f32 v16, v16, v64
	v_dual_fmac_f32 v65, 0x32a5705f, v44 :: v_dual_sub_f32 v56, v56, v82
	;; [unrolled: 1-line block ×3, first 2 shown]
	v_fmac_f32_e32 v81, 0x32a5705f, v40
	v_exp_f32_e32 v22, v22
	v_fma_f32 v87, 0x3fb8aa3b, v53, -v59
	v_cvt_i32_f32_e32 v76, v76
	v_dual_add_f32 v18, v18, v67 :: v_dual_fmac_f32 v77, 0x32a5705f, v50
	v_dual_add_f32 v16, v16, v63 :: v_dual_sub_f32 v59, v59, v88
	v_dual_add_f32 v56, v56, v81 :: v_dual_mul_f32 v21, 0x3fb8aa3b, v48
	v_rndne_f32_e32 v72, v20
	s_delay_alu instid0(VALU_DEP_3) | instskip(NEXT) | instid1(TRANS32_DEP_2)
	v_exp_f32_e32 v16, v16
	v_ldexp_f32 v22, v22, v76
	v_add_f32_e32 v17, v17, v65
	v_exp_f32_e32 v56, v56
	v_rndne_f32_e32 v74, v21
	v_mul_f32_e32 v58, 0x3fb8aa3b, v41
	v_cvt_i32_f32_e32 v64, v64
	v_dual_fmac_f32 v69, 0x32a5705f, v46 :: v_dual_sub_f32 v20, v20, v72
	v_cvt_i32_f32_e32 v82, v82
	v_exp_f32_e32 v17, v17
	v_fma_f32 v73, 0x3fb8aa3b, v48, -v21
	v_cvt_i32_f32_e32 v66, v66
	v_sub_f32_e32 v21, v21, v74
	v_fma_f32 v85, 0x3fb8aa3b, v41, -v58
	v_rndne_f32_e32 v86, v58
	v_exp_f32_e32 v18, v18
	v_ldexp_f32 v16, v16, v64
	v_ldexp_f32 v56, v56, v82
	v_add_f32_e32 v19, v19, v69
	v_cmp_ngt_f32_e32 vcc_lo, 0xc2ce8ed0, v26
	v_cvt_i32_f32_e32 v68, v68
	v_dual_fmac_f32 v73, 0x32a5705f, v48 :: v_dual_sub_f32 v58, v58, v86
	v_dual_fmac_f32 v83, 0x32a5705f, v52 :: v_dual_add_f32 v20, v20, v71
	v_dual_fmac_f32 v85, 0x32a5705f, v41 :: v_dual_cndmask_b32 v16, 0, v16
	v_exp_f32_e32 v19, v19
	v_ldexp_f32 v17, v17, v66
	v_cmp_ngt_f32_e32 vcc_lo, 0xc2ce8ed0, v44
	v_rndne_f32_e32 v78, v23
	v_mul_f32_e32 v62, 0x3fb8aa3b, v43
	v_cvt_i32_f32_e32 v70, v70
	v_dual_fmac_f32 v89, 0x32a5705f, v42 :: v_dual_add_f32 v58, v58, v85
	v_exp_f32_e32 v20, v20
	v_ldexp_f32 v18, v18, v68
	v_cndmask_b32_e32 v17, 0, v17, vcc_lo
	v_cmp_ngt_f32_e32 vcc_lo, 0xc2ce8ed0, v45
	v_fma_f32 v91, 0x3fb8aa3b, v54, -v61
	v_cvt_i32_f32_e32 v72, v72
	v_sub_f32_e32 v23, v23, v78
	v_fma_f32 v93, 0x3fb8aa3b, v43, -v62
	v_rndne_f32_e32 v94, v62
	v_dual_fmac_f32 v87, 0x32a5705f, v53 :: v_dual_cndmask_b32 v18, 0, v18
	v_exp_f32_e32 v58, v58
	v_ldexp_f32 v19, v19, v70
	v_cmp_ngt_f32_e32 vcc_lo, 0xc2ce8ed0, v46
	v_rndne_f32_e32 v92, v61
	v_dual_fmac_f32 v79, 0x32a5705f, v51 :: v_dual_sub_f32 v62, v62, v94
	v_cvt_i32_f32_e32 v86, v86
	v_dual_fmac_f32 v91, 0x32a5705f, v54 :: v_dual_add_f32 v60, v60, v89
	v_ldexp_f32 v20, v20, v72
	v_cndmask_b32_e32 v19, 0, v19, vcc_lo
	v_cmp_ngt_f32_e32 vcc_lo, 0xc2ce8ed0, v47
	v_fmac_f32_e32 v93, 0x32a5705f, v43
	v_exp_f32_e32 v60, v60
	v_ldexp_f32 v58, v58, v86
	v_dual_add_f32 v21, v21, v73 :: v_dual_cndmask_b32 v20, 0, v20
	s_delay_alu instid0(VALU_DEP_3) | instskip(SKIP_1) | instid1(VALU_DEP_3)
	v_dual_sub_f32 v61, v61, v92 :: v_dual_add_f32 v62, v62, v93
	v_cvt_i32_f32_e32 v90, v90
	v_exp_f32_e32 v21, v21
	v_cvt_i32_f32_e32 v74, v74
	v_cvt_i32_f32_e32 v94, v94
	v_exp_f32_e32 v62, v62
	s_delay_alu instid0(TRANS32_DEP_3)
	v_ldexp_f32 v60, v60, v90
	v_add_f32_e32 v23, v23, v77
	v_cmp_ngt_f32_e32 vcc_lo, 0xc2ce8ed0, v48
	v_cvt_i32_f32_e32 v78, v78
	v_cvt_i32_f32_e32 v80, v80
	v_add_f32_e32 v57, v57, v83
	v_exp_f32_e32 v23, v23
	v_ldexp_f32 v21, v21, v74
	v_cvt_i32_f32_e32 v84, v84
	v_ldexp_f32 v62, v62, v94
	v_add_f32_e32 v55, v55, v79
	v_exp_f32_e32 v57, v57
	v_cndmask_b32_e32 v21, 0, v21, vcc_lo
	v_cmp_ngt_f32_e32 vcc_lo, 0xc2ce8ed0, v49
	v_add_f32_e32 v59, v59, v87
	v_exp_f32_e32 v55, v55
	v_ldexp_f32 v23, v23, v78
	v_cvt_i32_f32_e32 v88, v88
	v_cndmask_b32_e32 v22, 0, v22, vcc_lo
	v_cmp_ngt_f32_e32 vcc_lo, 0xc2ce8ed0, v50
	v_exp_f32_e32 v59, v59
	v_ldexp_f32 v57, v57, v84
	v_add_f32_e32 v61, v61, v91
	v_cvt_i32_f32_e32 v92, v92
	v_cndmask_b32_e32 v23, 0, v23, vcc_lo
	v_ldexp_f32 v55, v55, v80
	v_cmp_ngt_f32_e32 vcc_lo, 0xc2ce8ed0, v51
	v_exp_f32_e32 v61, v61
	s_delay_alu instid0(TRANS32_DEP_2) | instskip(NEXT) | instid1(VALU_DEP_3)
	v_ldexp_f32 v59, v59, v88
	v_cndmask_b32_e32 v55, 0, v55, vcc_lo
	v_cmp_ngt_f32_e32 vcc_lo, 0xc2ce8ed0, v40
	v_cndmask_b32_e32 v56, 0, v56, vcc_lo
	v_cmp_ngt_f32_e32 vcc_lo, 0xc2ce8ed0, v52
	s_waitcnt_depctr 0xfff
	v_ldexp_f32 v61, v61, v92
	v_cndmask_b32_e32 v57, 0, v57, vcc_lo
	v_cmp_ngt_f32_e32 vcc_lo, 0xc2ce8ed0, v41
	v_cndmask_b32_e32 v58, 0, v58, vcc_lo
	v_cmp_ngt_f32_e32 vcc_lo, 0xc2ce8ed0, v53
	;; [unrolled: 2-line block ×5, first 2 shown]
	v_cndmask_b32_e32 v62, 0, v62, vcc_lo
	v_cmp_nlt_f32_e32 vcc_lo, 0x42b17218, v26
	v_cndmask_b32_e32 v26, 0x7f800000, v16, vcc_lo
	v_cmp_nlt_f32_e32 vcc_lo, 0x42b17218, v44
	;; [unrolled: 2-line block ×3, first 2 shown]
	s_delay_alu instid0(VALU_DEP_2)
	v_fmac_f32_e32 v16, v8, v26
	v_cndmask_b32_e32 v44, 0x7f800000, v18, vcc_lo
	v_cmp_nlt_f32_e32 vcc_lo, 0x42b17218, v46
	v_cvt_f16_f32_e32 v8, v26
	v_cndmask_b32_e32 v17, 0x7f800000, v19, vcc_lo
	v_cmp_nlt_f32_e32 vcc_lo, 0x42b17218, v47
	s_delay_alu instid0(VALU_DEP_3) | instskip(NEXT) | instid1(VALU_DEP_3)
	v_pk_mul_f16 v39, v39, v8 op_sel_hi:[1,0]
	v_dual_mov_b32 v8, v16 :: v_dual_fmac_f32 v17, v9, v44
	v_cndmask_b32_e32 v45, 0x7f800000, v20, vcc_lo
	v_cmp_nlt_f32_e32 vcc_lo, 0x42b17218, v48
	v_cvt_f16_f32_e32 v9, v44
	v_cndmask_b32_e32 v18, 0x7f800000, v21, vcc_lo
	v_cmp_nlt_f32_e32 vcc_lo, 0x42b17218, v49
	s_delay_alu instid0(VALU_DEP_3) | instskip(NEXT) | instid1(VALU_DEP_3)
	v_pk_mul_f16 v38, v38, v9 op_sel_hi:[1,0]
	v_dual_mov_b32 v9, v17 :: v_dual_fmac_f32 v18, v10, v45
	v_cndmask_b32_e32 v46, 0x7f800000, v22, vcc_lo
	v_cmp_nlt_f32_e32 vcc_lo, 0x42b17218, v50
	v_cvt_f16_f32_e32 v10, v45
	v_cndmask_b32_e32 v19, 0x7f800000, v23, vcc_lo
	v_cmp_nlt_f32_e32 vcc_lo, 0x42b17218, v51
	s_delay_alu instid0(VALU_DEP_3)
	v_pk_mul_f16 v37, v37, v10 op_sel_hi:[1,0]
	v_dual_mov_b32 v10, v18 :: v_dual_cndmask_b32 v47, 0x7f800000, v55
	v_cmp_nlt_f32_e32 vcc_lo, 0x42b17218, v40
	v_cndmask_b32_e32 v20, 0x7f800000, v56, vcc_lo
	v_cmp_nlt_f32_e32 vcc_lo, 0x42b17218, v52
	v_cndmask_b32_e32 v40, 0x7f800000, v57, vcc_lo
	;; [unrolled: 2-line block ×3, first 2 shown]
	v_cmp_nlt_f32_e32 vcc_lo, 0x42b17218, v53
	s_delay_alu instid0(VALU_DEP_2) | instskip(SKIP_3) | instid1(VALU_DEP_2)
	v_fmac_f32_e32 v21, v13, v40
	v_dual_fmac_f32 v19, v11, v46 :: v_dual_fmac_f32 v20, v12, v47
	v_cvt_f16_f32_e32 v12, v47
	v_cvt_f16_f32_e32 v11, v46
	v_pk_mul_f16 v35, v35, v12 op_sel_hi:[1,0]
	s_delay_alu instid0(VALU_DEP_4) | instskip(SKIP_1) | instid1(VALU_DEP_4)
	v_dual_mov_b32 v12, v20 :: v_dual_cndmask_b32 v41, 0x7f800000, v59
	v_cmp_nlt_f32_e32 vcc_lo, 0x42b17218, v42
	v_pk_mul_f16 v36, v36, v11 op_sel_hi:[1,0]
	v_dual_mov_b32 v11, v19 :: v_dual_cndmask_b32 v22, 0x7f800000, v60
	v_cmp_nlt_f32_e32 vcc_lo, 0x42b17218, v54
	s_delay_alu instid0(VALU_DEP_2) | instskip(SKIP_1) | instid1(VALU_DEP_1)
	v_fmac_f32_e32 v22, v14, v41
	v_cvt_f16_f32_e32 v14, v41
	v_pk_mul_f16 v33, v33, v14 op_sel_hi:[1,0]
	s_delay_alu instid0(VALU_DEP_3) | instskip(SKIP_3) | instid1(VALU_DEP_1)
	v_mov_b32_e32 v14, v22
	v_cndmask_b32_e32 v42, 0x7f800000, v61, vcc_lo
	v_cmp_nlt_f32_e32 vcc_lo, 0x42b17218, v43
	v_cndmask_b32_e32 v23, 0x7f800000, v62, vcc_lo
	v_fmac_f32_e32 v23, v15, v42
	v_cvt_f16_f32_e32 v13, v40
	v_cvt_f16_f32_e32 v15, v42
	s_delay_alu instid0(VALU_DEP_2) | instskip(NEXT) | instid1(VALU_DEP_2)
	v_pk_mul_f16 v34, v34, v13 op_sel_hi:[1,0]
	v_pk_mul_f16 v32, v32, v15 op_sel_hi:[1,0]
	v_mov_b32_e32 v13, v21
	v_mov_b32_e32 v15, v23
	s_branch .LBB17_33
.LBB17_32:
	s_delay_alu instid0(VALU_DEP_1)
	v_dual_mov_b32 v23, v15 :: v_dual_mov_b32 v22, v14
	v_dual_mov_b32 v21, v13 :: v_dual_mov_b32 v20, v12
	;; [unrolled: 1-line block ×4, first 2 shown]
.LBB17_33:
	v_lshlrev_b32_e32 v25, 1, v25
	s_mov_b32 s3, exec_lo
	s_delay_alu instid0(VALU_DEP_1) | instskip(NEXT) | instid1(VALU_DEP_1)
	v_add_nc_u32_e32 v26, s33, v25
	v_cmpx_gt_i32_e64 s38, v26
	s_cbranch_execz .LBB17_86
; %bb.34:
	s_load_b32 s1, s[0:1], 0xd4
	v_mov_b32_e32 v41, 1.0
	s_waitcnt lgkmcnt(0)
	s_cmp_lg_u32 s1, 1
	s_cselect_b32 s4, -1, 0
	s_cmp_eq_u32 s1, 1
	s_cselect_b32 s0, -1, 0
	s_and_b32 vcc_lo, exec_lo, s4
	s_cbranch_vccnz .LBB17_36
; %bb.35:
	v_div_scale_f32 v26, null, v8, v8, 1.0
	s_delay_alu instid0(VALU_DEP_1) | instskip(SKIP_2) | instid1(VALU_DEP_1)
	v_rcp_f32_e32 v40, v26
	s_waitcnt_depctr 0xfff
	v_fma_f32 v41, -v26, v40, 1.0
	v_fmac_f32_e32 v40, v41, v40
	v_div_scale_f32 v41, vcc_lo, 1.0, v8, 1.0
	s_delay_alu instid0(VALU_DEP_1) | instskip(NEXT) | instid1(VALU_DEP_1)
	v_mul_f32_e32 v42, v41, v40
	v_fma_f32 v43, -v26, v42, v41
	s_delay_alu instid0(VALU_DEP_1) | instskip(NEXT) | instid1(VALU_DEP_1)
	v_fmac_f32_e32 v42, v43, v40
	v_fma_f32 v26, -v26, v42, v41
	s_delay_alu instid0(VALU_DEP_1) | instskip(NEXT) | instid1(VALU_DEP_1)
	v_div_fmas_f32 v26, v26, v40, v42
	v_div_fixup_f32 v41, v26, v8, 1.0
.LBB17_36:
	s_mul_i32 s3, s44, s38
	s_delay_alu instid0(SALU_CYCLE_1) | instskip(NEXT) | instid1(SALU_CYCLE_1)
	s_add_i32 s3, s3, s33
	v_add_nc_u32_e32 v8, s3, v25
	s_delay_alu instid0(VALU_DEP_1) | instskip(NEXT) | instid1(VALU_DEP_1)
	v_mul_lo_u32 v40, v8, s39
	v_add_nc_u32_e32 v8, s34, v40
	s_delay_alu instid0(VALU_DEP_1)
	v_mad_u64_u32 v[25:26], null, s1, v8, s[14:15]
	s_and_saveexec_b32 s5, s2
	s_cbranch_execz .LBB17_38
; %bb.37:
	s_delay_alu instid0(VALU_DEP_1) | instskip(SKIP_3) | instid1(VALU_DEP_3)
	v_mad_u64_u32 v[42:43], null, v25, 40, v[24:25]
	v_cvt_f32_f16_e32 v26, v39
	v_mov_b32_e32 v43, 0
	v_lshrrev_b32_e32 v8, 16, v39
	v_mul_f32_e32 v44, v41, v26
	s_delay_alu instid0(VALU_DEP_3) | instskip(NEXT) | instid1(VALU_DEP_3)
	v_lshlrev_b64 v[42:43], 2, v[42:43]
	v_cvt_f32_f16_e32 v8, v8
	s_delay_alu instid0(VALU_DEP_1) | instskip(NEXT) | instid1(VALU_DEP_3)
	v_mul_f32_e32 v45, v41, v8
	v_add_co_u32 v41, vcc_lo, s28, v42
	s_delay_alu instid0(VALU_DEP_4)
	v_add_co_ci_u32_e32 v42, vcc_lo, s29, v43, vcc_lo
	global_store_b64 v[41:42], v[44:45], off
.LBB17_38:
	s_or_b32 exec_lo, exec_lo, s5
	v_cmp_eq_u32_e32 vcc_lo, 0, v31
	s_and_b32 s5, vcc_lo, s4
	s_delay_alu instid0(SALU_CYCLE_1)
	s_and_saveexec_b32 s4, s5
	s_cbranch_execz .LBB17_40
; %bb.39:
	v_ashrrev_i32_e32 v26, 31, v25
	v_mov_b32_e32 v41, v0
	v_mov_b32_e32 v42, v16
	s_delay_alu instid0(VALU_DEP_3) | instskip(NEXT) | instid1(VALU_DEP_1)
	v_lshlrev_b64 v[25:26], 3, v[25:26]
	v_add_co_u32 v25, vcc_lo, s30, v25
	s_delay_alu instid0(VALU_DEP_2)
	v_add_co_ci_u32_e32 v26, vcc_lo, s31, v26, vcc_lo
	global_store_b64 v[25:26], v[41:42], off
.LBB17_40:
	s_or_b32 exec_lo, exec_lo, s4
	v_cndmask_b32_e64 v25, 0, 1, s0
	v_mov_b32_e32 v0, 1.0
	s_and_not1_b32 vcc_lo, exec_lo, s0
	s_cbranch_vccnz .LBB17_42
; %bb.41:
	v_div_scale_f32 v0, null, v9, v9, 1.0
	s_delay_alu instid0(VALU_DEP_1) | instskip(SKIP_2) | instid1(VALU_DEP_1)
	v_rcp_f32_e32 v8, v0
	s_waitcnt_depctr 0xfff
	v_fma_f32 v16, -v0, v8, 1.0
	v_fmac_f32_e32 v8, v16, v8
	v_div_scale_f32 v16, vcc_lo, 1.0, v9, 1.0
	s_delay_alu instid0(VALU_DEP_1) | instskip(NEXT) | instid1(VALU_DEP_1)
	v_mul_f32_e32 v26, v16, v8
	v_fma_f32 v31, -v0, v26, v16
	s_delay_alu instid0(VALU_DEP_1) | instskip(NEXT) | instid1(VALU_DEP_1)
	v_fmac_f32_e32 v26, v31, v8
	v_fma_f32 v0, -v0, v26, v16
	s_delay_alu instid0(VALU_DEP_1) | instskip(NEXT) | instid1(VALU_DEP_1)
	v_div_fmas_f32 v0, v0, v8, v26
	v_div_fixup_f32 v0, v0, v9, 1.0
.LBB17_42:
	s_add_i32 s6, s34, 1
	s_delay_alu instid0(SALU_CYCLE_1) | instskip(NEXT) | instid1(VALU_DEP_1)
	v_add_nc_u32_e32 v16, s6, v40
	v_mad_u64_u32 v[8:9], null, s1, v16, s[14:15]
	s_and_saveexec_b32 s0, s2
	s_cbranch_execz .LBB17_44
; %bb.43:
	s_delay_alu instid0(VALU_DEP_1) | instskip(SKIP_3) | instid1(VALU_DEP_2)
	v_mad_u64_u32 v[41:42], null, v8, 40, v[24:25]
	v_cvt_f32_f16_e32 v16, v38
	v_mov_b32_e32 v42, 0
	v_lshrrev_b32_e32 v9, 16, v38
	v_lshlrev_b64 v[38:39], 2, v[41:42]
	s_delay_alu instid0(VALU_DEP_4) | instskip(NEXT) | instid1(VALU_DEP_3)
	v_mul_f32_e32 v41, v0, v16
	v_cvt_f32_f16_e32 v9, v9
	s_delay_alu instid0(VALU_DEP_3) | instskip(NEXT) | instid1(VALU_DEP_2)
	v_add_co_u32 v38, vcc_lo, s28, v38
	v_mul_f32_e32 v42, v0, v9
	v_add_co_ci_u32_e32 v39, vcc_lo, s29, v39, vcc_lo
	global_store_b64 v[38:39], v[41:42], off
.LBB17_44:
	s_or_b32 exec_lo, exec_lo, s0
	s_and_saveexec_b32 s0, s5
	s_cbranch_execz .LBB17_46
; %bb.45:
	s_delay_alu instid0(VALU_DEP_1) | instskip(SKIP_1) | instid1(VALU_DEP_2)
	v_ashrrev_i32_e32 v9, 31, v8
	v_mov_b32_e32 v16, v1
	v_lshlrev_b64 v[8:9], 3, v[8:9]
	s_delay_alu instid0(VALU_DEP_1) | instskip(NEXT) | instid1(VALU_DEP_2)
	v_add_co_u32 v8, vcc_lo, s30, v8
	v_add_co_ci_u32_e32 v9, vcc_lo, s31, v9, vcc_lo
	global_store_b64 v[8:9], v[16:17], off
.LBB17_46:
	s_or_b32 exec_lo, exec_lo, s0
	v_cmp_ne_u32_e32 vcc_lo, 1, v25
	v_mov_b32_e32 v8, 1.0
	s_cbranch_vccnz .LBB17_48
; %bb.47:
	v_div_scale_f32 v0, null, v10, v10, 1.0
	s_delay_alu instid0(VALU_DEP_1) | instskip(SKIP_2) | instid1(VALU_DEP_1)
	v_rcp_f32_e32 v1, v0
	s_waitcnt_depctr 0xfff
	v_fma_f32 v8, -v0, v1, 1.0
	v_fmac_f32_e32 v1, v8, v1
	v_div_scale_f32 v8, vcc_lo, 1.0, v10, 1.0
	s_delay_alu instid0(VALU_DEP_1) | instskip(NEXT) | instid1(VALU_DEP_1)
	v_mul_f32_e32 v9, v8, v1
	v_fma_f32 v16, -v0, v9, v8
	s_delay_alu instid0(VALU_DEP_1) | instskip(NEXT) | instid1(VALU_DEP_1)
	v_fmac_f32_e32 v9, v16, v1
	v_fma_f32 v0, -v0, v9, v8
	s_delay_alu instid0(VALU_DEP_1) | instskip(NEXT) | instid1(VALU_DEP_1)
	v_div_fmas_f32 v0, v0, v1, v9
	v_div_fixup_f32 v8, v0, v10, 1.0
.LBB17_48:
	s_add_i32 s4, s34, 2
	s_delay_alu instid0(SALU_CYCLE_1) | instskip(NEXT) | instid1(VALU_DEP_1)
	v_add_nc_u32_e32 v9, s4, v40
	v_mad_u64_u32 v[0:1], null, s1, v9, s[14:15]
	s_and_saveexec_b32 s0, s2
	s_cbranch_execz .LBB17_50
; %bb.49:
	v_lshrrev_b32_e32 v1, 16, v37
	s_delay_alu instid0(VALU_DEP_2) | instskip(SKIP_1) | instid1(VALU_DEP_3)
	v_mad_u64_u32 v[9:10], null, v0, 40, v[24:25]
	v_cvt_f32_f16_e32 v16, v37
	v_cvt_f32_f16_e32 v1, v1
	v_mov_b32_e32 v10, 0
	s_delay_alu instid0(VALU_DEP_3) | instskip(NEXT) | instid1(VALU_DEP_3)
	v_mul_f32_e32 v16, v8, v16
	v_mul_f32_e32 v17, v8, v1
	s_delay_alu instid0(VALU_DEP_3) | instskip(NEXT) | instid1(VALU_DEP_1)
	v_lshlrev_b64 v[9:10], 2, v[9:10]
	v_add_co_u32 v8, vcc_lo, s28, v9
	s_delay_alu instid0(VALU_DEP_2)
	v_add_co_ci_u32_e32 v9, vcc_lo, s29, v10, vcc_lo
	global_store_b64 v[8:9], v[16:17], off
.LBB17_50:
	s_or_b32 exec_lo, exec_lo, s0
	s_and_saveexec_b32 s0, s5
	s_cbranch_execz .LBB17_52
; %bb.51:
	s_delay_alu instid0(VALU_DEP_1) | instskip(SKIP_1) | instid1(VALU_DEP_2)
	v_ashrrev_i32_e32 v1, 31, v0
	v_mov_b32_e32 v17, v2
	v_lshlrev_b64 v[0:1], 3, v[0:1]
	s_delay_alu instid0(VALU_DEP_1) | instskip(NEXT) | instid1(VALU_DEP_2)
	v_add_co_u32 v0, vcc_lo, s30, v0
	v_add_co_ci_u32_e32 v1, vcc_lo, s31, v1, vcc_lo
	global_store_b64 v[0:1], v[17:18], off
.LBB17_52:
	s_or_b32 exec_lo, exec_lo, s0
	v_cmp_ne_u32_e32 vcc_lo, 1, v25
	v_mov_b32_e32 v2, 1.0
	s_cbranch_vccnz .LBB17_54
; %bb.53:
	v_div_scale_f32 v0, null, v11, v11, 1.0
	s_delay_alu instid0(VALU_DEP_1) | instskip(SKIP_2) | instid1(VALU_DEP_1)
	v_rcp_f32_e32 v1, v0
	s_waitcnt_depctr 0xfff
	v_fma_f32 v2, -v0, v1, 1.0
	v_fmac_f32_e32 v1, v2, v1
	v_div_scale_f32 v2, vcc_lo, 1.0, v11, 1.0
	s_delay_alu instid0(VALU_DEP_1) | instskip(NEXT) | instid1(VALU_DEP_1)
	v_mul_f32_e32 v8, v2, v1
	v_fma_f32 v9, -v0, v8, v2
	s_delay_alu instid0(VALU_DEP_1) | instskip(NEXT) | instid1(VALU_DEP_1)
	v_fmac_f32_e32 v8, v9, v1
	v_fma_f32 v0, -v0, v8, v2
	s_delay_alu instid0(VALU_DEP_1) | instskip(NEXT) | instid1(VALU_DEP_1)
	v_div_fmas_f32 v0, v0, v1, v8
	v_div_fixup_f32 v2, v0, v11, 1.0
.LBB17_54:
	s_add_i32 s0, s34, 3
	s_delay_alu instid0(SALU_CYCLE_1) | instskip(NEXT) | instid1(VALU_DEP_1)
	v_add_nc_u32_e32 v8, s0, v40
	v_mad_u64_u32 v[0:1], null, s1, v8, s[14:15]
	s_and_saveexec_b32 s7, s2
	s_cbranch_execz .LBB17_56
; %bb.55:
	v_lshrrev_b32_e32 v1, 16, v36
	s_delay_alu instid0(VALU_DEP_2) | instskip(SKIP_1) | instid1(VALU_DEP_3)
	v_mad_u64_u32 v[8:9], null, v0, 40, v[24:25]
	v_cvt_f32_f16_e32 v10, v36
	v_cvt_f32_f16_e32 v11, v1
	v_mov_b32_e32 v9, 0
	s_delay_alu instid0(VALU_DEP_3) | instskip(NEXT) | instid1(VALU_DEP_3)
	v_mul_f32_e32 v1, v2, v10
	v_mul_f32_e32 v2, v2, v11
	s_delay_alu instid0(VALU_DEP_3) | instskip(NEXT) | instid1(VALU_DEP_1)
	v_lshlrev_b64 v[8:9], 2, v[8:9]
	v_add_co_u32 v8, vcc_lo, s28, v8
	s_delay_alu instid0(VALU_DEP_2)
	v_add_co_ci_u32_e32 v9, vcc_lo, s29, v9, vcc_lo
	global_store_b64 v[8:9], v[1:2], off
.LBB17_56:
	s_or_b32 exec_lo, exec_lo, s7
	s_and_saveexec_b32 s7, s5
	s_cbranch_execz .LBB17_58
; %bb.57:
	s_delay_alu instid0(VALU_DEP_1) | instskip(SKIP_1) | instid1(VALU_DEP_2)
	v_ashrrev_i32_e32 v1, 31, v0
	v_mov_b32_e32 v18, v3
	v_lshlrev_b64 v[0:1], 3, v[0:1]
	s_delay_alu instid0(VALU_DEP_1) | instskip(NEXT) | instid1(VALU_DEP_2)
	v_add_co_u32 v0, vcc_lo, s30, v0
	v_add_co_ci_u32_e32 v1, vcc_lo, s31, v1, vcc_lo
	global_store_b64 v[0:1], v[18:19], off
.LBB17_58:
	s_or_b32 exec_lo, exec_lo, s7
	v_add_nc_u32_e32 v0, s33, v30
	s_delay_alu instid0(VALU_DEP_1)
	v_cmp_gt_i32_e32 vcc_lo, s38, v0
	s_and_b32 exec_lo, exec_lo, vcc_lo
	s_cbranch_execz .LBB17_86
; %bb.59:
	v_cmp_ne_u32_e32 vcc_lo, 1, v25
	v_mov_b32_e32 v2, 1.0
	s_cbranch_vccnz .LBB17_61
; %bb.60:
	v_div_scale_f32 v0, null, v12, v12, 1.0
	s_delay_alu instid0(VALU_DEP_1) | instskip(SKIP_2) | instid1(VALU_DEP_1)
	v_rcp_f32_e32 v1, v0
	s_waitcnt_depctr 0xfff
	v_fma_f32 v2, -v0, v1, 1.0
	v_fmac_f32_e32 v1, v2, v1
	v_div_scale_f32 v2, vcc_lo, 1.0, v12, 1.0
	s_delay_alu instid0(VALU_DEP_1) | instskip(NEXT) | instid1(VALU_DEP_1)
	v_mul_f32_e32 v3, v2, v1
	v_fma_f32 v8, -v0, v3, v2
	s_delay_alu instid0(VALU_DEP_1) | instskip(NEXT) | instid1(VALU_DEP_1)
	v_fmac_f32_e32 v3, v8, v1
	v_fma_f32 v0, -v0, v3, v2
	s_delay_alu instid0(VALU_DEP_1) | instskip(NEXT) | instid1(VALU_DEP_1)
	v_div_fmas_f32 v0, v0, v1, v3
	v_div_fixup_f32 v2, v0, v12, 1.0
.LBB17_61:
	v_add_nc_u32_e32 v0, s3, v30
	s_delay_alu instid0(VALU_DEP_1) | instskip(NEXT) | instid1(VALU_DEP_1)
	v_mad_u64_u32 v[8:9], null, v0, s39, s[34:35]
	v_mad_u64_u32 v[0:1], null, s1, v8, s[14:15]
	s_and_saveexec_b32 s7, s2
	s_cbranch_execz .LBB17_63
; %bb.62:
	v_lshrrev_b32_e32 v1, 16, v35
	s_delay_alu instid0(VALU_DEP_2) | instskip(SKIP_1) | instid1(VALU_DEP_3)
	v_mad_u64_u32 v[8:9], null, v0, 40, v[24:25]
	v_cvt_f32_f16_e32 v3, v35
	v_cvt_f32_f16_e32 v10, v1
	v_mov_b32_e32 v9, 0
	s_delay_alu instid0(VALU_DEP_3) | instskip(NEXT) | instid1(VALU_DEP_3)
	v_mul_f32_e32 v1, v2, v3
	v_mul_f32_e32 v2, v2, v10
	s_delay_alu instid0(VALU_DEP_3) | instskip(NEXT) | instid1(VALU_DEP_1)
	v_lshlrev_b64 v[8:9], 2, v[8:9]
	v_add_co_u32 v8, vcc_lo, s28, v8
	s_delay_alu instid0(VALU_DEP_2)
	v_add_co_ci_u32_e32 v9, vcc_lo, s29, v9, vcc_lo
	global_store_b64 v[8:9], v[1:2], off
.LBB17_63:
	s_or_b32 exec_lo, exec_lo, s7
	s_and_saveexec_b32 s7, s5
	s_cbranch_execz .LBB17_65
; %bb.64:
	s_delay_alu instid0(VALU_DEP_1) | instskip(SKIP_1) | instid1(VALU_DEP_2)
	v_ashrrev_i32_e32 v1, 31, v0
	v_mov_b32_e32 v19, v4
	v_lshlrev_b64 v[0:1], 3, v[0:1]
	s_delay_alu instid0(VALU_DEP_1) | instskip(NEXT) | instid1(VALU_DEP_2)
	v_add_co_u32 v0, vcc_lo, s30, v0
	v_add_co_ci_u32_e32 v1, vcc_lo, s31, v1, vcc_lo
	global_store_b64 v[0:1], v[19:20], off
.LBB17_65:
	s_or_b32 exec_lo, exec_lo, s7
	v_lshrrev_b32_e32 v0, 2, v29
	s_delay_alu instid0(VALU_DEP_1) | instskip(NEXT) | instid1(VALU_DEP_1)
	v_add_nc_u32_e32 v1, s33, v0
	v_cmp_gt_i32_e32 vcc_lo, s38, v1
	s_and_b32 exec_lo, exec_lo, vcc_lo
	s_cbranch_execz .LBB17_86
; %bb.66:
	v_cmp_ne_u32_e32 vcc_lo, 1, v25
	v_mov_b32_e32 v2, 1.0
	s_cbranch_vccnz .LBB17_68
; %bb.67:
	v_div_scale_f32 v1, null, v13, v13, 1.0
	s_delay_alu instid0(VALU_DEP_1) | instskip(SKIP_2) | instid1(VALU_DEP_1)
	v_rcp_f32_e32 v2, v1
	s_waitcnt_depctr 0xfff
	v_fma_f32 v3, -v1, v2, 1.0
	v_fmac_f32_e32 v2, v3, v2
	v_div_scale_f32 v3, vcc_lo, 1.0, v13, 1.0
	s_delay_alu instid0(VALU_DEP_1) | instskip(NEXT) | instid1(VALU_DEP_1)
	v_mul_f32_e32 v4, v3, v2
	v_fma_f32 v8, -v1, v4, v3
	s_delay_alu instid0(VALU_DEP_1) | instskip(NEXT) | instid1(VALU_DEP_1)
	v_fmac_f32_e32 v4, v8, v2
	v_fma_f32 v1, -v1, v4, v3
	s_delay_alu instid0(VALU_DEP_1) | instskip(NEXT) | instid1(VALU_DEP_1)
	v_div_fmas_f32 v1, v1, v2, v4
	v_div_fixup_f32 v2, v1, v13, 1.0
.LBB17_68:
	v_add_nc_u32_e32 v0, s3, v0
	s_delay_alu instid0(VALU_DEP_1) | instskip(NEXT) | instid1(VALU_DEP_1)
	v_mad_u64_u32 v[3:4], null, v0, s39, s[6:7]
	v_mad_u64_u32 v[0:1], null, s1, v3, s[14:15]
	s_and_saveexec_b32 s6, s2
	s_cbranch_execz .LBB17_70
; %bb.69:
	s_delay_alu instid0(VALU_DEP_1) | instskip(SKIP_3) | instid1(VALU_DEP_3)
	v_mad_u64_u32 v[3:4], null, v0, 40, v[24:25]
	v_lshrrev_b32_e32 v1, 16, v34
	v_cvt_f32_f16_e32 v8, v34
	v_mov_b32_e32 v4, 0
	v_cvt_f32_f16_e32 v9, v1
	s_delay_alu instid0(VALU_DEP_3) | instskip(NEXT) | instid1(VALU_DEP_3)
	v_mul_f32_e32 v1, v2, v8
	v_lshlrev_b64 v[3:4], 2, v[3:4]
	s_delay_alu instid0(VALU_DEP_3) | instskip(NEXT) | instid1(VALU_DEP_2)
	v_mul_f32_e32 v2, v2, v9
	v_add_co_u32 v3, vcc_lo, s28, v3
	s_delay_alu instid0(VALU_DEP_3)
	v_add_co_ci_u32_e32 v4, vcc_lo, s29, v4, vcc_lo
	global_store_b64 v[3:4], v[1:2], off
.LBB17_70:
	s_or_b32 exec_lo, exec_lo, s6
	s_and_saveexec_b32 s6, s5
	s_cbranch_execz .LBB17_72
; %bb.71:
	s_delay_alu instid0(VALU_DEP_1) | instskip(SKIP_1) | instid1(VALU_DEP_2)
	v_ashrrev_i32_e32 v1, 31, v0
	v_mov_b32_e32 v20, v5
	v_lshlrev_b64 v[0:1], 3, v[0:1]
	s_delay_alu instid0(VALU_DEP_1) | instskip(NEXT) | instid1(VALU_DEP_2)
	v_add_co_u32 v0, vcc_lo, s30, v0
	v_add_co_ci_u32_e32 v1, vcc_lo, s31, v1, vcc_lo
	global_store_b64 v[0:1], v[20:21], off
.LBB17_72:
	s_or_b32 exec_lo, exec_lo, s6
	v_lshrrev_b32_e32 v0, 2, v28
	s_delay_alu instid0(VALU_DEP_1) | instskip(NEXT) | instid1(VALU_DEP_1)
	v_add_nc_u32_e32 v1, s33, v0
	v_cmp_gt_i32_e32 vcc_lo, s38, v1
	s_and_b32 exec_lo, exec_lo, vcc_lo
	s_cbranch_execz .LBB17_86
; %bb.73:
	v_cmp_ne_u32_e32 vcc_lo, 1, v25
	v_mov_b32_e32 v2, 1.0
	s_cbranch_vccnz .LBB17_75
; %bb.74:
	v_div_scale_f32 v1, null, v14, v14, 1.0
	s_delay_alu instid0(VALU_DEP_1) | instskip(SKIP_2) | instid1(VALU_DEP_1)
	v_rcp_f32_e32 v2, v1
	s_waitcnt_depctr 0xfff
	v_fma_f32 v3, -v1, v2, 1.0
	v_fmac_f32_e32 v2, v3, v2
	v_div_scale_f32 v3, vcc_lo, 1.0, v14, 1.0
	s_delay_alu instid0(VALU_DEP_1) | instskip(NEXT) | instid1(VALU_DEP_1)
	v_mul_f32_e32 v4, v3, v2
	v_fma_f32 v5, -v1, v4, v3
	s_delay_alu instid0(VALU_DEP_1) | instskip(NEXT) | instid1(VALU_DEP_1)
	v_fmac_f32_e32 v4, v5, v2
	v_fma_f32 v1, -v1, v4, v3
	s_delay_alu instid0(VALU_DEP_1) | instskip(NEXT) | instid1(VALU_DEP_1)
	v_div_fmas_f32 v1, v1, v2, v4
	v_div_fixup_f32 v2, v1, v14, 1.0
.LBB17_75:
	v_add_nc_u32_e32 v0, s3, v0
	s_delay_alu instid0(VALU_DEP_1) | instskip(NEXT) | instid1(VALU_DEP_1)
	v_mad_u64_u32 v[3:4], null, v0, s39, s[4:5]
	v_mad_u64_u32 v[0:1], null, s1, v3, s[14:15]
	s_and_saveexec_b32 s4, s2
	s_cbranch_execz .LBB17_77
; %bb.76:
	s_delay_alu instid0(VALU_DEP_1) | instskip(SKIP_3) | instid1(VALU_DEP_3)
	v_mad_u64_u32 v[3:4], null, v0, 40, v[24:25]
	v_lshrrev_b32_e32 v1, 16, v33
	v_cvt_f32_f16_e32 v5, v33
	v_mov_b32_e32 v4, 0
	v_cvt_f32_f16_e32 v8, v1
	s_delay_alu instid0(VALU_DEP_3) | instskip(NEXT) | instid1(VALU_DEP_3)
	v_mul_f32_e32 v1, v2, v5
	v_lshlrev_b64 v[3:4], 2, v[3:4]
	s_delay_alu instid0(VALU_DEP_3) | instskip(NEXT) | instid1(VALU_DEP_2)
	v_mul_f32_e32 v2, v2, v8
	v_add_co_u32 v3, vcc_lo, s28, v3
	s_delay_alu instid0(VALU_DEP_3)
	v_add_co_ci_u32_e32 v4, vcc_lo, s29, v4, vcc_lo
	global_store_b64 v[3:4], v[1:2], off
.LBB17_77:
	s_or_b32 exec_lo, exec_lo, s4
	s_and_saveexec_b32 s4, s5
	s_cbranch_execz .LBB17_79
; %bb.78:
	s_delay_alu instid0(VALU_DEP_1) | instskip(SKIP_1) | instid1(VALU_DEP_2)
	v_ashrrev_i32_e32 v1, 31, v0
	v_mov_b32_e32 v21, v6
	v_lshlrev_b64 v[0:1], 3, v[0:1]
	s_delay_alu instid0(VALU_DEP_1) | instskip(NEXT) | instid1(VALU_DEP_2)
	v_add_co_u32 v0, vcc_lo, s30, v0
	v_add_co_ci_u32_e32 v1, vcc_lo, s31, v1, vcc_lo
	global_store_b64 v[0:1], v[21:22], off
.LBB17_79:
	s_or_b32 exec_lo, exec_lo, s4
	v_lshrrev_b32_e32 v0, 2, v27
	s_delay_alu instid0(VALU_DEP_1) | instskip(NEXT) | instid1(VALU_DEP_1)
	v_add_nc_u32_e32 v1, s33, v0
	v_cmp_gt_i32_e32 vcc_lo, s38, v1
	s_and_b32 exec_lo, exec_lo, vcc_lo
	s_cbranch_execz .LBB17_86
; %bb.80:
	v_cmp_ne_u32_e32 vcc_lo, 1, v25
	v_mov_b32_e32 v2, 1.0
	s_cbranch_vccnz .LBB17_82
; %bb.81:
	v_div_scale_f32 v1, null, v15, v15, 1.0
	s_delay_alu instid0(VALU_DEP_1) | instskip(SKIP_2) | instid1(VALU_DEP_1)
	v_rcp_f32_e32 v2, v1
	s_waitcnt_depctr 0xfff
	v_fma_f32 v3, -v1, v2, 1.0
	v_fmac_f32_e32 v2, v3, v2
	v_div_scale_f32 v3, vcc_lo, 1.0, v15, 1.0
	s_delay_alu instid0(VALU_DEP_1) | instskip(NEXT) | instid1(VALU_DEP_1)
	v_mul_f32_e32 v4, v3, v2
	v_fma_f32 v5, -v1, v4, v3
	s_delay_alu instid0(VALU_DEP_1) | instskip(NEXT) | instid1(VALU_DEP_1)
	v_fmac_f32_e32 v4, v5, v2
	v_fma_f32 v1, -v1, v4, v3
	s_delay_alu instid0(VALU_DEP_1) | instskip(NEXT) | instid1(VALU_DEP_1)
	v_div_fmas_f32 v1, v1, v2, v4
	v_div_fixup_f32 v2, v1, v15, 1.0
.LBB17_82:
	v_add_nc_u32_e32 v0, s3, v0
	s_delay_alu instid0(VALU_DEP_1) | instskip(NEXT) | instid1(VALU_DEP_1)
	v_mad_u64_u32 v[3:4], null, v0, s39, s[0:1]
	v_mad_u64_u32 v[0:1], null, s1, v3, s[14:15]
	s_and_saveexec_b32 s0, s2
	s_cbranch_execz .LBB17_84
; %bb.83:
	s_delay_alu instid0(VALU_DEP_1) | instskip(SKIP_3) | instid1(VALU_DEP_3)
	v_mad_u64_u32 v[3:4], null, v0, 40, v[24:25]
	v_lshrrev_b32_e32 v1, 16, v32
	v_cvt_f32_f16_e32 v5, v32
	v_mov_b32_e32 v4, 0
	v_cvt_f32_f16_e32 v6, v1
	s_delay_alu instid0(VALU_DEP_3) | instskip(NEXT) | instid1(VALU_DEP_3)
	v_mul_f32_e32 v1, v2, v5
	v_lshlrev_b64 v[3:4], 2, v[3:4]
	s_delay_alu instid0(VALU_DEP_3) | instskip(NEXT) | instid1(VALU_DEP_2)
	v_mul_f32_e32 v2, v2, v6
	v_add_co_u32 v3, vcc_lo, s28, v3
	s_delay_alu instid0(VALU_DEP_3)
	v_add_co_ci_u32_e32 v4, vcc_lo, s29, v4, vcc_lo
	global_store_b64 v[3:4], v[1:2], off
.LBB17_84:
	s_or_b32 exec_lo, exec_lo, s0
	s_delay_alu instid0(SALU_CYCLE_1)
	s_and_b32 exec_lo, exec_lo, s5
	s_cbranch_execz .LBB17_86
; %bb.85:
	s_delay_alu instid0(VALU_DEP_1) | instskip(SKIP_1) | instid1(VALU_DEP_2)
	v_ashrrev_i32_e32 v1, 31, v0
	v_mov_b32_e32 v22, v7
	v_lshlrev_b64 v[0:1], 3, v[0:1]
	s_delay_alu instid0(VALU_DEP_1) | instskip(NEXT) | instid1(VALU_DEP_2)
	v_add_co_u32 v0, vcc_lo, s30, v0
	v_add_co_ci_u32_e32 v1, vcc_lo, s31, v1, vcc_lo
	global_store_b64 v[0:1], v[22:23], off
.LBB17_86:
	s_nop 0
	s_sendmsg sendmsg(MSG_DEALLOC_VGPRS)
	s_endpgm
	.section	.rodata,"a",@progbits
	.p2align	6, 0x0
	.amdhsa_kernel _ZL15flash_attn_tileILi40ELi40ELi16ELi4ELb0EEvPKcS1_S1_S1_S1_PKiPfP15HIP_vector_typeIfLj2EEffffjfiS5_IjLj3EEiiiiiiiiiiiliiliiiiil
		.amdhsa_group_segment_fixed_size 12384
		.amdhsa_private_segment_fixed_size 0
		.amdhsa_kernarg_size 464
		.amdhsa_user_sgpr_count 13
		.amdhsa_user_sgpr_dispatch_ptr 0
		.amdhsa_user_sgpr_queue_ptr 0
		.amdhsa_user_sgpr_kernarg_segment_ptr 1
		.amdhsa_user_sgpr_dispatch_id 0
		.amdhsa_user_sgpr_private_segment_size 0
		.amdhsa_wavefront_size32 1
		.amdhsa_uses_dynamic_stack 0
		.amdhsa_enable_private_segment 0
		.amdhsa_system_sgpr_workgroup_id_x 1
		.amdhsa_system_sgpr_workgroup_id_y 1
		.amdhsa_system_sgpr_workgroup_id_z 1
		.amdhsa_system_sgpr_workgroup_info 0
		.amdhsa_system_vgpr_workitem_id 1
		.amdhsa_next_free_vgpr 106
		.amdhsa_next_free_sgpr 49
		.amdhsa_reserve_vcc 1
		.amdhsa_float_round_mode_32 0
		.amdhsa_float_round_mode_16_64 0
		.amdhsa_float_denorm_mode_32 3
		.amdhsa_float_denorm_mode_16_64 3
		.amdhsa_dx10_clamp 1
		.amdhsa_ieee_mode 1
		.amdhsa_fp16_overflow 0
		.amdhsa_workgroup_processor_mode 1
		.amdhsa_memory_ordered 1
		.amdhsa_forward_progress 0
		.amdhsa_shared_vgpr_count 0
		.amdhsa_exception_fp_ieee_invalid_op 0
		.amdhsa_exception_fp_denorm_src 0
		.amdhsa_exception_fp_ieee_div_zero 0
		.amdhsa_exception_fp_ieee_overflow 0
		.amdhsa_exception_fp_ieee_underflow 0
		.amdhsa_exception_fp_ieee_inexact 0
		.amdhsa_exception_int_div_zero 0
	.end_amdhsa_kernel
	.section	.text._ZL15flash_attn_tileILi40ELi40ELi16ELi4ELb0EEvPKcS1_S1_S1_S1_PKiPfP15HIP_vector_typeIfLj2EEffffjfiS5_IjLj3EEiiiiiiiiiiiliiliiiiil,"axG",@progbits,_ZL15flash_attn_tileILi40ELi40ELi16ELi4ELb0EEvPKcS1_S1_S1_S1_PKiPfP15HIP_vector_typeIfLj2EEffffjfiS5_IjLj3EEiiiiiiiiiiiliiliiiiil,comdat
.Lfunc_end17:
	.size	_ZL15flash_attn_tileILi40ELi40ELi16ELi4ELb0EEvPKcS1_S1_S1_S1_PKiPfP15HIP_vector_typeIfLj2EEffffjfiS5_IjLj3EEiiiiiiiiiiiliiliiiiil, .Lfunc_end17-_ZL15flash_attn_tileILi40ELi40ELi16ELi4ELb0EEvPKcS1_S1_S1_S1_PKiPfP15HIP_vector_typeIfLj2EEffffjfiS5_IjLj3EEiiiiiiiiiiiliiliiiiil
                                        ; -- End function
	.section	.AMDGPU.csdata,"",@progbits
; Kernel info:
; codeLenInByte = 17688
; NumSgprs: 51
; NumVgprs: 106
; ScratchSize: 0
; MemoryBound: 0
; FloatMode: 240
; IeeeMode: 1
; LDSByteSize: 12384 bytes/workgroup (compile time only)
; SGPRBlocks: 6
; VGPRBlocks: 13
; NumSGPRsForWavesPerEU: 51
; NumVGPRsForWavesPerEU: 106
; Occupancy: 12
; WaveLimiterHint : 1
; COMPUTE_PGM_RSRC2:SCRATCH_EN: 0
; COMPUTE_PGM_RSRC2:USER_SGPR: 13
; COMPUTE_PGM_RSRC2:TRAP_HANDLER: 0
; COMPUTE_PGM_RSRC2:TGID_X_EN: 1
; COMPUTE_PGM_RSRC2:TGID_Y_EN: 1
; COMPUTE_PGM_RSRC2:TGID_Z_EN: 1
; COMPUTE_PGM_RSRC2:TIDIG_COMP_CNT: 1
	.section	.text._ZL25flash_attn_mask_to_KV_maxILi16EEvPK7__half2Piiii,"axG",@progbits,_ZL25flash_attn_mask_to_KV_maxILi16EEvPK7__half2Piiii,comdat
	.globl	_ZL25flash_attn_mask_to_KV_maxILi16EEvPK7__half2Piiii ; -- Begin function _ZL25flash_attn_mask_to_KV_maxILi16EEvPK7__half2Piiii
	.p2align	8
	.type	_ZL25flash_attn_mask_to_KV_maxILi16EEvPK7__half2Piiii,@function
_ZL25flash_attn_mask_to_KV_maxILi16EEvPK7__half2Piiii: ; @_ZL25flash_attn_mask_to_KV_maxILi16EEvPK7__half2Piiii
; %bb.0:
	s_load_b128 s[4:7], s[0:1], 0x0
	s_mov_b32 s2, exec_lo
	v_cmpx_gt_u32_e32 32, v0
	s_cbranch_execz .LBB18_2
; %bb.1:
	v_dual_mov_b32 v2, 1 :: v_dual_lshlrev_b32 v1, 2, v0
	ds_store_b32 v1, v2
.LBB18_2:
	s_or_b32 exec_lo, exec_lo, s2
	s_clause 0x1
	s_load_b128 s[8:11], s[0:1], 0x10
	s_load_b32 s1, s[0:1], 0x20
	v_dual_mov_b32 v2, 0 :: v_dual_and_b32 v1, 31, v0
	v_lshrrev_b32_e32 v5, 3, v0
	s_waitcnt lgkmcnt(0)
	s_barrier
	s_delay_alu instid0(VALU_DEP_2) | instskip(SKIP_4) | instid1(SALU_CYCLE_1)
	v_lshlrev_b32_e32 v6, 2, v1
	buffer_gl0_inv
	s_mul_i32 s0, s14, s9
	s_mul_i32 s2, s15, s10
	s_lshl_b32 s0, s0, 4
	s_add_i32 s2, s2, s0
	v_cmp_eq_u32_e64 s0, 0, v1
	s_ashr_i32 s3, s2, 31
	s_delay_alu instid0(SALU_CYCLE_1) | instskip(NEXT) | instid1(SALU_CYCLE_1)
	s_lshl_b64 s[10:11], s[2:3], 2
	s_add_u32 s3, s4, s10
	s_addc_u32 s4, s5, s11
	s_lshl_b32 s5, s8, 8
	s_branch .LBB18_4
.LBB18_3:                               ;   in Loop: Header=BB18_4 Depth=1
	s_or_b32 exec_lo, exec_lo, s10
	s_waitcnt lgkmcnt(0)
	s_barrier
	buffer_gl0_inv
	ds_load_b32 v1, v6
	s_waitcnt lgkmcnt(0)
	s_barrier
	buffer_gl0_inv
	;;#ASMSTART
	;;#ASMEND
	v_cmp_ne_u32_e32 vcc_lo, 0, v1
	s_cmp_lg_u32 vcc_lo, exec_lo
	s_cselect_b32 s8, -1, 0
	s_delay_alu instid0(SALU_CYCLE_1)
	s_and_b32 vcc_lo, exec_lo, s8
	s_cbranch_vccnz .LBB18_68
.LBB18_4:                               ; =>This Inner Loop Header: Depth=1
	s_mov_b32 s2, s5
	s_addk_i32 s5, 0xff00
	s_delay_alu instid0(SALU_CYCLE_1)
	s_cmp_lt_i32 s5, 0
	s_cbranch_scc1 .LBB18_67
; %bb.5:                                ;   in Loop: Header=BB18_4 Depth=1
	s_lshr_b32 s8, s5, 1
	s_mov_b32 s10, 0
	v_add_nc_u32_e32 v1, s8, v0
	s_delay_alu instid0(VALU_DEP_1) | instskip(NEXT) | instid1(VALU_DEP_1)
	v_lshlrev_b64 v[3:4], 2, v[1:2]
	v_add_co_u32 v3, vcc_lo, s3, v3
	s_delay_alu instid0(VALU_DEP_2) | instskip(SKIP_4) | instid1(VALU_DEP_2)
	v_add_co_ci_u32_e32 v4, vcc_lo, s4, v4, vcc_lo
	global_load_b32 v3, v[3:4], off
	s_waitcnt vmcnt(0)
	v_lshrrev_b32_e32 v4, 16, v3
	v_cmp_class_f16_e64 s8, v3, 0x204
	v_and_b32_e32 v4, 0x7fff, v4
	s_delay_alu instid0(VALU_DEP_1) | instskip(NEXT) | instid1(VALU_DEP_3)
	v_cmp_eq_f16_e32 vcc_lo, 0x7c00, v4
	s_and_b32 s11, s8, vcc_lo
	s_delay_alu instid0(SALU_CYCLE_1)
	s_and_saveexec_b32 s8, s11
	s_cbranch_execz .LBB18_65
; %bb.6:                                ;   in Loop: Header=BB18_4 Depth=1
	v_add_nc_u32_e32 v3, s9, v1
	s_mov_b32 s11, 0
	s_delay_alu instid0(VALU_DEP_1) | instskip(NEXT) | instid1(VALU_DEP_1)
	v_ashrrev_i32_e32 v4, 31, v3
	v_lshlrev_b64 v[7:8], 2, v[3:4]
	s_delay_alu instid0(VALU_DEP_1) | instskip(NEXT) | instid1(VALU_DEP_2)
	v_add_co_u32 v7, vcc_lo, s3, v7
	v_add_co_ci_u32_e32 v8, vcc_lo, s4, v8, vcc_lo
	global_load_b32 v1, v[7:8], off
	s_waitcnt vmcnt(0)
	v_cmp_class_f16_e64 s12, v1, 0x204
	s_delay_alu instid0(VALU_DEP_1)
	s_and_saveexec_b32 s10, s12
	s_cbranch_execz .LBB18_64
; %bb.7:                                ;   in Loop: Header=BB18_4 Depth=1
	v_lshrrev_b32_e32 v1, 16, v1
	s_mov_b32 s12, 0
	s_delay_alu instid0(VALU_DEP_1) | instskip(NEXT) | instid1(VALU_DEP_1)
	v_cmp_class_f16_e64 s13, v1, 0x204
	s_and_saveexec_b32 s11, s13
	s_cbranch_execz .LBB18_63
; %bb.8:                                ;   in Loop: Header=BB18_4 Depth=1
	v_add_nc_u32_e32 v3, s9, v3
	s_mov_b32 s13, 0
	s_delay_alu instid0(VALU_DEP_1) | instskip(NEXT) | instid1(VALU_DEP_1)
	v_ashrrev_i32_e32 v4, 31, v3
	v_lshlrev_b64 v[7:8], 2, v[3:4]
	s_delay_alu instid0(VALU_DEP_1) | instskip(NEXT) | instid1(VALU_DEP_2)
	v_add_co_u32 v7, vcc_lo, s3, v7
	v_add_co_ci_u32_e32 v8, vcc_lo, s4, v8, vcc_lo
	global_load_b32 v1, v[7:8], off
	s_waitcnt vmcnt(0)
	v_cmp_class_f16_e64 s16, v1, 0x204
	s_delay_alu instid0(VALU_DEP_1)
	s_and_saveexec_b32 s12, s16
	s_cbranch_execz .LBB18_62
; %bb.9:                                ;   in Loop: Header=BB18_4 Depth=1
	v_lshrrev_b32_e32 v1, 16, v1
	s_mov_b32 s16, 0
	s_delay_alu instid0(VALU_DEP_1) | instskip(NEXT) | instid1(VALU_DEP_1)
	v_cmp_class_f16_e64 s17, v1, 0x204
	s_and_saveexec_b32 s13, s17
	s_cbranch_execz .LBB18_61
; %bb.10:                               ;   in Loop: Header=BB18_4 Depth=1
	v_add_nc_u32_e32 v3, s9, v3
	s_mov_b32 s17, 0
	s_delay_alu instid0(VALU_DEP_1) | instskip(NEXT) | instid1(VALU_DEP_1)
	v_ashrrev_i32_e32 v4, 31, v3
	v_lshlrev_b64 v[7:8], 2, v[3:4]
	s_delay_alu instid0(VALU_DEP_1) | instskip(NEXT) | instid1(VALU_DEP_2)
	v_add_co_u32 v7, vcc_lo, s3, v7
	v_add_co_ci_u32_e32 v8, vcc_lo, s4, v8, vcc_lo
	global_load_b32 v1, v[7:8], off
	s_waitcnt vmcnt(0)
	v_cmp_class_f16_e64 s18, v1, 0x204
	s_delay_alu instid0(VALU_DEP_1)
	s_and_saveexec_b32 s16, s18
	s_cbranch_execz .LBB18_60
; %bb.11:                               ;   in Loop: Header=BB18_4 Depth=1
	v_lshrrev_b32_e32 v1, 16, v1
	s_mov_b32 s18, 0
	s_delay_alu instid0(VALU_DEP_1) | instskip(NEXT) | instid1(VALU_DEP_1)
	v_cmp_class_f16_e64 s19, v1, 0x204
	s_and_saveexec_b32 s17, s19
	s_cbranch_execz .LBB18_59
; %bb.12:                               ;   in Loop: Header=BB18_4 Depth=1
	v_add_nc_u32_e32 v3, s9, v3
	s_mov_b32 s19, 0
	s_delay_alu instid0(VALU_DEP_1) | instskip(NEXT) | instid1(VALU_DEP_1)
	v_ashrrev_i32_e32 v4, 31, v3
	v_lshlrev_b64 v[7:8], 2, v[3:4]
	s_delay_alu instid0(VALU_DEP_1) | instskip(NEXT) | instid1(VALU_DEP_2)
	v_add_co_u32 v7, vcc_lo, s3, v7
	v_add_co_ci_u32_e32 v8, vcc_lo, s4, v8, vcc_lo
	global_load_b32 v1, v[7:8], off
	s_waitcnt vmcnt(0)
	v_cmp_class_f16_e64 s20, v1, 0x204
	s_delay_alu instid0(VALU_DEP_1)
	s_and_saveexec_b32 s18, s20
	s_cbranch_execz .LBB18_58
; %bb.13:                               ;   in Loop: Header=BB18_4 Depth=1
	;; [unrolled: 22-line block ×12, first 2 shown]
	v_lshrrev_b32_e32 v1, 16, v1
	s_mov_b32 s41, 0
	s_delay_alu instid0(VALU_DEP_1) | instskip(NEXT) | instid1(VALU_DEP_1)
	v_cmp_class_f16_e64 s42, v1, 0x204
	s_and_saveexec_b32 s40, s42
	s_cbranch_execz .LBB18_37
; %bb.34:                               ;   in Loop: Header=BB18_4 Depth=1
	v_add_nc_u32_e32 v3, s9, v3
	s_delay_alu instid0(VALU_DEP_1) | instskip(NEXT) | instid1(VALU_DEP_1)
	v_ashrrev_i32_e32 v4, 31, v3
	v_lshlrev_b64 v[3:4], 2, v[3:4]
	s_delay_alu instid0(VALU_DEP_1) | instskip(NEXT) | instid1(VALU_DEP_2)
	v_add_co_u32 v3, vcc_lo, s3, v3
	v_add_co_ci_u32_e32 v4, vcc_lo, s4, v4, vcc_lo
	global_load_b32 v1, v[3:4], off
	s_waitcnt vmcnt(0)
	v_cmp_class_f16_e64 s43, v1, 0x204
	s_delay_alu instid0(VALU_DEP_1)
	s_and_saveexec_b32 s42, s43
; %bb.35:                               ;   in Loop: Header=BB18_4 Depth=1
	v_lshrrev_b32_e32 v1, 16, v1
	s_delay_alu instid0(VALU_DEP_1) | instskip(NEXT) | instid1(VALU_DEP_1)
	v_cmp_class_f16_e64 s41, v1, 0x204
	s_and_b32 s41, s41, exec_lo
; %bb.36:                               ;   in Loop: Header=BB18_4 Depth=1
	s_or_b32 exec_lo, exec_lo, s42
	s_delay_alu instid0(SALU_CYCLE_1)
	s_and_b32 s41, s41, exec_lo
.LBB18_37:                              ;   in Loop: Header=BB18_4 Depth=1
	s_or_b32 exec_lo, exec_lo, s40
	s_delay_alu instid0(SALU_CYCLE_1)
	s_and_b32 s40, s41, exec_lo
.LBB18_38:                              ;   in Loop: Header=BB18_4 Depth=1
	s_or_b32 exec_lo, exec_lo, s39
	s_delay_alu instid0(SALU_CYCLE_1)
	s_and_b32 s39, s40, exec_lo
.LBB18_39:                              ;   in Loop: Header=BB18_4 Depth=1
	s_or_b32 exec_lo, exec_lo, s38
	s_delay_alu instid0(SALU_CYCLE_1)
	s_and_b32 s38, s39, exec_lo
.LBB18_40:                              ;   in Loop: Header=BB18_4 Depth=1
	s_or_b32 exec_lo, exec_lo, s37
	s_delay_alu instid0(SALU_CYCLE_1)
	s_and_b32 s37, s38, exec_lo
.LBB18_41:                              ;   in Loop: Header=BB18_4 Depth=1
	s_or_b32 exec_lo, exec_lo, s36
	s_delay_alu instid0(SALU_CYCLE_1)
	s_and_b32 s36, s37, exec_lo
.LBB18_42:                              ;   in Loop: Header=BB18_4 Depth=1
	s_or_b32 exec_lo, exec_lo, s35
	s_delay_alu instid0(SALU_CYCLE_1)
	s_and_b32 s35, s36, exec_lo
.LBB18_43:                              ;   in Loop: Header=BB18_4 Depth=1
	s_or_b32 exec_lo, exec_lo, s34
	s_delay_alu instid0(SALU_CYCLE_1)
	s_and_b32 s34, s35, exec_lo
.LBB18_44:                              ;   in Loop: Header=BB18_4 Depth=1
	s_or_b32 exec_lo, exec_lo, s33
	s_delay_alu instid0(SALU_CYCLE_1)
	s_and_b32 s33, s34, exec_lo
.LBB18_45:                              ;   in Loop: Header=BB18_4 Depth=1
	s_or_b32 exec_lo, exec_lo, s31
	s_delay_alu instid0(SALU_CYCLE_1)
	s_and_b32 s31, s33, exec_lo
.LBB18_46:                              ;   in Loop: Header=BB18_4 Depth=1
	s_or_b32 exec_lo, exec_lo, s30
	s_delay_alu instid0(SALU_CYCLE_1)
	s_and_b32 s30, s31, exec_lo
.LBB18_47:                              ;   in Loop: Header=BB18_4 Depth=1
	s_or_b32 exec_lo, exec_lo, s29
	s_delay_alu instid0(SALU_CYCLE_1)
	s_and_b32 s29, s30, exec_lo
.LBB18_48:                              ;   in Loop: Header=BB18_4 Depth=1
	s_or_b32 exec_lo, exec_lo, s28
	s_delay_alu instid0(SALU_CYCLE_1)
	s_and_b32 s28, s29, exec_lo
.LBB18_49:                              ;   in Loop: Header=BB18_4 Depth=1
	s_or_b32 exec_lo, exec_lo, s27
	s_delay_alu instid0(SALU_CYCLE_1)
	s_and_b32 s27, s28, exec_lo
.LBB18_50:                              ;   in Loop: Header=BB18_4 Depth=1
	s_or_b32 exec_lo, exec_lo, s26
	s_delay_alu instid0(SALU_CYCLE_1)
	s_and_b32 s26, s27, exec_lo
.LBB18_51:                              ;   in Loop: Header=BB18_4 Depth=1
	s_or_b32 exec_lo, exec_lo, s25
	s_delay_alu instid0(SALU_CYCLE_1)
	s_and_b32 s25, s26, exec_lo
.LBB18_52:                              ;   in Loop: Header=BB18_4 Depth=1
	s_or_b32 exec_lo, exec_lo, s24
	s_delay_alu instid0(SALU_CYCLE_1)
	s_and_b32 s24, s25, exec_lo
.LBB18_53:                              ;   in Loop: Header=BB18_4 Depth=1
	s_or_b32 exec_lo, exec_lo, s23
	s_delay_alu instid0(SALU_CYCLE_1)
	s_and_b32 s23, s24, exec_lo
.LBB18_54:                              ;   in Loop: Header=BB18_4 Depth=1
	s_or_b32 exec_lo, exec_lo, s22
	s_delay_alu instid0(SALU_CYCLE_1)
	s_and_b32 s22, s23, exec_lo
.LBB18_55:                              ;   in Loop: Header=BB18_4 Depth=1
	s_or_b32 exec_lo, exec_lo, s21
	s_delay_alu instid0(SALU_CYCLE_1)
	s_and_b32 s21, s22, exec_lo
.LBB18_56:                              ;   in Loop: Header=BB18_4 Depth=1
	s_or_b32 exec_lo, exec_lo, s20
	s_delay_alu instid0(SALU_CYCLE_1)
	s_and_b32 s20, s21, exec_lo
.LBB18_57:                              ;   in Loop: Header=BB18_4 Depth=1
	s_or_b32 exec_lo, exec_lo, s19
	s_delay_alu instid0(SALU_CYCLE_1)
	s_and_b32 s19, s20, exec_lo
.LBB18_58:                              ;   in Loop: Header=BB18_4 Depth=1
	s_or_b32 exec_lo, exec_lo, s18
	s_delay_alu instid0(SALU_CYCLE_1)
	s_and_b32 s18, s19, exec_lo
.LBB18_59:                              ;   in Loop: Header=BB18_4 Depth=1
	s_or_b32 exec_lo, exec_lo, s17
	s_delay_alu instid0(SALU_CYCLE_1)
	s_and_b32 s17, s18, exec_lo
.LBB18_60:                              ;   in Loop: Header=BB18_4 Depth=1
	s_or_b32 exec_lo, exec_lo, s16
	s_delay_alu instid0(SALU_CYCLE_1)
	s_and_b32 s16, s17, exec_lo
.LBB18_61:                              ;   in Loop: Header=BB18_4 Depth=1
	s_or_b32 exec_lo, exec_lo, s13
	s_delay_alu instid0(SALU_CYCLE_1)
	s_and_b32 s13, s16, exec_lo
.LBB18_62:                              ;   in Loop: Header=BB18_4 Depth=1
	s_or_b32 exec_lo, exec_lo, s12
	s_delay_alu instid0(SALU_CYCLE_1)
	s_and_b32 s12, s13, exec_lo
.LBB18_63:                              ;   in Loop: Header=BB18_4 Depth=1
	s_or_b32 exec_lo, exec_lo, s11
	s_delay_alu instid0(SALU_CYCLE_1)
	s_and_b32 s11, s12, exec_lo
.LBB18_64:                              ;   in Loop: Header=BB18_4 Depth=1
	s_or_b32 exec_lo, exec_lo, s10
	s_delay_alu instid0(SALU_CYCLE_1)
	s_and_b32 s10, s11, exec_lo
.LBB18_65:                              ;   in Loop: Header=BB18_4 Depth=1
	s_or_b32 exec_lo, exec_lo, s8
	v_cndmask_b32_e64 v1, 0, 1, s10
	;;#ASMSTART
	;;#ASMEND
	s_delay_alu instid0(VALU_DEP_1)
	v_cmp_ne_u32_e32 vcc_lo, 0, v1
	s_mov_b32 s8, exec_lo
	s_and_saveexec_b32 s10, s0
	s_cbranch_execz .LBB18_3
; %bb.66:                               ;   in Loop: Header=BB18_4 Depth=1
	s_cmp_eq_u32 vcc_lo, s8
	s_cselect_b32 s8, -1, 0
	s_delay_alu instid0(SALU_CYCLE_1)
	v_cndmask_b32_e64 v1, 0, 1, s8
	ds_store_b32 v5, v1
	s_branch .LBB18_3
.LBB18_67:                              ;   in Loop: Header=BB18_4 Depth=1
                                        ; implicit-def: $sgpr5
	s_cbranch_execz .LBB18_4
.LBB18_68:
	s_mov_b32 s0, exec_lo
	v_cmpx_eq_u32_e32 0, v0
	s_cbranch_execz .LBB18_70
; %bb.69:
	s_mul_i32 s0, s1, s15
	v_dual_mov_b32 v0, 0 :: v_dual_mov_b32 v1, s2
	s_add_i32 s0, s0, s14
	s_delay_alu instid0(SALU_CYCLE_1) | instskip(NEXT) | instid1(SALU_CYCLE_1)
	s_ashr_i32 s1, s0, 31
	s_lshl_b64 s[0:1], s[0:1], 2
	s_delay_alu instid0(SALU_CYCLE_1)
	s_add_u32 s0, s6, s0
	s_addc_u32 s1, s7, s1
	global_store_b32 v0, v1, s[0:1]
.LBB18_70:
	s_nop 0
	s_sendmsg sendmsg(MSG_DEALLOC_VGPRS)
	s_endpgm
	.section	.rodata,"a",@progbits
	.p2align	6, 0x0
	.amdhsa_kernel _ZL25flash_attn_mask_to_KV_maxILi16EEvPK7__half2Piiii
		.amdhsa_group_segment_fixed_size 128
		.amdhsa_private_segment_fixed_size 0
		.amdhsa_kernarg_size 288
		.amdhsa_user_sgpr_count 14
		.amdhsa_user_sgpr_dispatch_ptr 0
		.amdhsa_user_sgpr_queue_ptr 0
		.amdhsa_user_sgpr_kernarg_segment_ptr 1
		.amdhsa_user_sgpr_dispatch_id 0
		.amdhsa_user_sgpr_private_segment_size 0
		.amdhsa_wavefront_size32 1
		.amdhsa_uses_dynamic_stack 0
		.amdhsa_enable_private_segment 0
		.amdhsa_system_sgpr_workgroup_id_x 1
		.amdhsa_system_sgpr_workgroup_id_y 1
		.amdhsa_system_sgpr_workgroup_id_z 0
		.amdhsa_system_sgpr_workgroup_info 0
		.amdhsa_system_vgpr_workitem_id 0
		.amdhsa_next_free_vgpr 9
		.amdhsa_next_free_sgpr 44
		.amdhsa_reserve_vcc 1
		.amdhsa_float_round_mode_32 0
		.amdhsa_float_round_mode_16_64 0
		.amdhsa_float_denorm_mode_32 3
		.amdhsa_float_denorm_mode_16_64 3
		.amdhsa_dx10_clamp 1
		.amdhsa_ieee_mode 1
		.amdhsa_fp16_overflow 0
		.amdhsa_workgroup_processor_mode 1
		.amdhsa_memory_ordered 1
		.amdhsa_forward_progress 0
		.amdhsa_shared_vgpr_count 0
		.amdhsa_exception_fp_ieee_invalid_op 0
		.amdhsa_exception_fp_denorm_src 0
		.amdhsa_exception_fp_ieee_div_zero 0
		.amdhsa_exception_fp_ieee_overflow 0
		.amdhsa_exception_fp_ieee_underflow 0
		.amdhsa_exception_fp_ieee_inexact 0
		.amdhsa_exception_int_div_zero 0
	.end_amdhsa_kernel
	.section	.text._ZL25flash_attn_mask_to_KV_maxILi16EEvPK7__half2Piiii,"axG",@progbits,_ZL25flash_attn_mask_to_KV_maxILi16EEvPK7__half2Piiii,comdat
.Lfunc_end18:
	.size	_ZL25flash_attn_mask_to_KV_maxILi16EEvPK7__half2Piiii, .Lfunc_end18-_ZL25flash_attn_mask_to_KV_maxILi16EEvPK7__half2Piiii
                                        ; -- End function
	.section	.AMDGPU.csdata,"",@progbits
; Kernel info:
; codeLenInByte = 2432
; NumSgprs: 46
; NumVgprs: 9
; ScratchSize: 0
; MemoryBound: 0
; FloatMode: 240
; IeeeMode: 1
; LDSByteSize: 128 bytes/workgroup (compile time only)
; SGPRBlocks: 5
; VGPRBlocks: 1
; NumSGPRsForWavesPerEU: 46
; NumVGPRsForWavesPerEU: 9
; Occupancy: 16
; WaveLimiterHint : 0
; COMPUTE_PGM_RSRC2:SCRATCH_EN: 0
; COMPUTE_PGM_RSRC2:USER_SGPR: 14
; COMPUTE_PGM_RSRC2:TRAP_HANDLER: 0
; COMPUTE_PGM_RSRC2:TGID_X_EN: 1
; COMPUTE_PGM_RSRC2:TGID_Y_EN: 1
; COMPUTE_PGM_RSRC2:TGID_Z_EN: 0
; COMPUTE_PGM_RSRC2:TIDIG_COMP_CNT: 0
	.section	.text._ZL33flash_attn_stream_k_fixup_uniformILi40ELi16ELi4EEvPfPK15HIP_vector_typeIfLj2EEiiiiiiS1_IjLj3EES5_S5_,"axG",@progbits,_ZL33flash_attn_stream_k_fixup_uniformILi40ELi16ELi4EEvPfPK15HIP_vector_typeIfLj2EEiiiiiiS1_IjLj3EES5_S5_,comdat
	.globl	_ZL33flash_attn_stream_k_fixup_uniformILi40ELi16ELi4EEvPfPK15HIP_vector_typeIfLj2EEiiiiiiS1_IjLj3EES5_S5_ ; -- Begin function _ZL33flash_attn_stream_k_fixup_uniformILi40ELi16ELi4EEvPfPK15HIP_vector_typeIfLj2EEiiiiiiS1_IjLj3EES5_S5_
	.p2align	8
	.type	_ZL33flash_attn_stream_k_fixup_uniformILi40ELi16ELi4EEvPfPK15HIP_vector_typeIfLj2EEiiiiiiS1_IjLj3EES5_S5_,@function
_ZL33flash_attn_stream_k_fixup_uniformILi40ELi16ELi4EEvPfPK15HIP_vector_typeIfLj2EEiiiiiiS1_IjLj3EES5_S5_: ; @_ZL33flash_attn_stream_k_fixup_uniformILi40ELi16ELi4EEvPfPK15HIP_vector_typeIfLj2EEiiiiiiS1_IjLj3EES5_S5_
; %bb.0:
	s_clause 0x1
	s_load_b256 s[4:11], s[0:1], 0x1c
	s_load_b128 s[16:19], s[0:1], 0x3c
	s_waitcnt lgkmcnt(0)
	s_mul_hi_u32 s2, s7, s13
	s_delay_alu instid0(SALU_CYCLE_1) | instskip(NEXT) | instid1(SALU_CYCLE_1)
	s_add_i32 s2, s13, s2
	s_lshr_b32 s2, s2, s8
	s_delay_alu instid0(SALU_CYCLE_1) | instskip(SKIP_2) | instid1(SALU_CYCLE_1)
	s_mul_i32 s3, s2, s9
	s_load_b64 s[8:9], s[0:1], 0x10
	s_sub_i32 s3, s13, s3
	s_mul_hi_u32 s7, s3, s10
	s_delay_alu instid0(SALU_CYCLE_1) | instskip(NEXT) | instid1(SALU_CYCLE_1)
	s_add_i32 s7, s3, s7
	s_lshr_b32 s7, s7, s11
	s_delay_alu instid0(SALU_CYCLE_1) | instskip(NEXT) | instid1(SALU_CYCLE_1)
	s_mul_i32 s10, s7, s16
	s_sub_i32 s3, s3, s10
	s_delay_alu instid0(SALU_CYCLE_1) | instskip(NEXT) | instid1(SALU_CYCLE_1)
	s_mul_hi_u32 s10, s3, s17
	s_add_i32 s10, s3, s10
	s_delay_alu instid0(SALU_CYCLE_1) | instskip(NEXT) | instid1(SALU_CYCLE_1)
	s_lshr_b32 s11, s10, s18
	s_mul_i32 s10, s11, s19
	s_lshl_b32 s11, s11, 2
	s_sub_i32 s10, s3, s10
	s_delay_alu instid0(SALU_CYCLE_1) | instskip(NEXT) | instid1(SALU_CYCLE_1)
	s_lshl_b32 s3, s10, 4
	s_add_i32 s3, s3, s14
	s_waitcnt lgkmcnt(0)
	s_cmp_lt_i32 s3, s8
	s_cselect_b32 s3, -1, 0
	s_add_i32 s11, s11, s15
	s_delay_alu instid0(SALU_CYCLE_1) | instskip(SKIP_1) | instid1(SALU_CYCLE_1)
	s_cmp_lt_i32 s11, s5
	s_cselect_b32 s12, -1, 0
	s_and_b32 s3, s3, s12
	s_delay_alu instid0(SALU_CYCLE_1)
	s_and_not1_b32 vcc_lo, exec_lo, s3
	s_cbranch_vccnz .LBB19_6
; %bb.1:
	s_mul_i32 s8, s2, s8
	s_mul_i32 s7, s7, s5
	s_add_i32 s8, s8, s14
	s_add_i32 s5, s11, s7
	s_mul_i32 s8, s8, s9
	s_load_b128 s[0:3], s[0:1], 0x0
	s_mul_i32 s7, s9, s10
	s_add_i32 s5, s5, s8
	s_mulk_i32 s7, 0x280
	s_mul_i32 s5, s5, 40
	s_lshl_b32 s9, s14, 2
	v_add3_u32 v1, s5, s7, v0
	s_mul_i32 s5, s13, s6
	s_delay_alu instid0(SALU_CYCLE_1) | instskip(NEXT) | instid1(VALU_DEP_1)
	s_add_i32 s10, s5, s6
	v_ashrrev_i32_e32 v2, 31, v1
	s_delay_alu instid0(VALU_DEP_1) | instskip(SKIP_1) | instid1(VALU_DEP_1)
	v_lshlrev_b64 v[1:2], 2, v[1:2]
	s_waitcnt lgkmcnt(0)
	v_add_co_u32 v1, vcc_lo, s0, v1
	s_delay_alu instid0(VALU_DEP_2) | instskip(SKIP_4) | instid1(SALU_CYCLE_1)
	v_add_co_ci_u32_e32 v2, vcc_lo, s1, v2, vcc_lo
	s_add_i32 s0, s9, s15
	s_lshl_b32 s1, s10, 6
	global_load_b32 v5, v[1:2], off
	s_add_i32 s0, s0, s1
	s_sub_i32 s0, s0, 64
	s_delay_alu instid0(SALU_CYCLE_1) | instskip(NEXT) | instid1(SALU_CYCLE_1)
	s_ashr_i32 s1, s0, 31
	s_lshl_b64 s[0:1], s[0:1], 3
	s_delay_alu instid0(SALU_CYCLE_1)
	s_add_u32 s0, s2, s0
	s_addc_u32 s1, s3, s1
	s_add_i32 s7, s10, -2
	s_load_b32 s11, s[0:1], 0x4
	s_cmp_lt_i32 s7, s5
	s_cbranch_scc1 .LBB19_4
; %bb.2:
	s_load_b32 s12, s[0:1], 0x0
	s_lshl_b32 s16, s4, 8
	s_mulk_i32 s14, 0xa0
	s_ashr_i32 s17, s16, 31
	s_waitcnt lgkmcnt(0)
	v_mov_b32_e32 v6, s11
	s_lshl_b64 s[0:1], s[16:17], 2
	s_delay_alu instid0(SALU_CYCLE_1)
	s_add_u32 s7, s2, s0
	s_addc_u32 s8, s3, s1
	s_add_i32 s13, s13, 1
	s_lshl_b32 s4, s4, 6
	s_mul_i32 s0, s6, s13
	s_mul_i32 s6, s15, 40
	s_lshl_b32 s1, s0, 6
	s_mulk_i32 s0, 0xa00
	s_add_i32 s6, s6, s14
	s_add_i32 s1, s15, s1
	;; [unrolled: 1-line block ×4, first 2 shown]
	v_add3_u32 v3, s6, v0, 0xffffec00
	v_mov_b32_e32 v0, s12
	s_add_i32 s0, s0, s9
	s_add_i32 s4, s10, -1
	s_addk_i32 s0, 0xff80
.LBB19_3:                               ; =>This Inner Loop Header: Depth=1
	s_delay_alu instid0(VALU_DEP_2) | instskip(SKIP_1) | instid1(SALU_CYCLE_1)
	v_ashrrev_i32_e32 v4, 31, v3
	s_ashr_i32 s1, s0, 31
	s_lshl_b64 s[10:11], s[0:1], 3
	s_delay_alu instid0(SALU_CYCLE_1) | instskip(NEXT) | instid1(VALU_DEP_1)
	s_add_u32 s10, s2, s10
	v_lshlrev_b64 v[7:8], 2, v[3:4]
	s_addc_u32 s11, s3, s11
	s_add_i32 s4, s4, -1
	s_sub_i32 s0, s0, 64
	s_cmp_le_i32 s4, s5
	s_load_b64 s[10:11], s[10:11], 0x0
	v_add_co_u32 v7, vcc_lo, s7, v7
	v_add_co_ci_u32_e32 v8, vcc_lo, s8, v8, vcc_lo
	global_load_b32 v4, v[7:8], off
	v_max_f32_e32 v7, v0, v0
	s_waitcnt lgkmcnt(0)
	v_max_f32_e64 v8, s10, s10
	s_delay_alu instid0(VALU_DEP_1) | instskip(NEXT) | instid1(VALU_DEP_1)
	v_max_f32_e32 v7, v7, v8
	v_sub_f32_e32 v8, s10, v7
	s_delay_alu instid0(VALU_DEP_1) | instskip(NEXT) | instid1(VALU_DEP_1)
	v_dual_sub_f32 v0, v0, v7 :: v_dual_mul_f32 v9, 0x3fb8aa3b, v8
	v_fma_f32 v10, 0x3fb8aa3b, v8, -v9
	v_rndne_f32_e32 v11, v9
	s_delay_alu instid0(VALU_DEP_3) | instskip(NEXT) | instid1(VALU_DEP_2)
	v_mul_f32_e32 v12, 0x3fb8aa3b, v0
	v_dual_fmac_f32 v10, 0x32a5705f, v8 :: v_dual_sub_f32 v9, v9, v11
	v_cvt_i32_f32_e32 v11, v11
	s_delay_alu instid0(VALU_DEP_3) | instskip(SKIP_1) | instid1(VALU_DEP_4)
	v_fma_f32 v13, 0x3fb8aa3b, v0, -v12
	v_rndne_f32_e32 v14, v12
	v_add_f32_e32 v9, v9, v10
	v_cmp_ngt_f32_e32 vcc_lo, 0xc2ce8ed0, v8
	s_delay_alu instid0(VALU_DEP_3) | instskip(NEXT) | instid1(VALU_DEP_3)
	v_sub_f32_e32 v10, v12, v14
	v_exp_f32_e32 v9, v9
	s_waitcnt_depctr 0xfff
	v_ldexp_f32 v9, v9, v11
	v_cvt_i32_f32_e32 v11, v14
	s_delay_alu instid0(VALU_DEP_2) | instskip(SKIP_1) | instid1(VALU_DEP_2)
	v_cndmask_b32_e32 v9, 0, v9, vcc_lo
	v_cmp_nlt_f32_e32 vcc_lo, 0x42b17218, v8
	v_cndmask_b32_e32 v9, 0x7f800000, v9, vcc_lo
	v_cmp_ngt_f32_e32 vcc_lo, 0xc2ce8ed0, v0
	v_fmac_f32_e32 v13, 0x32a5705f, v0
	s_delay_alu instid0(VALU_DEP_1) | instskip(NEXT) | instid1(VALU_DEP_1)
	v_add_f32_e32 v10, v10, v13
	v_exp_f32_e32 v10, v10
	s_waitcnt_depctr 0xfff
	v_ldexp_f32 v10, v10, v11
	s_delay_alu instid0(VALU_DEP_1)
	v_dual_mov_b32 v11, v6 :: v_dual_cndmask_b32 v10, 0, v10
	v_cmp_le_f32_e32 vcc_lo, 0xc1a00000, v8
	s_waitcnt vmcnt(1)
	v_dual_cndmask_b32 v8, 0, v9 :: v_dual_mov_b32 v9, v5
	v_cmp_nlt_f32_e32 vcc_lo, 0x42b17218, v0
	v_cndmask_b32_e32 v5, 0x7f800000, v10, vcc_lo
	s_delay_alu instid0(VALU_DEP_3) | instskip(SKIP_2) | instid1(VALU_DEP_3)
	v_mul_f32_e32 v10, s11, v8
	v_cmp_le_f32_e32 vcc_lo, 0xc1a00000, v0
	v_mov_b32_e32 v0, v7
	v_mov_b32_e32 v6, v10
	s_waitcnt vmcnt(0)
	v_dual_cndmask_b32 v12, 0, v5 :: v_dual_mul_f32 v5, v4, v8
	s_delay_alu instid0(VALU_DEP_1) | instskip(NEXT) | instid1(VALU_DEP_2)
	v_dual_fmac_f32 v6, v11, v12 :: v_dual_add_nc_u32 v3, 0xfffff600, v3
	v_fmac_f32_e32 v5, v9, v12
	s_cbranch_scc0 .LBB19_3
	s_branch .LBB19_5
.LBB19_4:
	s_waitcnt lgkmcnt(0)
	v_mov_b32_e32 v6, s11
.LBB19_5:
	s_waitcnt vmcnt(0)
	s_delay_alu instid0(VALU_DEP_1) | instskip(NEXT) | instid1(VALU_DEP_1)
	v_div_scale_f32 v0, null, v6, v6, v5
	v_rcp_f32_e32 v3, v0
	s_waitcnt_depctr 0xfff
	v_fma_f32 v4, -v0, v3, 1.0
	s_delay_alu instid0(VALU_DEP_1) | instskip(SKIP_1) | instid1(VALU_DEP_1)
	v_fmac_f32_e32 v3, v4, v3
	v_div_scale_f32 v4, vcc_lo, v5, v6, v5
	v_mul_f32_e32 v7, v4, v3
	s_delay_alu instid0(VALU_DEP_1) | instskip(NEXT) | instid1(VALU_DEP_1)
	v_fma_f32 v8, -v0, v7, v4
	v_fmac_f32_e32 v7, v8, v3
	s_delay_alu instid0(VALU_DEP_1) | instskip(NEXT) | instid1(VALU_DEP_1)
	v_fma_f32 v0, -v0, v7, v4
	v_div_fmas_f32 v0, v0, v3, v7
	s_delay_alu instid0(VALU_DEP_1)
	v_div_fixup_f32 v0, v0, v6, v5
	global_store_b32 v[1:2], v0, off
.LBB19_6:
	s_nop 0
	s_sendmsg sendmsg(MSG_DEALLOC_VGPRS)
	s_endpgm
	.section	.rodata,"a",@progbits
	.p2align	6, 0x0
	.amdhsa_kernel _ZL33flash_attn_stream_k_fixup_uniformILi40ELi16ELi4EEvPfPK15HIP_vector_typeIfLj2EEiiiiiiS1_IjLj3EES5_S5_
		.amdhsa_group_segment_fixed_size 0
		.amdhsa_private_segment_fixed_size 0
		.amdhsa_kernarg_size 76
		.amdhsa_user_sgpr_count 13
		.amdhsa_user_sgpr_dispatch_ptr 0
		.amdhsa_user_sgpr_queue_ptr 0
		.amdhsa_user_sgpr_kernarg_segment_ptr 1
		.amdhsa_user_sgpr_dispatch_id 0
		.amdhsa_user_sgpr_private_segment_size 0
		.amdhsa_wavefront_size32 1
		.amdhsa_uses_dynamic_stack 0
		.amdhsa_enable_private_segment 0
		.amdhsa_system_sgpr_workgroup_id_x 1
		.amdhsa_system_sgpr_workgroup_id_y 1
		.amdhsa_system_sgpr_workgroup_id_z 1
		.amdhsa_system_sgpr_workgroup_info 0
		.amdhsa_system_vgpr_workitem_id 0
		.amdhsa_next_free_vgpr 15
		.amdhsa_next_free_sgpr 20
		.amdhsa_reserve_vcc 1
		.amdhsa_float_round_mode_32 0
		.amdhsa_float_round_mode_16_64 0
		.amdhsa_float_denorm_mode_32 3
		.amdhsa_float_denorm_mode_16_64 3
		.amdhsa_dx10_clamp 1
		.amdhsa_ieee_mode 1
		.amdhsa_fp16_overflow 0
		.amdhsa_workgroup_processor_mode 1
		.amdhsa_memory_ordered 1
		.amdhsa_forward_progress 0
		.amdhsa_shared_vgpr_count 0
		.amdhsa_exception_fp_ieee_invalid_op 0
		.amdhsa_exception_fp_denorm_src 0
		.amdhsa_exception_fp_ieee_div_zero 0
		.amdhsa_exception_fp_ieee_overflow 0
		.amdhsa_exception_fp_ieee_underflow 0
		.amdhsa_exception_fp_ieee_inexact 0
		.amdhsa_exception_int_div_zero 0
	.end_amdhsa_kernel
	.section	.text._ZL33flash_attn_stream_k_fixup_uniformILi40ELi16ELi4EEvPfPK15HIP_vector_typeIfLj2EEiiiiiiS1_IjLj3EES5_S5_,"axG",@progbits,_ZL33flash_attn_stream_k_fixup_uniformILi40ELi16ELi4EEvPfPK15HIP_vector_typeIfLj2EEiiiiiiS1_IjLj3EES5_S5_,comdat
.Lfunc_end19:
	.size	_ZL33flash_attn_stream_k_fixup_uniformILi40ELi16ELi4EEvPfPK15HIP_vector_typeIfLj2EEiiiiiiS1_IjLj3EES5_S5_, .Lfunc_end19-_ZL33flash_attn_stream_k_fixup_uniformILi40ELi16ELi4EEvPfPK15HIP_vector_typeIfLj2EEiiiiiiS1_IjLj3EES5_S5_
                                        ; -- End function
	.section	.AMDGPU.csdata,"",@progbits
; Kernel info:
; codeLenInByte = 988
; NumSgprs: 22
; NumVgprs: 15
; ScratchSize: 0
; MemoryBound: 0
; FloatMode: 240
; IeeeMode: 1
; LDSByteSize: 0 bytes/workgroup (compile time only)
; SGPRBlocks: 2
; VGPRBlocks: 1
; NumSGPRsForWavesPerEU: 22
; NumVGPRsForWavesPerEU: 15
; Occupancy: 16
; WaveLimiterHint : 0
; COMPUTE_PGM_RSRC2:SCRATCH_EN: 0
; COMPUTE_PGM_RSRC2:USER_SGPR: 13
; COMPUTE_PGM_RSRC2:TRAP_HANDLER: 0
; COMPUTE_PGM_RSRC2:TGID_X_EN: 1
; COMPUTE_PGM_RSRC2:TGID_Y_EN: 1
; COMPUTE_PGM_RSRC2:TGID_Z_EN: 1
; COMPUTE_PGM_RSRC2:TIDIG_COMP_CNT: 0
	.section	.text._ZL33flash_attn_stream_k_fixup_generalILi40ELi16ELi4EEvPfPK15HIP_vector_typeIfLj2EEiiiiS1_IjLj3EES5_S5_S5_,"axG",@progbits,_ZL33flash_attn_stream_k_fixup_generalILi40ELi16ELi4EEvPfPK15HIP_vector_typeIfLj2EEiiiiS1_IjLj3EES5_S5_S5_,comdat
	.globl	_ZL33flash_attn_stream_k_fixup_generalILi40ELi16ELi4EEvPfPK15HIP_vector_typeIfLj2EEiiiiS1_IjLj3EES5_S5_S5_ ; -- Begin function _ZL33flash_attn_stream_k_fixup_generalILi40ELi16ELi4EEvPfPK15HIP_vector_typeIfLj2EEiiiiS1_IjLj3EES5_S5_S5_
	.p2align	8
	.type	_ZL33flash_attn_stream_k_fixup_generalILi40ELi16ELi4EEvPfPK15HIP_vector_typeIfLj2EEiiiiS1_IjLj3EES5_S5_S5_,@function
_ZL33flash_attn_stream_k_fixup_generalILi40ELi16ELi4EEvPfPK15HIP_vector_typeIfLj2EEiiiiS1_IjLj3EES5_S5_S5_: ; @_ZL33flash_attn_stream_k_fixup_generalILi40ELi16ELi4EEvPfPK15HIP_vector_typeIfLj2EEiiiiS1_IjLj3EES5_S5_S5_
; %bb.0:
	s_clause 0x1
	s_load_b128 s[4:7], s[0:1], 0x10
	s_load_b32 s20, s[0:1], 0x50
	s_mov_b32 s2, 0
	s_waitcnt lgkmcnt(0)
	s_mul_hi_i32 s3, s7, s13
	s_mul_i32 s12, s7, s13
	s_cmp_lg_u64 s[2:3], 0
	s_cbranch_scc0 .LBB20_21
; %bb.1:
	v_cvt_f32_ubyte0_e32 v1, 0
	v_cvt_f32_u32_e32 v2, s20
	s_sub_u32 s10, 0, s20
	s_subb_u32 s11, 0, 0
	s_delay_alu instid0(VALU_DEP_1) | instskip(NEXT) | instid1(VALU_DEP_1)
	v_fmamk_f32 v1, v1, 0x4f800000, v2
	v_rcp_f32_e32 v1, v1
	s_waitcnt_depctr 0xfff
	v_mul_f32_e32 v1, 0x5f7ffffc, v1
	s_delay_alu instid0(VALU_DEP_1) | instskip(NEXT) | instid1(VALU_DEP_1)
	v_mul_f32_e32 v2, 0x2f800000, v1
	v_trunc_f32_e32 v2, v2
	s_delay_alu instid0(VALU_DEP_1) | instskip(SKIP_1) | instid1(VALU_DEP_2)
	v_fmamk_f32 v1, v2, 0xcf800000, v1
	v_cvt_u32_f32_e32 v2, v2
	v_cvt_u32_f32_e32 v1, v1
	s_delay_alu instid0(VALU_DEP_2) | instskip(NEXT) | instid1(VALU_DEP_2)
	v_readfirstlane_b32 s8, v2
	v_readfirstlane_b32 s9, v1
	s_delay_alu instid0(VALU_DEP_2) | instskip(NEXT) | instid1(VALU_DEP_1)
	s_mul_i32 s16, s10, s8
	s_mul_hi_u32 s18, s10, s9
	s_mul_i32 s17, s11, s9
	s_add_i32 s16, s18, s16
	s_mul_i32 s19, s10, s9
	s_add_i32 s16, s16, s17
	s_mul_hi_u32 s18, s9, s19
	s_mul_hi_u32 s21, s8, s19
	s_mul_i32 s17, s8, s19
	s_mul_hi_u32 s19, s9, s16
	s_mul_i32 s9, s9, s16
	s_mul_hi_u32 s22, s8, s16
	s_add_u32 s9, s18, s9
	s_addc_u32 s18, 0, s19
	s_add_u32 s9, s9, s17
	s_mul_i32 s16, s8, s16
	s_addc_u32 s9, s18, s21
	s_addc_u32 s17, s22, 0
	s_add_u32 s9, s9, s16
	s_addc_u32 s16, 0, s17
	v_add_co_u32 v1, s9, v1, s9
	s_delay_alu instid0(VALU_DEP_1) | instskip(SKIP_1) | instid1(VALU_DEP_1)
	s_cmp_lg_u32 s9, 0
	s_addc_u32 s8, s8, s16
	v_readfirstlane_b32 s9, v1
	s_mul_i32 s16, s10, s8
	s_delay_alu instid0(VALU_DEP_1)
	s_mul_hi_u32 s17, s10, s9
	s_mul_i32 s11, s11, s9
	s_add_i32 s16, s17, s16
	s_mul_i32 s10, s10, s9
	s_add_i32 s16, s16, s11
	s_mul_hi_u32 s17, s8, s10
	s_mul_i32 s18, s8, s10
	s_mul_hi_u32 s10, s9, s10
	s_mul_hi_u32 s19, s9, s16
	s_mul_i32 s9, s9, s16
	s_mul_hi_u32 s11, s8, s16
	s_add_u32 s9, s10, s9
	s_addc_u32 s10, 0, s19
	s_add_u32 s9, s9, s18
	s_mul_i32 s16, s8, s16
	s_addc_u32 s9, s10, s17
	s_addc_u32 s10, s11, 0
	s_add_u32 s9, s9, s16
	s_addc_u32 s10, 0, s10
	v_add_co_u32 v1, s9, v1, s9
	s_delay_alu instid0(VALU_DEP_1) | instskip(SKIP_2) | instid1(SALU_CYCLE_1)
	s_cmp_lg_u32 s9, 0
	s_addc_u32 s16, s8, s10
	s_ashr_i32 s8, s3, 31
	s_add_u32 s10, s12, s8
	s_addc_u32 s11, s3, s8
	v_readfirstlane_b32 s3, v1
	s_mov_b32 s9, s8
	s_delay_alu instid0(SALU_CYCLE_1) | instskip(NEXT) | instid1(SALU_CYCLE_1)
	s_xor_b64 s[10:11], s[10:11], s[8:9]
	s_mul_i32 s18, s10, s16
	s_delay_alu instid0(VALU_DEP_1)
	s_mul_hi_u32 s19, s10, s3
	s_mul_hi_u32 s17, s10, s16
	;; [unrolled: 1-line block ×3, first 2 shown]
	s_mul_i32 s3, s11, s3
	s_add_u32 s18, s19, s18
	s_addc_u32 s17, 0, s17
	s_mul_hi_u32 s21, s11, s16
	s_add_u32 s3, s18, s3
	s_mul_i32 s16, s11, s16
	s_addc_u32 s3, s17, s22
	s_addc_u32 s17, s21, 0
	s_add_u32 s3, s3, s16
	s_addc_u32 s16, 0, s17
	s_mul_i32 s18, s20, s3
	s_add_u32 s17, s3, 1
	v_sub_co_u32 v1, s10, s10, s18
	s_mul_hi_u32 s18, s20, s3
	s_addc_u32 s19, s16, 0
	s_mul_i32 s21, s20, s16
	s_delay_alu instid0(VALU_DEP_1)
	v_sub_co_u32 v2, s22, v1, s20
	s_add_u32 s23, s3, 2
	s_addc_u32 s24, s16, 0
	s_add_i32 s18, s18, s21
	s_cmp_lg_u32 s10, 0
	v_readfirstlane_b32 s10, v2
	s_subb_u32 s11, s11, s18
	s_cmp_lg_u32 s22, 0
	s_subb_u32 s18, s11, 0
	s_delay_alu instid0(VALU_DEP_1) | instskip(SKIP_4) | instid1(SALU_CYCLE_1)
	s_cmp_ge_u32 s10, s20
	s_cselect_b32 s10, -1, 0
	s_cmp_eq_u32 s18, 0
	v_readfirstlane_b32 s18, v1
	s_cselect_b32 s10, s10, -1
	s_cmp_lg_u32 s10, 0
	s_cselect_b32 s10, s23, s17
	s_cselect_b32 s17, s24, s19
	s_cmp_ge_u32 s18, s20
	s_cselect_b32 s18, -1, 0
	s_cmp_eq_u32 s11, 0
	s_cselect_b32 s11, s18, -1
	s_delay_alu instid0(SALU_CYCLE_1) | instskip(SKIP_2) | instid1(SALU_CYCLE_1)
	s_cmp_lg_u32 s11, 0
	s_cselect_b32 s11, s17, s16
	s_cselect_b32 s10, s10, s3
	s_xor_b64 s[10:11], s[10:11], s[8:9]
	s_delay_alu instid0(SALU_CYCLE_1)
	s_sub_u32 s16, s10, s8
	s_load_b128 s[8:11], s[0:1], 0x44
	s_and_not1_b32 vcc_lo, exec_lo, s2
	s_cbranch_vccnz .LBB20_3
.LBB20_2:
	v_cvt_f32_u32_e32 v1, s20
	s_sub_i32 s3, 0, s20
	s_delay_alu instid0(VALU_DEP_1) | instskip(SKIP_2) | instid1(VALU_DEP_1)
	v_rcp_iflag_f32_e32 v1, v1
	s_waitcnt_depctr 0xfff
	v_mul_f32_e32 v1, 0x4f7ffffe, v1
	v_cvt_u32_f32_e32 v1, v1
	s_delay_alu instid0(VALU_DEP_1) | instskip(NEXT) | instid1(VALU_DEP_1)
	v_readfirstlane_b32 s2, v1
	s_mul_i32 s3, s3, s2
	s_delay_alu instid0(SALU_CYCLE_1) | instskip(NEXT) | instid1(SALU_CYCLE_1)
	s_mul_hi_u32 s3, s2, s3
	s_add_i32 s2, s2, s3
	s_delay_alu instid0(SALU_CYCLE_1) | instskip(NEXT) | instid1(SALU_CYCLE_1)
	s_mul_hi_u32 s2, s12, s2
	s_mul_i32 s3, s2, s20
	s_waitcnt lgkmcnt(0)
	s_add_i32 s11, s2, 1
	s_sub_i32 s3, s12, s3
	s_delay_alu instid0(SALU_CYCLE_1)
	s_sub_i32 s12, s3, s20
	s_cmp_ge_u32 s3, s20
	s_cselect_b32 s2, s11, s2
	s_cselect_b32 s3, s12, s3
	s_add_i32 s11, s2, 1
	s_cmp_ge_u32 s3, s20
	s_cselect_b32 s16, s11, s2
.LBB20_3:
	s_waitcnt lgkmcnt(0)
	s_add_i32 s11, s13, 1
	s_mov_b32 s2, 0
	s_mul_hi_i32 s3, s7, s11
	s_mul_i32 s11, s7, s11
	s_cmp_lg_u64 s[2:3], 0
	s_cbranch_scc0 .LBB20_22
; %bb.4:
	v_cvt_f32_ubyte0_e32 v1, 0
	v_cvt_f32_u32_e32 v2, s20
	s_sub_u32 s18, 0, s20
	s_subb_u32 s19, 0, 0
	s_delay_alu instid0(VALU_DEP_1) | instskip(NEXT) | instid1(VALU_DEP_1)
	v_fmamk_f32 v1, v1, 0x4f800000, v2
	v_rcp_f32_e32 v1, v1
	s_waitcnt_depctr 0xfff
	v_mul_f32_e32 v1, 0x5f7ffffc, v1
	s_delay_alu instid0(VALU_DEP_1) | instskip(NEXT) | instid1(VALU_DEP_1)
	v_mul_f32_e32 v2, 0x2f800000, v1
	v_trunc_f32_e32 v2, v2
	s_delay_alu instid0(VALU_DEP_1) | instskip(SKIP_1) | instid1(VALU_DEP_2)
	v_fmamk_f32 v1, v2, 0xcf800000, v1
	v_cvt_u32_f32_e32 v2, v2
	v_cvt_u32_f32_e32 v1, v1
	s_delay_alu instid0(VALU_DEP_2) | instskip(NEXT) | instid1(VALU_DEP_2)
	v_readfirstlane_b32 s12, v2
	v_readfirstlane_b32 s17, v1
	s_delay_alu instid0(VALU_DEP_2) | instskip(NEXT) | instid1(VALU_DEP_1)
	s_mul_i32 s21, s18, s12
	s_mul_hi_u32 s23, s18, s17
	s_mul_i32 s22, s19, s17
	s_add_i32 s21, s23, s21
	s_mul_i32 s24, s18, s17
	s_add_i32 s21, s21, s22
	s_mul_hi_u32 s23, s17, s24
	s_mul_hi_u32 s25, s12, s24
	s_mul_i32 s22, s12, s24
	s_mul_hi_u32 s24, s17, s21
	s_mul_i32 s17, s17, s21
	s_mul_hi_u32 s26, s12, s21
	s_add_u32 s17, s23, s17
	s_addc_u32 s23, 0, s24
	s_add_u32 s17, s17, s22
	s_mul_i32 s21, s12, s21
	s_addc_u32 s17, s23, s25
	s_addc_u32 s22, s26, 0
	s_add_u32 s17, s17, s21
	s_addc_u32 s21, 0, s22
	v_add_co_u32 v1, s17, v1, s17
	s_delay_alu instid0(VALU_DEP_1) | instskip(SKIP_1) | instid1(VALU_DEP_1)
	s_cmp_lg_u32 s17, 0
	s_addc_u32 s12, s12, s21
	v_readfirstlane_b32 s17, v1
	s_mul_i32 s21, s18, s12
	s_delay_alu instid0(VALU_DEP_1)
	s_mul_hi_u32 s22, s18, s17
	s_mul_i32 s19, s19, s17
	s_add_i32 s21, s22, s21
	s_mul_i32 s18, s18, s17
	s_add_i32 s21, s21, s19
	s_mul_hi_u32 s22, s12, s18
	s_mul_i32 s23, s12, s18
	s_mul_hi_u32 s18, s17, s18
	s_mul_hi_u32 s24, s17, s21
	s_mul_i32 s17, s17, s21
	s_mul_hi_u32 s19, s12, s21
	s_add_u32 s17, s18, s17
	s_addc_u32 s18, 0, s24
	s_add_u32 s17, s17, s23
	s_mul_i32 s21, s12, s21
	s_addc_u32 s17, s18, s22
	s_addc_u32 s18, s19, 0
	s_add_u32 s17, s17, s21
	s_addc_u32 s18, 0, s18
	v_add_co_u32 v1, s17, v1, s17
	s_delay_alu instid0(VALU_DEP_1) | instskip(SKIP_2) | instid1(SALU_CYCLE_1)
	s_cmp_lg_u32 s17, 0
	s_addc_u32 s12, s12, s18
	s_ashr_i32 s18, s3, 31
	s_add_u32 s22, s11, s18
	s_addc_u32 s23, s3, s18
	v_readfirstlane_b32 s3, v1
	s_mov_b32 s19, s18
	s_delay_alu instid0(SALU_CYCLE_1) | instskip(NEXT) | instid1(SALU_CYCLE_1)
	s_xor_b64 s[22:23], s[22:23], s[18:19]
	s_mul_i32 s21, s22, s12
	s_delay_alu instid0(VALU_DEP_1)
	s_mul_hi_u32 s24, s22, s3
	s_mul_hi_u32 s17, s22, s12
	;; [unrolled: 1-line block ×3, first 2 shown]
	s_mul_i32 s3, s23, s3
	s_add_u32 s21, s24, s21
	s_addc_u32 s17, 0, s17
	s_mul_hi_u32 s25, s23, s12
	s_add_u32 s3, s21, s3
	s_mul_i32 s12, s23, s12
	s_addc_u32 s3, s17, s26
	s_addc_u32 s17, s25, 0
	s_add_u32 s3, s3, s12
	s_addc_u32 s12, 0, s17
	s_mul_i32 s21, s20, s3
	s_add_u32 s17, s3, 1
	v_sub_co_u32 v1, s21, s22, s21
	s_mul_hi_u32 s22, s20, s3
	s_addc_u32 s24, s12, 0
	s_mul_i32 s25, s20, s12
	s_delay_alu instid0(VALU_DEP_1)
	v_sub_co_u32 v2, s26, v1, s20
	s_add_u32 s27, s3, 2
	s_addc_u32 s28, s12, 0
	s_add_i32 s22, s22, s25
	s_cmp_lg_u32 s21, 0
	v_readfirstlane_b32 s21, v2
	s_subb_u32 s22, s23, s22
	s_cmp_lg_u32 s26, 0
	s_subb_u32 s23, s22, 0
	s_delay_alu instid0(VALU_DEP_1) | instskip(SKIP_4) | instid1(SALU_CYCLE_1)
	s_cmp_ge_u32 s21, s20
	s_cselect_b32 s21, -1, 0
	s_cmp_eq_u32 s23, 0
	v_readfirstlane_b32 s23, v1
	s_cselect_b32 s21, s21, -1
	s_cmp_lg_u32 s21, 0
	s_cselect_b32 s17, s27, s17
	s_cselect_b32 s21, s28, s24
	s_cmp_ge_u32 s23, s20
	s_cselect_b32 s23, -1, 0
	s_cmp_eq_u32 s22, 0
	s_cselect_b32 s22, s23, -1
	s_delay_alu instid0(SALU_CYCLE_1) | instskip(SKIP_2) | instid1(SALU_CYCLE_1)
	s_cmp_lg_u32 s22, 0
	s_cselect_b32 s23, s21, s12
	s_cselect_b32 s22, s17, s3
	s_xor_b64 s[22:23], s[22:23], s[18:19]
	s_delay_alu instid0(SALU_CYCLE_1)
	s_sub_u32 s18, s22, s18
	s_and_not1_b32 vcc_lo, exec_lo, s2
	s_cbranch_vccnz .LBB20_6
.LBB20_5:
	v_cvt_f32_u32_e32 v1, s20
	s_sub_i32 s3, 0, s20
	s_delay_alu instid0(VALU_DEP_1) | instskip(SKIP_2) | instid1(VALU_DEP_1)
	v_rcp_iflag_f32_e32 v1, v1
	s_waitcnt_depctr 0xfff
	v_mul_f32_e32 v1, 0x4f7ffffe, v1
	v_cvt_u32_f32_e32 v1, v1
	s_delay_alu instid0(VALU_DEP_1) | instskip(NEXT) | instid1(VALU_DEP_1)
	v_readfirstlane_b32 s2, v1
	s_mul_i32 s3, s3, s2
	s_delay_alu instid0(SALU_CYCLE_1) | instskip(NEXT) | instid1(SALU_CYCLE_1)
	s_mul_hi_u32 s3, s2, s3
	s_add_i32 s2, s2, s3
	s_delay_alu instid0(SALU_CYCLE_1) | instskip(NEXT) | instid1(SALU_CYCLE_1)
	s_mul_hi_u32 s2, s11, s2
	s_mul_i32 s3, s2, s20
	s_delay_alu instid0(SALU_CYCLE_1)
	s_sub_i32 s3, s11, s3
	s_add_i32 s11, s2, 1
	s_sub_i32 s12, s3, s20
	s_cmp_ge_u32 s3, s20
	s_cselect_b32 s2, s11, s2
	s_cselect_b32 s3, s12, s3
	s_add_i32 s11, s2, 1
	s_cmp_ge_u32 s3, s20
	s_cselect_b32 s18, s11, s2
.LBB20_6:
	s_delay_alu instid0(SALU_CYCLE_1) | instskip(SKIP_3) | instid1(SALU_CYCLE_1)
	s_cmp_eq_u32 s16, s18
	s_mul_hi_u32 s2, s16, s8
	s_cselect_b32 s3, -1, 0
	s_add_i32 s2, s2, s16
	s_lshr_b32 s11, s2, s9
	s_delay_alu instid0(SALU_CYCLE_1) | instskip(NEXT) | instid1(SALU_CYCLE_1)
	s_mul_i32 s2, s11, s10
	s_cmp_eq_u32 s2, s16
	s_mul_hi_u32 s2, s18, s8
	s_cselect_b32 s12, -1, 0
	s_add_i32 s2, s2, s18
	s_delay_alu instid0(SALU_CYCLE_1) | instskip(NEXT) | instid1(SALU_CYCLE_1)
	s_lshr_b32 s2, s2, s9
	s_cmp_eq_u32 s11, s2
	s_mul_i32 s2, s2, s10
	s_cselect_b32 s17, -1, 0
	s_cmp_lg_u32 s2, s18
	s_cselect_b32 s2, -1, 0
	s_or_b32 s3, s3, s12
	s_and_b32 s2, s17, s2
	s_delay_alu instid0(SALU_CYCLE_1) | instskip(NEXT) | instid1(SALU_CYCLE_1)
	s_or_b32 s2, s3, s2
	s_and_b32 vcc_lo, exec_lo, s2
	s_cbranch_vccnz .LBB20_24
; %bb.7:
	s_load_b256 s[24:31], s[0:1], 0x20
	s_waitcnt lgkmcnt(0)
	s_mul_hi_u32 s2, s16, s24
	s_delay_alu instid0(SALU_CYCLE_1) | instskip(NEXT) | instid1(SALU_CYCLE_1)
	s_add_i32 s2, s2, s16
	s_lshr_b32 s17, s2, s25
	s_load_b32 s2, s[0:1], 0x40
	s_mul_i32 s3, s17, s26
	s_delay_alu instid0(SALU_CYCLE_1) | instskip(NEXT) | instid1(SALU_CYCLE_1)
	s_sub_i32 s3, s16, s3
	s_mul_hi_u32 s12, s3, s27
	s_delay_alu instid0(SALU_CYCLE_1) | instskip(NEXT) | instid1(SALU_CYCLE_1)
	s_add_i32 s12, s3, s12
	s_lshr_b32 s19, s12, s28
	s_delay_alu instid0(SALU_CYCLE_1) | instskip(NEXT) | instid1(SALU_CYCLE_1)
	s_mul_i32 s12, s19, s29
	s_sub_i32 s3, s3, s12
	s_delay_alu instid0(SALU_CYCLE_1) | instskip(NEXT) | instid1(SALU_CYCLE_1)
	s_mul_hi_u32 s12, s3, s30
	s_add_i32 s12, s3, s12
	s_delay_alu instid0(SALU_CYCLE_1)
	s_lshr_b32 s12, s12, s31
	s_waitcnt lgkmcnt(0)
	s_mul_i32 s2, s12, s2
	s_lshl_b32 s21, s12, 2
	s_sub_i32 s2, s3, s2
	s_mov_b32 s12, 0
	s_mul_hi_u32 s3, s2, s8
	s_delay_alu instid0(SALU_CYCLE_1) | instskip(NEXT) | instid1(SALU_CYCLE_1)
	s_add_i32 s2, s2, s3
	s_lshr_b32 s18, s2, s9
	s_delay_alu instid0(SALU_CYCLE_1) | instskip(NEXT) | instid1(SALU_CYCLE_1)
	s_lshl_b32 s2, s18, 4
	s_add_i32 s2, s2, s14
	s_delay_alu instid0(SALU_CYCLE_1) | instskip(SKIP_2) | instid1(SALU_CYCLE_1)
	s_cmp_lt_i32 s2, s4
	s_cselect_b32 s2, -1, 0
	s_add_i32 s21, s21, s15
	s_cmp_lt_i32 s21, s6
	s_cselect_b32 s3, -1, 0
	s_delay_alu instid0(SALU_CYCLE_1) | instskip(NEXT) | instid1(SALU_CYCLE_1)
	s_and_b32 s2, s2, s3
	s_and_not1_b32 vcc_lo, exec_lo, s2
	s_cbranch_vccnz .LBB20_24
; %bb.8:
	s_load_b128 s[0:3], s[0:1], 0x0
	s_lshl_b32 s22, s20, 8
	s_mov_b32 s23, s12
	s_lshl_b32 s24, s14, 2
	s_lshl_b64 s[22:23], s[22:23], 2
	s_mul_i32 s19, s19, s6
	s_mul_i32 s4, s17, s4
	s_add_i32 s6, s24, s15
	v_cvt_f32_ubyte0_e32 v3, 0
	v_cvt_f32_u32_e32 v4, s20
	s_waitcnt lgkmcnt(0)
	s_add_u32 s15, s2, s22
	s_addc_u32 s17, s3, s23
	s_add_i32 s4, s4, s14
	s_add_i32 s14, s21, s19
	s_mul_i32 s4, s4, s5
	s_mul_i32 s5, s5, s18
	s_add_i32 s4, s14, s4
	s_mulk_i32 s5, 0x280
	s_mul_i32 s4, s4, 40
	s_delay_alu instid0(SALU_CYCLE_1) | instskip(NEXT) | instid1(VALU_DEP_1)
	v_add3_u32 v1, s5, s4, v0
	v_ashrrev_i32_e32 v2, 31, v1
	s_delay_alu instid0(VALU_DEP_1) | instskip(NEXT) | instid1(VALU_DEP_1)
	v_lshlrev_b64 v[1:2], 2, v[1:2]
	v_add_co_u32 v1, vcc_lo, s0, v1
	s_delay_alu instid0(VALU_DEP_2) | instskip(SKIP_1) | instid1(SALU_CYCLE_1)
	v_add_co_ci_u32_e32 v2, vcc_lo, s1, v2, vcc_lo
	s_lshl_b32 s0, s13, 6
	s_add_i32 s0, s6, s0
	global_load_b32 v5, v[1:2], off
	s_ashr_i32 s1, s0, 31
	s_delay_alu instid0(SALU_CYCLE_1) | instskip(NEXT) | instid1(SALU_CYCLE_1)
	s_lshl_b64 s[0:1], s[0:1], 3
	s_add_u32 s0, s2, s0
	s_addc_u32 s1, s3, s1
	s_add_i32 s18, s13, -1
	s_load_b64 s[0:1], s[0:1], 0x0
	v_fmac_f32_e32 v4, 0x4f800000, v3
	s_sub_i32 s14, 0, s20
	s_delay_alu instid0(VALU_DEP_1)
	v_rcp_f32_e32 v3, v4
	s_waitcnt_depctr 0xfff
	v_mul_f32_e32 v6, 0x5f7ffffc, v3
	v_cvt_f32_u32_e32 v3, s20
	s_waitcnt lgkmcnt(0)
	v_mov_b32_e32 v8, s0
	s_delay_alu instid0(VALU_DEP_3) | instskip(NEXT) | instid1(VALU_DEP_3)
	v_mul_f32_e32 v4, 0x2f800000, v6
	v_rcp_iflag_f32_e32 v7, v3
	s_delay_alu instid0(VALU_DEP_1) | instskip(SKIP_1) | instid1(VALU_DEP_2)
	v_trunc_f32_e32 v9, v4
	v_mad_u64_u32 v[3:4], null, s6, 40, v[0:1]
	v_fmac_f32_e32 v6, 0xcf800000, v9
	s_waitcnt_depctr 0xfff
	v_dual_mul_f32 v10, 0x4f7ffffe, v7 :: v_dual_mov_b32 v7, s1
	v_cvt_u32_f32_e32 v4, v9
	v_cvt_u32_f32_e32 v0, v6
	s_delay_alu instid0(VALU_DEP_3)
	v_cvt_u32_f32_e32 v6, v10
.LBB20_9:                               ; =>This Inner Loop Header: Depth=1
	s_mul_hi_i32 s13, s18, s7
	s_mul_i32 s4, s18, s7
	s_cmp_lg_u64 s[12:13], 0
	s_mov_b32 s5, -1
                                        ; implicit-def: $sgpr0_sgpr1
	s_cbranch_scc0 .LBB20_11
; %bb.10:                               ;   in Loop: Header=BB20_9 Depth=1
	v_readfirstlane_b32 s0, v0
	v_readfirstlane_b32 s1, v4
	s_sub_u32 s5, 0, s20
	s_subb_u32 s19, 0, 0
	s_delay_alu instid0(VALU_DEP_2) | instskip(NEXT) | instid1(VALU_DEP_1)
	s_mul_hi_u32 s21, s5, s0
	s_mul_i32 s22, s5, s1
	s_mul_i32 s23, s19, s0
	s_add_i32 s21, s21, s22
	s_mul_i32 s22, s5, s0
	s_add_i32 s21, s21, s23
	s_mul_hi_u32 s23, s0, s22
	s_mul_i32 s24, s0, s21
	s_mul_hi_u32 s0, s0, s21
	s_add_u32 s23, s23, s24
	s_mul_i32 s25, s1, s22
	s_addc_u32 s0, 0, s0
	s_mul_hi_u32 s22, s1, s22
	s_mul_hi_u32 s24, s1, s21
	s_add_u32 s23, s23, s25
	s_addc_u32 s0, s0, s22
	s_mul_i32 s21, s1, s21
	s_addc_u32 s22, s24, 0
	s_add_u32 s0, s0, s21
	s_addc_u32 s21, 0, s22
	v_add_co_u32 v9, s0, v0, s0
	s_delay_alu instid0(VALU_DEP_1) | instskip(SKIP_1) | instid1(VALU_DEP_1)
	s_cmp_lg_u32 s0, 0
	s_addc_u32 s1, s1, s21
	v_readfirstlane_b32 s0, v9
	s_mul_i32 s21, s5, s1
	s_delay_alu instid0(VALU_DEP_1)
	s_mul_hi_u32 s22, s5, s0
	s_mul_i32 s19, s19, s0
	s_add_i32 s21, s22, s21
	s_mul_i32 s5, s5, s0
	s_add_i32 s21, s21, s19
	s_mul_hi_u32 s19, s1, s5
	s_mul_i32 s23, s1, s5
	s_mul_i32 s24, s0, s21
	s_mul_hi_u32 s5, s0, s5
	s_mul_hi_u32 s0, s0, s21
	s_add_u32 s5, s5, s24
	s_addc_u32 s0, 0, s0
	s_mul_hi_u32 s22, s1, s21
	s_add_u32 s5, s5, s23
	s_addc_u32 s0, s0, s19
	s_mul_i32 s5, s1, s21
	s_addc_u32 s19, s22, 0
	s_add_u32 s0, s0, s5
	s_addc_u32 s5, 0, s19
	v_add_co_u32 v9, s0, v9, s0
	s_delay_alu instid0(VALU_DEP_1) | instskip(SKIP_2) | instid1(SALU_CYCLE_1)
	s_cmp_lg_u32 s0, 0
	s_addc_u32 s5, s1, s5
	s_ashr_i32 s0, s13, 31
	s_add_u32 s22, s4, s0
	s_addc_u32 s23, s13, s0
	v_readfirstlane_b32 s13, v9
	s_mov_b32 s1, s0
	s_delay_alu instid0(SALU_CYCLE_1) | instskip(NEXT) | instid1(SALU_CYCLE_1)
	s_xor_b64 s[22:23], s[22:23], s[0:1]
	s_mul_i32 s19, s22, s5
	s_delay_alu instid0(VALU_DEP_1)
	s_mul_hi_u32 s21, s22, s13
	s_mul_hi_u32 s24, s22, s5
	s_add_u32 s19, s21, s19
	s_mul_i32 s25, s23, s13
	s_addc_u32 s21, 0, s24
	s_mul_hi_u32 s13, s23, s13
	s_mul_hi_u32 s24, s23, s5
	s_add_u32 s19, s19, s25
	s_addc_u32 s13, s21, s13
	s_mul_i32 s5, s23, s5
	s_addc_u32 s19, s24, 0
	s_add_u32 s5, s13, s5
	s_addc_u32 s13, 0, s19
	s_mul_i32 s21, s20, s5
	s_add_u32 s19, s5, 1
	v_sub_co_u32 v9, s21, s22, s21
	s_addc_u32 s22, s13, 0
	s_mul_i32 s25, s20, s13
	s_mul_hi_u32 s27, s20, s5
	s_delay_alu instid0(VALU_DEP_1)
	v_sub_co_u32 v10, s26, v9, s20
	s_add_u32 s24, s5, 2
	s_addc_u32 s28, s13, 0
	s_add_i32 s27, s27, s25
	s_cmp_lg_u32 s21, 0
	v_readfirstlane_b32 s21, v10
	s_subb_u32 s23, s23, s27
	s_cmp_lg_u32 s26, 0
	s_subb_u32 s25, s23, 0
	s_delay_alu instid0(VALU_DEP_1) | instskip(SKIP_4) | instid1(SALU_CYCLE_1)
	s_cmp_ge_u32 s21, s20
	s_cselect_b32 s21, -1, 0
	s_cmp_eq_u32 s25, 0
	v_readfirstlane_b32 s25, v9
	s_cselect_b32 s21, s21, -1
	s_cmp_lg_u32 s21, 0
	s_cselect_b32 s19, s24, s19
	s_cselect_b32 s21, s28, s22
	s_cmp_ge_u32 s25, s20
	s_cselect_b32 s22, -1, 0
	s_cmp_eq_u32 s23, 0
	s_cselect_b32 s22, s22, -1
	s_delay_alu instid0(SALU_CYCLE_1) | instskip(SKIP_4) | instid1(SALU_CYCLE_1)
	s_cmp_lg_u32 s22, 0
	s_cselect_b32 s23, s21, s13
	s_cselect_b32 s22, s19, s5
	s_mov_b32 s5, 0
	s_xor_b64 s[22:23], s[22:23], s[0:1]
	s_sub_u32 s0, s22, s0
.LBB20_11:                              ;   in Loop: Header=BB20_9 Depth=1
	s_and_not1_b32 vcc_lo, exec_lo, s5
	s_cbranch_vccnz .LBB20_13
; %bb.12:                               ;   in Loop: Header=BB20_9 Depth=1
	v_readfirstlane_b32 s0, v6
	s_delay_alu instid0(VALU_DEP_1) | instskip(NEXT) | instid1(SALU_CYCLE_1)
	s_mul_i32 s1, s14, s0
	s_mul_hi_u32 s1, s0, s1
	s_delay_alu instid0(SALU_CYCLE_1) | instskip(NEXT) | instid1(SALU_CYCLE_1)
	s_add_i32 s0, s0, s1
	s_mul_hi_u32 s0, s4, s0
	s_delay_alu instid0(SALU_CYCLE_1) | instskip(NEXT) | instid1(SALU_CYCLE_1)
	s_mul_i32 s1, s0, s20
	s_sub_i32 s1, s4, s1
	s_add_i32 s4, s0, 1
	s_sub_i32 s5, s1, s20
	s_cmp_ge_u32 s1, s20
	s_cselect_b32 s0, s4, s0
	s_cselect_b32 s1, s5, s1
	s_add_i32 s4, s0, 1
	s_cmp_ge_u32 s1, s20
	s_cselect_b32 s0, s4, s0
.LBB20_13:                              ;   in Loop: Header=BB20_9 Depth=1
	s_delay_alu instid0(SALU_CYCLE_1)
	s_cmp_lg_u32 s16, s0
	s_cbranch_scc0 .LBB20_17
; %bb.14:                               ;   in Loop: Header=BB20_9 Depth=1
	s_add_i32 s1, s18, s20
	s_mov_b32 s5, s12
	s_lshl_b32 s1, s1, 6
	s_mov_b32 s19, s16
	s_add_i32 s4, s1, s6
	s_mul_hi_u32 s1, s0, s8
	s_lshl_b64 s[4:5], s[4:5], 3
	s_delay_alu instid0(SALU_CYCLE_1) | instskip(SKIP_2) | instid1(SALU_CYCLE_1)
	s_add_u32 s4, s2, s4
	s_addc_u32 s5, s3, s5
	s_add_i32 s1, s1, s0
	s_lshr_b32 s1, s1, s9
	s_delay_alu instid0(SALU_CYCLE_1) | instskip(NEXT) | instid1(SALU_CYCLE_1)
	s_mul_i32 s13, s1, s10
	s_cmp_eq_u32 s13, s0
	s_cselect_b32 s13, -1, 0
	s_cmp_lt_u32 s1, s11
	s_cselect_b32 s1, -1, 0
	s_delay_alu instid0(SALU_CYCLE_1)
	s_or_b32 s1, s1, s13
	s_mov_b32 s13, -1
	s_and_b32 vcc_lo, exec_lo, s1
	s_mov_b32 s1, s18
	s_cbranch_vccnz .LBB20_16
; %bb.15:                               ;   in Loop: Header=BB20_9 Depth=1
	s_add_i32 s1, s18, -1
	s_mov_b32 s13, 0
	s_mov_b32 s19, s0
.LBB20_16:                              ;   in Loop: Header=BB20_9 Depth=1
	v_mad_u64_u32 v[9:10], null, 0xa00, s18, v[3:4]
	s_load_b64 s[4:5], s[4:5], 0x0
	s_delay_alu instid0(VALU_DEP_1) | instskip(NEXT) | instid1(VALU_DEP_1)
	v_ashrrev_i32_e32 v10, 31, v9
	v_lshlrev_b64 v[9:10], 2, v[9:10]
	s_delay_alu instid0(VALU_DEP_1) | instskip(NEXT) | instid1(VALU_DEP_2)
	v_add_co_u32 v9, vcc_lo, s15, v9
	v_add_co_ci_u32_e32 v10, vcc_lo, s17, v10, vcc_lo
	s_waitcnt lgkmcnt(0)
	v_max_f32_e64 v11, s4, s4
	global_load_b32 v10, v[9:10], off
	v_max_f32_e32 v9, v8, v8
	s_delay_alu instid0(VALU_DEP_1) | instskip(NEXT) | instid1(VALU_DEP_1)
	v_max_f32_e32 v9, v9, v11
	v_sub_f32_e32 v12, v8, v9
	s_delay_alu instid0(VALU_DEP_1) | instskip(NEXT) | instid1(VALU_DEP_1)
	v_dual_mul_f32 v14, 0x3fb8aa3b, v12 :: v_dual_sub_f32 v11, s4, v9
	v_rndne_f32_e32 v18, v14
	s_delay_alu instid0(VALU_DEP_2) | instskip(SKIP_2) | instid1(VALU_DEP_4)
	v_mul_f32_e32 v13, 0x3fb8aa3b, v11
	v_fma_f32 v17, 0x3fb8aa3b, v12, -v14
	v_cmp_ngt_f32_e32 vcc_lo, 0xc2ce8ed0, v11
	v_sub_f32_e32 v14, v14, v18
	s_delay_alu instid0(VALU_DEP_4) | instskip(SKIP_2) | instid1(VALU_DEP_3)
	v_fma_f32 v15, 0x3fb8aa3b, v11, -v13
	v_rndne_f32_e32 v16, v13
	v_fmac_f32_e32 v17, 0x32a5705f, v12
	v_fmac_f32_e32 v15, 0x32a5705f, v11
	s_delay_alu instid0(VALU_DEP_2) | instskip(NEXT) | instid1(VALU_DEP_1)
	v_dual_sub_f32 v13, v13, v16 :: v_dual_add_f32 v14, v14, v17
	v_add_f32_e32 v13, v13, v15
	s_delay_alu instid0(VALU_DEP_2) | instskip(SKIP_2) | instid1(VALU_DEP_3)
	v_exp_f32_e32 v14, v14
	v_cvt_i32_f32_e32 v15, v16
	v_cvt_i32_f32_e32 v16, v18
	v_exp_f32_e32 v13, v13
	s_waitcnt_depctr 0xfff
	v_ldexp_f32 v14, v14, v16
	v_ldexp_f32 v13, v13, v15
	s_delay_alu instid0(VALU_DEP_1) | instskip(SKIP_1) | instid1(VALU_DEP_4)
	v_cndmask_b32_e32 v13, 0, v13, vcc_lo
	v_cmp_ngt_f32_e32 vcc_lo, 0xc2ce8ed0, v12
	v_cndmask_b32_e32 v14, 0, v14, vcc_lo
	v_cmp_nlt_f32_e32 vcc_lo, 0x42b17218, v11
	s_delay_alu instid0(VALU_DEP_4) | instskip(SKIP_1) | instid1(VALU_DEP_4)
	v_cndmask_b32_e32 v13, 0x7f800000, v13, vcc_lo
	v_cmp_nlt_f32_e32 vcc_lo, 0x42b17218, v12
	v_cndmask_b32_e32 v14, 0x7f800000, v14, vcc_lo
	v_cmp_le_f32_e32 vcc_lo, 0xc1a00000, v11
	s_delay_alu instid0(VALU_DEP_4) | instskip(SKIP_1) | instid1(VALU_DEP_4)
	v_cndmask_b32_e32 v11, 0, v13, vcc_lo
	v_cmp_le_f32_e32 vcc_lo, 0xc1a00000, v12
	v_cndmask_b32_e32 v12, 0, v14, vcc_lo
	s_waitcnt vmcnt(0)
	s_delay_alu instid0(VALU_DEP_3) | instskip(NEXT) | instid1(VALU_DEP_1)
	v_mul_f32_e32 v10, v10, v11
	v_dual_mul_f32 v11, s5, v11 :: v_dual_fmac_f32 v10, v5, v12
	s_delay_alu instid0(VALU_DEP_1)
	v_fmac_f32_e32 v11, v7, v12
	s_cbranch_execz .LBB20_18
	s_branch .LBB20_19
.LBB20_17:                              ;   in Loop: Header=BB20_9 Depth=1
                                        ; implicit-def: $sgpr13
                                        ; implicit-def: $vgpr10
                                        ; implicit-def: $vgpr9
                                        ; implicit-def: $vgpr11
                                        ; implicit-def: $sgpr1
                                        ; implicit-def: $sgpr19
.LBB20_18:                              ;   in Loop: Header=BB20_9 Depth=1
	s_waitcnt vmcnt(0)
	v_dual_mov_b32 v11, v7 :: v_dual_mov_b32 v10, v5
	v_mov_b32_e32 v9, v8
	s_add_i32 s1, s18, -1
	s_mov_b32 s13, 0
	s_mov_b32 s19, s16
.LBB20_19:                              ;   in Loop: Header=BB20_9 Depth=1
	s_and_not1_b32 vcc_lo, exec_lo, s13
	s_cbranch_vccz .LBB20_23
; %bb.20:                               ;   in Loop: Header=BB20_9 Depth=1
	v_dual_mov_b32 v7, v11 :: v_dual_mov_b32 v8, v9
	s_waitcnt vmcnt(0)
	v_mov_b32_e32 v5, v10
	s_mov_b32 s16, s19
	s_mov_b32 s18, s1
	s_branch .LBB20_9
.LBB20_21:
                                        ; implicit-def: $sgpr16_sgpr17
	s_load_b128 s[8:11], s[0:1], 0x44
	s_branch .LBB20_2
.LBB20_22:
                                        ; implicit-def: $sgpr18_sgpr19
	s_branch .LBB20_5
.LBB20_23:
	v_div_scale_f32 v0, null, v11, v11, v10
	s_delay_alu instid0(VALU_DEP_1) | instskip(SKIP_2) | instid1(VALU_DEP_1)
	v_rcp_f32_e32 v3, v0
	s_waitcnt_depctr 0xfff
	v_fma_f32 v4, -v0, v3, 1.0
	v_fmac_f32_e32 v3, v4, v3
	v_div_scale_f32 v4, vcc_lo, v10, v11, v10
	s_waitcnt vmcnt(0)
	s_delay_alu instid0(VALU_DEP_1) | instskip(NEXT) | instid1(VALU_DEP_1)
	v_mul_f32_e32 v5, v4, v3
	v_fma_f32 v6, -v0, v5, v4
	s_delay_alu instid0(VALU_DEP_1) | instskip(NEXT) | instid1(VALU_DEP_1)
	v_fmac_f32_e32 v5, v6, v3
	v_fma_f32 v0, -v0, v5, v4
	s_delay_alu instid0(VALU_DEP_1) | instskip(NEXT) | instid1(VALU_DEP_1)
	v_div_fmas_f32 v0, v0, v3, v5
	v_div_fixup_f32 v0, v0, v11, v10
	global_store_b32 v[1:2], v0, off
.LBB20_24:
	s_nop 0
	s_sendmsg sendmsg(MSG_DEALLOC_VGPRS)
	s_endpgm
	.section	.rodata,"a",@progbits
	.p2align	6, 0x0
	.amdhsa_kernel _ZL33flash_attn_stream_k_fixup_generalILi40ELi16ELi4EEvPfPK15HIP_vector_typeIfLj2EEiiiiS1_IjLj3EES5_S5_S5_
		.amdhsa_group_segment_fixed_size 0
		.amdhsa_private_segment_fixed_size 0
		.amdhsa_kernarg_size 336
		.amdhsa_user_sgpr_count 13
		.amdhsa_user_sgpr_dispatch_ptr 0
		.amdhsa_user_sgpr_queue_ptr 0
		.amdhsa_user_sgpr_kernarg_segment_ptr 1
		.amdhsa_user_sgpr_dispatch_id 0
		.amdhsa_user_sgpr_private_segment_size 0
		.amdhsa_wavefront_size32 1
		.amdhsa_uses_dynamic_stack 0
		.amdhsa_enable_private_segment 0
		.amdhsa_system_sgpr_workgroup_id_x 1
		.amdhsa_system_sgpr_workgroup_id_y 1
		.amdhsa_system_sgpr_workgroup_id_z 1
		.amdhsa_system_sgpr_workgroup_info 0
		.amdhsa_system_vgpr_workitem_id 0
		.amdhsa_next_free_vgpr 19
		.amdhsa_next_free_sgpr 32
		.amdhsa_reserve_vcc 1
		.amdhsa_float_round_mode_32 0
		.amdhsa_float_round_mode_16_64 0
		.amdhsa_float_denorm_mode_32 3
		.amdhsa_float_denorm_mode_16_64 3
		.amdhsa_dx10_clamp 1
		.amdhsa_ieee_mode 1
		.amdhsa_fp16_overflow 0
		.amdhsa_workgroup_processor_mode 1
		.amdhsa_memory_ordered 1
		.amdhsa_forward_progress 0
		.amdhsa_shared_vgpr_count 0
		.amdhsa_exception_fp_ieee_invalid_op 0
		.amdhsa_exception_fp_denorm_src 0
		.amdhsa_exception_fp_ieee_div_zero 0
		.amdhsa_exception_fp_ieee_overflow 0
		.amdhsa_exception_fp_ieee_underflow 0
		.amdhsa_exception_fp_ieee_inexact 0
		.amdhsa_exception_int_div_zero 0
	.end_amdhsa_kernel
	.section	.text._ZL33flash_attn_stream_k_fixup_generalILi40ELi16ELi4EEvPfPK15HIP_vector_typeIfLj2EEiiiiS1_IjLj3EES5_S5_S5_,"axG",@progbits,_ZL33flash_attn_stream_k_fixup_generalILi40ELi16ELi4EEvPfPK15HIP_vector_typeIfLj2EEiiiiS1_IjLj3EES5_S5_S5_,comdat
.Lfunc_end20:
	.size	_ZL33flash_attn_stream_k_fixup_generalILi40ELi16ELi4EEvPfPK15HIP_vector_typeIfLj2EEiiiiS1_IjLj3EES5_S5_S5_, .Lfunc_end20-_ZL33flash_attn_stream_k_fixup_generalILi40ELi16ELi4EEvPfPK15HIP_vector_typeIfLj2EEiiiiS1_IjLj3EES5_S5_S5_
                                        ; -- End function
	.section	.AMDGPU.csdata,"",@progbits
; Kernel info:
; codeLenInByte = 3220
; NumSgprs: 34
; NumVgprs: 19
; ScratchSize: 0
; MemoryBound: 0
; FloatMode: 240
; IeeeMode: 1
; LDSByteSize: 0 bytes/workgroup (compile time only)
; SGPRBlocks: 4
; VGPRBlocks: 2
; NumSGPRsForWavesPerEU: 34
; NumVGPRsForWavesPerEU: 19
; Occupancy: 16
; WaveLimiterHint : 0
; COMPUTE_PGM_RSRC2:SCRATCH_EN: 0
; COMPUTE_PGM_RSRC2:USER_SGPR: 13
; COMPUTE_PGM_RSRC2:TRAP_HANDLER: 0
; COMPUTE_PGM_RSRC2:TGID_X_EN: 1
; COMPUTE_PGM_RSRC2:TGID_Y_EN: 1
; COMPUTE_PGM_RSRC2:TGID_Z_EN: 1
; COMPUTE_PGM_RSRC2:TIDIG_COMP_CNT: 0
	.section	.text._ZL15flash_attn_tileILi40ELi40ELi8ELi4ELb0EEvPKcS1_S1_S1_S1_PKiPfP15HIP_vector_typeIfLj2EEffffjfiS5_IjLj3EEiiiiiiiiiiiliiliiiiil,"axG",@progbits,_ZL15flash_attn_tileILi40ELi40ELi8ELi4ELb0EEvPKcS1_S1_S1_S1_PKiPfP15HIP_vector_typeIfLj2EEffffjfiS5_IjLj3EEiiiiiiiiiiiliiliiiiil,comdat
	.globl	_ZL15flash_attn_tileILi40ELi40ELi8ELi4ELb0EEvPKcS1_S1_S1_S1_PKiPfP15HIP_vector_typeIfLj2EEffffjfiS5_IjLj3EEiiiiiiiiiiiliiliiiiil ; -- Begin function _ZL15flash_attn_tileILi40ELi40ELi8ELi4ELb0EEvPKcS1_S1_S1_S1_PKiPfP15HIP_vector_typeIfLj2EEffffjfiS5_IjLj3EEiiiiiiiiiiiliiliiiiil
	.p2align	8
	.type	_ZL15flash_attn_tileILi40ELi40ELi8ELi4ELb0EEvPKcS1_S1_S1_S1_PKiPfP15HIP_vector_typeIfLj2EEffffjfiS5_IjLj3EEiiiiiiiiiiiliiliiiiil,@function
_ZL15flash_attn_tileILi40ELi40ELi8ELi4ELb0EEvPKcS1_S1_S1_S1_PKiPfP15HIP_vector_typeIfLj2EEffffjfiS5_IjLj3EEiiiiiiiiiiiliiliiiiil: ; @_ZL15flash_attn_tileILi40ELi40ELi8ELi4ELb0EEvPKcS1_S1_S1_S1_PKiPfP15HIP_vector_typeIfLj2EEffffjfiS5_IjLj3EEiiiiiiiiiiiliiliiiiil
; %bb.0:
	s_clause 0x1
	s_load_b128 s[36:39], s[0:1], 0x5c
	s_load_b64 s[34:35], s[0:1], 0x80
	s_mov_b64 s[40:41], 0
	s_waitcnt lgkmcnt(0)
	s_ashr_i32 s2, s39, 31
	s_delay_alu instid0(SALU_CYCLE_1) | instskip(NEXT) | instid1(SALU_CYCLE_1)
	s_lshr_b32 s2, s2, 30
	s_add_i32 s2, s39, s2
	s_delay_alu instid0(SALU_CYCLE_1) | instskip(NEXT) | instid1(SALU_CYCLE_1)
	s_ashr_i32 s2, s2, 2
	v_cvt_f32_u32_e32 v1, s2
	s_sub_i32 s4, 0, s2
	s_delay_alu instid0(VALU_DEP_1) | instskip(SKIP_2) | instid1(VALU_DEP_1)
	v_rcp_iflag_f32_e32 v1, v1
	s_waitcnt_depctr 0xfff
	v_mul_f32_e32 v1, 0x4f7ffffe, v1
	v_cvt_u32_f32_e32 v1, v1
	s_delay_alu instid0(VALU_DEP_1) | instskip(NEXT) | instid1(VALU_DEP_1)
	v_readfirstlane_b32 s3, v1
	s_mul_i32 s4, s4, s3
	s_delay_alu instid0(SALU_CYCLE_1) | instskip(NEXT) | instid1(SALU_CYCLE_1)
	s_mul_hi_u32 s4, s3, s4
	s_add_i32 s3, s3, s4
	s_delay_alu instid0(SALU_CYCLE_1) | instskip(NEXT) | instid1(SALU_CYCLE_1)
	s_mul_hi_u32 s3, s15, s3
	s_mul_i32 s4, s3, s2
	s_add_i32 s5, s3, 1
	s_sub_i32 s4, s15, s4
	s_delay_alu instid0(SALU_CYCLE_1)
	s_sub_i32 s6, s4, s2
	s_cmp_ge_u32 s4, s2
	s_cselect_b32 s3, s5, s3
	s_cselect_b32 s4, s6, s4
	s_add_i32 s5, s3, 1
	s_cmp_ge_u32 s4, s2
	s_cselect_b32 s33, s5, s3
	s_abs_i32 s2, s35
	s_abs_i32 s5, s39
	v_cvt_f32_u32_e32 v1, s2
	s_sub_i32 s4, 0, s2
	s_xor_b32 s6, s39, s35
	s_delay_alu instid0(SALU_CYCLE_1) | instskip(NEXT) | instid1(VALU_DEP_1)
	s_ashr_i32 s6, s6, 31
	v_rcp_iflag_f32_e32 v1, v1
	s_waitcnt_depctr 0xfff
	v_mul_f32_e32 v1, 0x4f7ffffe, v1
	s_delay_alu instid0(VALU_DEP_1) | instskip(NEXT) | instid1(VALU_DEP_1)
	v_cvt_u32_f32_e32 v1, v1
	v_readfirstlane_b32 s3, v1
	s_delay_alu instid0(VALU_DEP_1) | instskip(NEXT) | instid1(SALU_CYCLE_1)
	s_mul_i32 s4, s4, s3
	s_mul_hi_u32 s4, s3, s4
	s_delay_alu instid0(SALU_CYCLE_1) | instskip(SKIP_2) | instid1(SALU_CYCLE_1)
	s_add_i32 s3, s3, s4
	s_lshl_b32 s4, s15, 2
	s_mul_hi_u32 s3, s5, s3
	s_mul_i32 s7, s3, s2
	s_delay_alu instid0(SALU_CYCLE_1)
	s_sub_i32 s5, s5, s7
	s_add_i32 s7, s3, 1
	s_sub_i32 s8, s5, s2
	s_cmp_ge_u32 s5, s2
	s_cselect_b32 s3, s7, s3
	s_cselect_b32 s5, s8, s5
	s_add_i32 s7, s3, 1
	s_cmp_ge_u32 s5, s2
	s_mul_i32 s5, s33, s39
	s_cselect_b32 s2, s7, s3
	s_delay_alu instid0(SALU_CYCLE_1) | instskip(NEXT) | instid1(SALU_CYCLE_1)
	s_xor_b32 s2, s2, s6
	s_sub_i32 s9, s2, s6
	s_clause 0x1
	s_load_b512 s[16:31], s[0:1], 0x0
	s_load_b64 s[2:3], s[0:1], 0xb8
	s_abs_i32 s8, s9
	s_delay_alu instid0(SALU_CYCLE_1) | instskip(NEXT) | instid1(VALU_DEP_1)
	v_cvt_f32_u32_e32 v1, s8
	v_rcp_iflag_f32_e32 v1, v1
	s_waitcnt_depctr 0xfff
	v_mul_f32_e32 v1, 0x4f7ffffe, v1
	s_waitcnt lgkmcnt(0)
	s_cmp_eq_u64 s[22:23], 0
	s_delay_alu instid0(VALU_DEP_1) | instskip(NEXT) | instid1(VALU_DEP_1)
	v_cvt_u32_f32_e32 v1, v1
	v_readfirstlane_b32 s10, v1
	s_cbranch_scc1 .LBB21_2
; %bb.1:
	s_abs_i32 s2, s2
	s_abs_i32 s11, s33
	v_cvt_f32_u32_e32 v1, s2
	s_sub_i32 s7, 0, s2
	s_delay_alu instid0(VALU_DEP_1) | instskip(SKIP_2) | instid1(VALU_DEP_1)
	v_rcp_iflag_f32_e32 v1, v1
	s_waitcnt_depctr 0xfff
	v_mul_f32_e32 v1, 0x4f7ffffe, v1
	v_cvt_u32_f32_e32 v1, v1
	s_delay_alu instid0(VALU_DEP_1) | instskip(NEXT) | instid1(VALU_DEP_1)
	v_readfirstlane_b32 s6, v1
	s_mul_i32 s7, s7, s6
	s_delay_alu instid0(SALU_CYCLE_1) | instskip(NEXT) | instid1(SALU_CYCLE_1)
	s_mul_hi_u32 s7, s6, s7
	s_add_i32 s12, s6, s7
	s_load_b64 s[6:7], s[0:1], 0xc8
	s_mul_hi_u32 s12, s11, s12
	s_delay_alu instid0(SALU_CYCLE_1) | instskip(NEXT) | instid1(SALU_CYCLE_1)
	s_mul_i32 s12, s12, s2
	s_sub_i32 s11, s11, s12
	s_ashr_i32 s12, s33, 31
	s_sub_i32 s15, s11, s2
	s_cmp_ge_u32 s11, s2
	s_cselect_b32 s11, s15, s11
	s_delay_alu instid0(SALU_CYCLE_1) | instskip(SKIP_2) | instid1(SALU_CYCLE_1)
	s_sub_i32 s15, s11, s2
	s_cmp_ge_u32 s11, s2
	s_cselect_b32 s2, s15, s11
	s_xor_b32 s2, s2, s12
	s_delay_alu instid0(SALU_CYCLE_1)
	s_sub_i32 s2, s2, s12
	s_waitcnt lgkmcnt(0)
	s_mul_i32 s7, s2, s7
	s_mul_hi_u32 s11, s2, s6
	s_ashr_i32 s12, s2, 31
	s_add_i32 s7, s11, s7
	s_mul_i32 s12, s12, s6
	s_mul_i32 s2, s2, s6
	s_add_i32 s7, s7, s12
	s_add_u32 s40, s22, s2
	s_addc_u32 s41, s23, s7
.LBB21_2:
	v_bfe_u32 v6, v0, 10, 10
	v_and_b32_e32 v13, 0x3ff, v0
	s_sub_i32 s22, s4, s5
	s_delay_alu instid0(VALU_DEP_2) | instskip(NEXT) | instid1(VALU_DEP_2)
	v_lshl_add_u32 v14, s13, 3, v6
	v_cmp_gt_u32_e64 s2, 20, v13
	v_lshlrev_b32_e32 v12, 1, v13
	s_delay_alu instid0(VALU_DEP_3) | instskip(NEXT) | instid1(VALU_DEP_1)
	v_mul_hi_u32 v1, s36, v14
	v_add_nc_u32_e32 v1, v14, v1
	s_delay_alu instid0(VALU_DEP_1) | instskip(NEXT) | instid1(VALU_DEP_1)
	v_lshrrev_b32_e32 v1, s37, v1
	v_mul_lo_u32 v1, v1, s38
	s_delay_alu instid0(VALU_DEP_1)
	v_sub_nc_u32_e32 v7, v14, v1
	s_and_saveexec_b32 s11, s2
	s_cbranch_execz .LBB21_4
; %bb.3:
	s_load_b128 s[4:7], s[0:1], 0x70
	s_waitcnt lgkmcnt(0)
	s_mul_i32 s6, s33, s6
	s_mul_i32 s7, s22, s5
	s_ashr_i32 s12, s6, 31
	s_add_u32 s6, s16, s6
	s_addc_u32 s12, s17, s12
	s_ashr_i32 s15, s7, 31
	s_add_u32 s6, s6, s7
	s_addc_u32 s12, s12, s15
	s_ashr_i32 s7, s4, 31
	s_delay_alu instid0(SALU_CYCLE_1) | instskip(SKIP_2) | instid1(SALU_CYCLE_1)
	v_alignbit_b32 v2, s7, s4, 2
	s_lshr_b32 s4, s7, 2
	s_ashr_i32 s7, s5, 31
	v_alignbit_b32 v4, s7, s5, 2
	s_delay_alu instid0(VALU_DEP_2) | instskip(NEXT) | instid1(VALU_DEP_1)
	v_mad_u64_u32 v[0:1], null, v2, v7, 0
	v_mad_u64_u32 v[2:3], null, s4, v7, v[1:2]
	s_delay_alu instid0(VALU_DEP_1) | instskip(NEXT) | instid1(VALU_DEP_1)
	v_dual_mov_b32 v1, v2 :: v_dual_lshlrev_b32 v2, 2, v12
	v_lshlrev_b64 v[0:1], 2, v[0:1]
	s_delay_alu instid0(VALU_DEP_1) | instskip(NEXT) | instid1(VALU_DEP_2)
	v_add_co_u32 v0, vcc_lo, s6, v0
	v_add_co_ci_u32_e32 v1, vcc_lo, s12, v1, vcc_lo
	s_mov_b32 s6, s5
	s_delay_alu instid0(VALU_DEP_2) | instskip(NEXT) | instid1(VALU_DEP_2)
	v_add_co_u32 v0, vcc_lo, v0, v2
	v_add_co_ci_u32_e32 v1, vcc_lo, 0, v1, vcc_lo
	s_and_b32 s12, s5, -4
	s_lshr_b64 s[4:5], s[6:7], 2
	s_lshr_b32 s6, s7, 2
	s_delay_alu instid0(VALU_DEP_1) | instskip(SKIP_4) | instid1(VALU_DEP_4)
	v_mad_u64_u32 v[2:3], null, v4, 12, v[0:1]
	v_add_co_u32 v8, vcc_lo, v0, s12
	s_lshl_b64 s[4:5], s[4:5], 3
	v_add_co_ci_u32_e32 v9, vcc_lo, s7, v1, vcc_lo
	v_add_co_u32 v10, vcc_lo, v0, s4
	v_mad_u64_u32 v[4:5], null, s6, 12, v[3:4]
	v_add_co_ci_u32_e32 v11, vcc_lo, s5, v1, vcc_lo
	s_load_b32 s4, s[0:1], 0x40
	s_delay_alu instid0(VALU_DEP_2)
	v_mov_b32_e32 v3, v4
	s_clause 0x3
	global_load_b64 v[0:1], v[0:1], off
	global_load_b64 v[4:5], v[8:9], off
	;; [unrolled: 1-line block ×4, first 2 shown]
	v_mul_u32_u24_e32 v10, 0x50, v6
	s_delay_alu instid0(VALU_DEP_1)
	v_add_lshl_u32 v10, v10, v13, 2
	s_waitcnt vmcnt(3) lgkmcnt(0)
	v_fma_mixlo_f16 v0, v0, s4, 0
	s_waitcnt vmcnt(2)
	v_fma_mixlo_f16 v4, v4, s4, 0
	s_waitcnt vmcnt(1)
	v_fma_mixlo_f16 v8, v8, s4, 0
	s_waitcnt vmcnt(0)
	v_fma_mixlo_f16 v2, v2, s4, 0
	v_fma_mixhi_f16 v0, v1, s4, 0
	v_fma_mixhi_f16 v4, v5, s4, 0
	v_add_nc_u32_e32 v1, 0xc00, v10
	v_fma_mixhi_f16 v8, v9, s4, 0
	v_fma_mixhi_f16 v2, v3, s4, 0
	ds_store_2addr_b32 v1, v0, v4 offset0:24 offset1:44
	ds_store_2addr_b32 v1, v8, v2 offset0:64 offset1:84
.LBB21_4:
	s_or_b32 exec_lo, exec_lo, s11
	s_cmp_eq_u64 s[26:27], 0
	s_waitcnt lgkmcnt(0)
	s_barrier
	buffer_gl0_inv
	s_cbranch_scc1 .LBB21_6
; %bb.5:
	s_load_b32 s4, s[0:1], 0xd0
	s_mov_b32 s5, 0
	s_waitcnt lgkmcnt(0)
	s_mul_i32 s4, s4, s33
	s_delay_alu instid0(SALU_CYCLE_1) | instskip(NEXT) | instid1(SALU_CYCLE_1)
	s_add_i32 s4, s4, s13
	s_lshl_b64 s[4:5], s[4:5], 2
	s_delay_alu instid0(SALU_CYCLE_1)
	s_add_u32 s4, s26, s4
	s_addc_u32 s5, s27, s5
	s_load_b32 s34, s[4:5], 0x0
.LBB21_6:
	v_mbcnt_lo_u32_b32 v11, -1, 0
	s_lshl_b32 s13, s14, 5
	s_waitcnt lgkmcnt(0)
	s_cmp_lt_i32 s13, s34
	s_cbranch_scc1 .LBB21_8
; %bb.7:
	v_mbcnt_lo_u32_b32 v4, -1, 0
	v_mov_b32_e32 v21, 32
	s_mov_b32 s4, 0
	s_mov_b32 s5, 0xfeffffff
	s_delay_alu instid0(VALU_DEP_2)
	v_xor_b32_e32 v26, 16, v4
	v_xor_b32_e32 v25, 8, v4
	;; [unrolled: 1-line block ×5, first 2 shown]
	s_branch .LBB21_9
.LBB21_8:
	s_mov_b32 s4, -1
                                        ; implicit-def: $sgpr5
                                        ; implicit-def: $vgpr4
                                        ; implicit-def: $vgpr21
                                        ; implicit-def: $vgpr26
                                        ; implicit-def: $vgpr25
                                        ; implicit-def: $vgpr24
                                        ; implicit-def: $vgpr23
                                        ; implicit-def: $vgpr22
.LBB21_9:
	s_delay_alu instid0(SALU_CYCLE_1) | instskip(SKIP_2) | instid1(VALU_DEP_3)
	v_cndmask_b32_e64 v0, 0, 1, s4
	v_dual_mov_b32 v3, s5 :: v_dual_mov_b32 v20, s4
	v_dual_mov_b32 v45, s4 :: v_dual_mov_b32 v2, s5
	v_cmp_ne_u32_e32 vcc_lo, 1, v0
	v_dual_mov_b32 v1, s5 :: v_dual_mov_b32 v0, s5
	v_dual_mov_b32 v47, s4 :: v_dual_mov_b32 v46, s4
	;; [unrolled: 1-line block ×4, first 2 shown]
	s_cbranch_vccnz .LBB21_22
; %bb.10:
	s_clause 0x1
	s_load_b128 s[4:7], s[0:1], 0x98
	s_load_b64 s[16:17], s[0:1], 0x8c
	s_sub_i32 s11, 0, s8
	s_abs_i32 s12, s22
	s_mul_i32 s11, s11, s10
	s_ashr_i32 s35, s22, 31
	s_mul_hi_u32 s11, s10, s11
	s_ashr_i32 s9, s9, 31
	s_add_i32 s10, s10, s11
	s_ashr_i32 s11, s3, 1
	s_mul_hi_u32 s3, s12, s10
	s_ashr_i32 s10, s33, 31
	s_load_b64 s[26:27], s[0:1], 0xa8
	s_mul_i32 s36, s3, s8
	v_lshrrev_b32_e32 v0, 2, v13
	v_lshlrev_b32_e32 v27, 2, v13
	v_lshl_add_u32 v8, v6, 5, v13
	v_mov_b32_e32 v17, 0
	v_lshl_add_u32 v32, v6, 8, 0x1660
	v_lshl_add_u32 v16, v6, 3, v0
	s_waitcnt lgkmcnt(0)
	s_ashr_i32 s15, s6, 2
	s_mul_i32 s5, s33, s5
	s_mul_hi_u32 s6, s33, s4
	s_ashr_i32 s23, s16, 2
	s_mul_i32 s16, s10, s4
	s_add_i32 s5, s6, s5
	s_mul_i32 s4, s33, s4
	s_add_i32 s5, s5, s16
	s_add_u32 s4, s18, s4
	s_addc_u32 s5, s19, s5
	s_xor_b32 s6, s35, s9
	s_sub_i32 s9, s12, s36
	s_add_i32 s12, s3, 1
	s_sub_i32 s16, s9, s8
	s_cmp_ge_u32 s9, s8
	v_and_b32_e32 v18, 12, v27
	s_cselect_b32 s3, s12, s3
	s_cselect_b32 s9, s16, s9
	s_add_i32 s12, s3, 1
	s_cmp_ge_u32 s9, s8
	v_mul_lo_u32 v0, s23, v16
	s_cselect_b32 s3, s12, s3
	v_mul_lo_u32 v2, s23, v8
	s_xor_b32 s3, s3, s6
	v_mul_lo_u32 v9, s15, v8
	s_sub_i32 s3, s3, s6
	v_mul_lo_u32 v15, s15, v16
	s_mul_i32 s6, s3, s17
	s_mul_i32 s8, s33, s27
	s_mul_hi_u32 s9, s33, s26
	s_ashr_i32 s16, s6, 31
	s_add_u32 s18, s4, s6
	s_mul_i32 s10, s10, s26
	s_addc_u32 s19, s5, s16
	s_add_i32 s4, s9, s8
	v_lshlrev_b32_e32 v19, 2, v18
	v_dual_mov_b32 v41, 0xfeffffff :: v_dual_lshlrev_b32 v20, 3, v13
	s_mul_i32 s12, s33, s26
	s_mul_i32 s3, s3, s7
	s_add_i32 s4, s4, s10
	s_add_u32 s5, s20, s12
	s_addc_u32 s4, s21, s4
	s_ashr_i32 s6, s3, 31
	s_add_u32 s20, s5, s3
	v_cmp_gt_u32_e64 s3, 32, v16
	v_ashrrev_i32_e32 v1, 31, v0
	v_ashrrev_i32_e32 v3, 31, v2
	;; [unrolled: 1-line block ×3, first 2 shown]
	v_dual_mov_b32 v44, 0xfeffffff :: v_dual_add_nc_u32 v35, v32, v20
	v_mov_b32_e32 v20, 0
	v_mad_u32_u24 v30, 0x60, v16, v19
	v_mad_u32_u24 v34, 0x50, v16, v19
	v_ashrrev_i32_e32 v16, 31, v15
	v_mad_u64_u32 v[4:5], null, v7, s11, v[13:14]
	v_cmp_gt_u32_e32 vcc_lo, 32, v8
	v_mul_u32_u24_e32 v29, 0x140, v6
	v_mad_u32_u24 v31, 0x60, v8, 64
	v_mad_u32_u24 v33, 0x50, v8, 64
	v_lshlrev_b64 v[5:6], 2, v[2:3]
	v_lshlrev_b64 v[7:8], 2, v[0:1]
	;; [unrolled: 1-line block ×4, first 2 shown]
	v_mul_u32_u24_e32 v28, 0x60, v13
	v_dual_mov_b32 v21, 32 :: v_dual_lshlrev_b32 v36, 2, v18
	v_xor_b32_e32 v26, 16, v11
	v_xor_b32_e32 v25, 8, v11
	;; [unrolled: 1-line block ×5, first 2 shown]
	v_dual_mov_b32 v18, 0 :: v_dual_mov_b32 v19, 0
	v_dual_mov_b32 v42, 0xfeffffff :: v_dual_mov_b32 v43, 0xfeffffff
	;; [unrolled: 1-line block ×4, first 2 shown]
	s_addc_u32 s21, s4, s6
	s_add_u32 s16, s0, 0xd0
	s_addc_u32 s17, s1, 0
.LBB21_11:                              ; =>This Inner Loop Header: Depth=1
	s_mul_hi_i32 s5, s13, s23
	s_mul_i32 s4, s13, s23
	s_delay_alu instid0(SALU_CYCLE_1) | instskip(NEXT) | instid1(SALU_CYCLE_1)
	s_lshl_b64 s[6:7], s[4:5], 2
	s_add_u32 s5, s18, s6
	s_addc_u32 s6, s19, s7
	s_and_saveexec_b32 s7, vcc_lo
	s_cbranch_execz .LBB21_13
; %bb.12:                               ;   in Loop: Header=BB21_11 Depth=1
	v_add_co_u32 v0, s4, s5, v5
	s_delay_alu instid0(VALU_DEP_1)
	v_add_co_ci_u32_e64 v1, s4, s6, v6, s4
	global_load_b128 v[0:3], v[0:1], off offset:64
	s_waitcnt vmcnt(0)
	ds_store_b128 v31, v[0:3]
.LBB21_13:                              ;   in Loop: Header=BB21_11 Depth=1
	s_or_b32 exec_lo, exec_lo, s7
	s_and_saveexec_b32 s7, s3
	s_cbranch_execz .LBB21_15
; %bb.14:                               ;   in Loop: Header=BB21_11 Depth=1
	v_add_co_u32 v0, s4, s5, v7
	s_delay_alu instid0(VALU_DEP_1) | instskip(NEXT) | instid1(VALU_DEP_2)
	v_add_co_ci_u32_e64 v1, s4, s6, v8, s4
	v_add_co_u32 v0, s4, v0, v36
	s_delay_alu instid0(VALU_DEP_1)
	v_add_co_ci_u32_e64 v1, s4, 0, v1, s4
	global_load_b128 v[0:3], v[0:1], off
	s_waitcnt vmcnt(0)
	ds_store_b128 v30, v[0:3]
.LBB21_15:                              ;   in Loop: Header=BB21_11 Depth=1
	s_or_b32 exec_lo, exec_lo, s7
	s_waitcnt lgkmcnt(0)
	s_barrier
	buffer_gl0_inv
	ds_load_b128 v[0:3], v28
	ds_load_b128 v[45:48], v29 offset:3168
	ds_load_b128 v[49:52], v29 offset:3248
	;; [unrolled: 1-line block ×4, first 2 shown]
	v_dual_mov_b32 v63, 0 :: v_dual_mov_b32 v64, 0
	v_dual_mov_b32 v65, 0 :: v_dual_mov_b32 v66, 0
	s_mul_hi_i32 s27, s13, s15
	s_mul_i32 s26, s13, s15
	s_waitcnt lgkmcnt(3)
	;;#ASMSTART
	v_dot2_f32_f16 v63, v0, v45, v63
	;;#ASMEND
	;;#ASMSTART
	v_dot2_f32_f16 v63, v1, v46, v63
	;;#ASMEND
	;;#ASMSTART
	v_dot2_f32_f16 v63, v2, v47, v63
	;;#ASMEND
	;;#ASMSTART
	v_dot2_f32_f16 v63, v3, v48, v63
	;;#ASMEND
	s_waitcnt lgkmcnt(2)
	;;#ASMSTART
	v_dot2_f32_f16 v64, v0, v49, v64
	;;#ASMEND
	;;#ASMSTART
	v_dot2_f32_f16 v64, v1, v50, v64
	;;#ASMEND
	;;#ASMSTART
	v_dot2_f32_f16 v64, v2, v51, v64
	;;#ASMEND
	;;#ASMSTART
	v_dot2_f32_f16 v64, v3, v52, v64
	;;#ASMEND
	;; [unrolled: 13-line block ×4, first 2 shown]
	ds_load_b128 v[0:3], v28 offset:16
	ds_load_b128 v[45:48], v29 offset:3184
	;; [unrolled: 1-line block ×5, first 2 shown]
	s_lshl_b64 s[26:27], s[26:27], 2
	s_waitcnt lgkmcnt(3)
	;;#ASMSTART
	v_dot2_f32_f16 v63, v0, v45, v63
	;;#ASMEND
	;;#ASMSTART
	v_dot2_f32_f16 v63, v1, v46, v63
	;;#ASMEND
	;;#ASMSTART
	v_dot2_f32_f16 v63, v2, v47, v63
	;;#ASMEND
	;;#ASMSTART
	v_dot2_f32_f16 v63, v3, v48, v63
	;;#ASMEND
	s_waitcnt lgkmcnt(2)
	;;#ASMSTART
	v_dot2_f32_f16 v64, v0, v49, v64
	;;#ASMEND
	;;#ASMSTART
	v_dot2_f32_f16 v64, v1, v50, v64
	;;#ASMEND
	;;#ASMSTART
	v_dot2_f32_f16 v64, v2, v51, v64
	;;#ASMEND
	;;#ASMSTART
	v_dot2_f32_f16 v64, v3, v52, v64
	;;#ASMEND
	;; [unrolled: 13-line block ×4, first 2 shown]
	ds_load_b128 v[0:3], v28 offset:32
	ds_load_b128 v[45:48], v29 offset:3200
	;; [unrolled: 1-line block ×5, first 2 shown]
	s_add_u32 s26, s20, s26
	s_addc_u32 s27, s21, s27
	s_waitcnt lgkmcnt(3)
	;;#ASMSTART
	v_dot2_f32_f16 v63, v0, v45, v63
	;;#ASMEND
	;;#ASMSTART
	v_dot2_f32_f16 v63, v1, v46, v63
	;;#ASMEND
	;;#ASMSTART
	v_dot2_f32_f16 v63, v2, v47, v63
	;;#ASMEND
	;;#ASMSTART
	v_dot2_f32_f16 v63, v3, v48, v63
	;;#ASMEND
	s_waitcnt lgkmcnt(2)
	;;#ASMSTART
	v_dot2_f32_f16 v64, v0, v49, v64
	;;#ASMEND
	;;#ASMSTART
	v_dot2_f32_f16 v64, v1, v50, v64
	;;#ASMEND
	;;#ASMSTART
	v_dot2_f32_f16 v64, v2, v51, v64
	;;#ASMEND
	;;#ASMSTART
	v_dot2_f32_f16 v64, v3, v52, v64
	;;#ASMEND
	;; [unrolled: 13-line block ×4, first 2 shown]
	ds_load_b128 v[0:3], v28 offset:48
	ds_load_b128 v[45:48], v29 offset:3216
	;; [unrolled: 1-line block ×5, first 2 shown]
	s_waitcnt lgkmcnt(3)
	;;#ASMSTART
	v_dot2_f32_f16 v63, v0, v45, v63
	;;#ASMEND
	;;#ASMSTART
	v_dot2_f32_f16 v63, v1, v46, v63
	;;#ASMEND
	;;#ASMSTART
	v_dot2_f32_f16 v63, v2, v47, v63
	;;#ASMEND
	;;#ASMSTART
	v_dot2_f32_f16 v63, v3, v48, v63
	;;#ASMEND
	s_waitcnt lgkmcnt(2)
	;;#ASMSTART
	v_dot2_f32_f16 v64, v0, v49, v64
	;;#ASMEND
	;;#ASMSTART
	v_dot2_f32_f16 v64, v1, v50, v64
	;;#ASMEND
	;;#ASMSTART
	v_dot2_f32_f16 v64, v2, v51, v64
	;;#ASMEND
	;;#ASMSTART
	v_dot2_f32_f16 v64, v3, v52, v64
	;;#ASMEND
	;; [unrolled: 13-line block ×4, first 2 shown]
	ds_load_b128 v[0:3], v28 offset:64
	ds_load_b128 v[45:48], v29 offset:3232
	v_add_nc_u32_e32 v57, s13, v4
	ds_load_b128 v[49:52], v29 offset:3312
	ds_load_b128 v[53:56], v29 offset:3392
	v_ashrrev_i32_e32 v58, 31, v57
	s_delay_alu instid0(VALU_DEP_1)
	v_lshlrev_b64 v[61:62], 1, v[57:58]
	ds_load_b128 v[57:60], v29 offset:3472
	s_waitcnt lgkmcnt(3)
	;;#ASMSTART
	v_dot2_f32_f16 v63, v0, v45, v63
	;;#ASMEND
	;;#ASMSTART
	v_dot2_f32_f16 v63, v1, v46, v63
	;;#ASMEND
	;; [unrolled: 3-line block ×4, first 2 shown]
	s_waitcnt lgkmcnt(2)
	;;#ASMSTART
	v_dot2_f32_f16 v64, v0, v49, v64
	;;#ASMEND
	;;#ASMSTART
	v_dot2_f32_f16 v64, v1, v50, v64
	;;#ASMEND
	v_add_co_u32 v61, s4, s40, v61
	;;#ASMSTART
	v_dot2_f32_f16 v64, v2, v51, v64
	;;#ASMEND
	;;#ASMSTART
	v_dot2_f32_f16 v64, v3, v52, v64
	;;#ASMEND
	s_waitcnt lgkmcnt(1)
	;;#ASMSTART
	v_dot2_f32_f16 v65, v0, v53, v65
	;;#ASMEND
	v_add_co_ci_u32_e64 v62, s4, s41, v62, s4
	;;#ASMSTART
	v_dot2_f32_f16 v65, v1, v54, v65
	;;#ASMEND
	;;#ASMSTART
	v_dot2_f32_f16 v65, v2, v55, v65
	;;#ASMEND
	;; [unrolled: 3-line block ×3, first 2 shown]
	s_waitcnt lgkmcnt(0)
	;;#ASMSTART
	v_dot2_f32_f16 v66, v0, v57, v66
	;;#ASMEND
	;;#ASMSTART
	v_dot2_f32_f16 v66, v1, v58, v66
	;;#ASMEND
	;; [unrolled: 3-line block ×4, first 2 shown]
	flat_load_u16 v0, v[61:62]
	v_cmp_gt_i32_e64 s4, 32, v26
	v_max_f32_e32 v2, v43, v43
	s_waitcnt vmcnt(0) lgkmcnt(0)
	s_barrier
	buffer_gl0_inv
	v_cndmask_b32_e64 v1, v11, v26, s4
	v_cmp_gt_i32_e64 s4, 32, v25
	s_delay_alu instid0(VALU_DEP_2) | instskip(SKIP_2) | instid1(VALU_DEP_2)
	v_lshlrev_b32_e32 v1, 2, v1
	v_cvt_f32_f16_e32 v0, v0
	v_max_f32_e32 v3, v41, v41
	v_dual_max_f32 v45, v42, v42 :: v_dual_add_f32 v48, v64, v0
	v_add_f32_e32 v46, v63, v0
	v_add_f32_e32 v50, v66, v0
	v_max_f32_e32 v47, v44, v44
	s_delay_alu instid0(VALU_DEP_3) | instskip(NEXT) | instid1(VALU_DEP_1)
	v_dual_add_f32 v51, v65, v0 :: v_dual_add_f32 v0, 0x40051340, v46
	v_dual_add_f32 v52, 0x40051340, v50 :: v_dual_add_f32 v53, 0x40051340, v51
	s_delay_alu instid0(VALU_DEP_2) | instskip(NEXT) | instid1(VALU_DEP_2)
	v_max_f32_e32 v0, v3, v0
	v_max_f32_e32 v3, v45, v52
	ds_bpermute_b32 v52, v1, v3
	v_max_f32_e32 v45, v47, v53
	ds_bpermute_b32 v47, v1, v0
	v_cndmask_b32_e64 v53, v11, v25, s4
	v_cmp_gt_i32_e64 s4, 32, v24
	s_waitcnt lgkmcnt(0)
	v_dual_max_f32 v52, v52, v52 :: v_dual_max_f32 v47, v47, v47
	v_add_f32_e32 v49, 0x40051340, v48
	s_delay_alu instid0(VALU_DEP_2) | instskip(NEXT) | instid1(VALU_DEP_2)
	v_dual_max_f32 v3, v3, v52 :: v_dual_max_f32 v0, v0, v47
	v_max_f32_e32 v2, v2, v49
	ds_bpermute_b32 v49, v1, v2
	ds_bpermute_b32 v1, v1, v45
	s_waitcnt lgkmcnt(1)
	v_max_f32_e32 v49, v49, v49
	s_delay_alu instid0(VALU_DEP_1) | instskip(SKIP_4) | instid1(VALU_DEP_1)
	v_max_f32_e32 v2, v2, v49
	v_lshlrev_b32_e32 v53, 2, v53
	ds_bpermute_b32 v47, v53, v2
	s_waitcnt lgkmcnt(0)
	v_max_f32_e32 v47, v47, v47
	v_dual_max_f32 v2, v2, v47 :: v_dual_max_f32 v1, v1, v1
	ds_bpermute_b32 v49, v53, v3
	v_max_f32_e32 v1, v45, v1
	ds_bpermute_b32 v45, v53, v0
	ds_bpermute_b32 v52, v53, v1
	v_cndmask_b32_e64 v53, v11, v24, s4
	v_cmp_gt_i32_e64 s4, 32, v23
	s_delay_alu instid0(VALU_DEP_2) | instskip(SKIP_4) | instid1(VALU_DEP_1)
	v_lshlrev_b32_e32 v53, 2, v53
	ds_bpermute_b32 v47, v53, v2
	s_waitcnt lgkmcnt(3)
	v_max_f32_e32 v49, v49, v49
	s_waitcnt lgkmcnt(1)
	v_dual_max_f32 v3, v3, v49 :: v_dual_max_f32 v52, v52, v52
	ds_bpermute_b32 v49, v53, v3
	s_waitcnt lgkmcnt(1)
	v_max_f32_e32 v47, v47, v47
	s_delay_alu instid0(VALU_DEP_1) | instskip(NEXT) | instid1(VALU_DEP_1)
	v_dual_max_f32 v2, v2, v47 :: v_dual_max_f32 v45, v45, v45
	v_max_f32_e32 v0, v0, v45
	s_waitcnt lgkmcnt(0)
	v_max_f32_e32 v49, v49, v49
	ds_bpermute_b32 v45, v53, v0
	v_max_f32_e32 v3, v3, v49
	s_waitcnt lgkmcnt(0)
	v_max_f32_e32 v45, v45, v45
	s_delay_alu instid0(VALU_DEP_1) | instskip(SKIP_3) | instid1(VALU_DEP_2)
	v_dual_max_f32 v1, v1, v52 :: v_dual_max_f32 v0, v0, v45
	ds_bpermute_b32 v52, v53, v1
	v_cndmask_b32_e64 v53, v11, v23, s4
	v_cmp_gt_i32_e64 s4, 32, v22
	v_lshlrev_b32_e32 v53, 2, v53
	ds_bpermute_b32 v45, v53, v0
	ds_bpermute_b32 v47, v53, v2
	;; [unrolled: 1-line block ×3, first 2 shown]
	s_waitcnt lgkmcnt(3)
	v_max_f32_e32 v52, v52, v52
	s_delay_alu instid0(VALU_DEP_1)
	v_max_f32_e32 v1, v1, v52
	ds_bpermute_b32 v52, v53, v1
	v_cndmask_b32_e64 v53, v11, v22, s4
	s_waitcnt lgkmcnt(3)
	v_max_f32_e32 v45, v45, v45
	s_waitcnt lgkmcnt(1)
	v_max_f32_e32 v49, v49, v49
	v_lshlrev_b32_e32 v53, 2, v53
	s_delay_alu instid0(VALU_DEP_3) | instskip(SKIP_2) | instid1(VALU_DEP_1)
	v_max_f32_e32 v0, v0, v45
	s_waitcnt lgkmcnt(0)
	v_max_f32_e32 v52, v52, v52
	v_max_f32_e32 v45, v1, v52
	ds_bpermute_b32 v1, v53, v0
	ds_bpermute_b32 v52, v53, v45
	s_waitcnt lgkmcnt(1)
	v_max_f32_e32 v1, v1, v1
	s_waitcnt lgkmcnt(0)
	v_dual_max_f32 v47, v47, v47 :: v_dual_max_f32 v52, v52, v52
	s_delay_alu instid0(VALU_DEP_2) | instskip(NEXT) | instid1(VALU_DEP_2)
	v_max_f32_e32 v0, v0, v1
	v_max_f32_e32 v2, v2, v47
	ds_bpermute_b32 v47, v53, v2
	s_waitcnt lgkmcnt(0)
	v_max_f32_e32 v47, v47, v47
	s_delay_alu instid0(VALU_DEP_1) | instskip(NEXT) | instid1(VALU_DEP_1)
	v_dual_max_f32 v1, v2, v47 :: v_dual_max_f32 v2, v45, v52
	v_dual_sub_f32 v52, v46, v0 :: v_dual_sub_f32 v45, v48, v1
	s_delay_alu instid0(VALU_DEP_1) | instskip(SKIP_1) | instid1(VALU_DEP_2)
	v_dual_sub_f32 v47, v51, v2 :: v_dual_mul_f32 v48, 0x3fb8aa3b, v52
	v_sub_f32_e32 v43, v43, v1
	v_dual_mul_f32 v46, 0x3fb8aa3b, v45 :: v_dual_mul_f32 v51, 0x3fb8aa3b, v47
	s_delay_alu instid0(VALU_DEP_3) | instskip(SKIP_2) | instid1(VALU_DEP_4)
	v_fma_f32 v55, 0x3fb8aa3b, v52, -v48
	v_rndne_f32_e32 v56, v48
	v_cmp_ngt_f32_e64 s8, 0xc2ce8ed0, v45
	v_rndne_f32_e32 v54, v46
	v_fma_f32 v59, 0x3fb8aa3b, v47, -v51
	v_fmac_f32_e32 v55, 0x32a5705f, v52
	v_dual_sub_f32 v48, v48, v56 :: v_dual_max_f32 v3, v3, v49
	v_rndne_f32_e32 v60, v51
	s_delay_alu instid0(VALU_DEP_4) | instskip(SKIP_1) | instid1(VALU_DEP_4)
	v_fmac_f32_e32 v59, 0x32a5705f, v47
	v_cmp_ngt_f32_e64 s6, 0xc2ce8ed0, v43
	v_add_f32_e32 v48, v48, v55
	ds_bpermute_b32 v49, v53, v3
	v_fma_f32 v53, 0x3fb8aa3b, v45, -v46
	v_dual_sub_f32 v46, v46, v54 :: v_dual_sub_f32 v51, v51, v60
	v_exp_f32_e32 v48, v48
	v_cmp_nlt_f32_e64 s7, 0x42b17218, v43
	s_delay_alu instid0(VALU_DEP_3) | instskip(NEXT) | instid1(VALU_DEP_1)
	v_fmac_f32_e32 v53, 0x32a5705f, v45
	v_dual_add_f32 v51, v51, v59 :: v_dual_add_f32 v46, v46, v53
	v_cvt_i32_f32_e32 v53, v54
	v_cvt_i32_f32_e32 v54, v56
	s_delay_alu instid0(VALU_DEP_3)
	v_exp_f32_e32 v51, v51
	v_cvt_i32_f32_e32 v56, v60
	v_exp_f32_e32 v46, v46
	s_delay_alu instid0(TRANS32_DEP_3) | instid1(VALU_DEP_2)
	v_ldexp_f32 v48, v48, v54
	s_waitcnt lgkmcnt(0)
	v_max_f32_e32 v49, v49, v49
	s_waitcnt_depctr 0xfff
	v_ldexp_f32 v51, v51, v56
	v_max_f32_e32 v3, v3, v49
	v_sub_f32_e32 v49, v41, v0
	v_sub_f32_e32 v41, v44, v2
	v_ldexp_f32 v46, v46, v53
	s_delay_alu instid0(VALU_DEP_4) | instskip(SKIP_2) | instid1(VALU_DEP_4)
	v_sub_f32_e32 v44, v50, v3
	v_sub_f32_e32 v42, v42, v3
	v_cmp_ngt_f32_e64 s4, 0xc2ce8ed0, v49
	v_cndmask_b32_e64 v46, 0, v46, s8
	v_cmp_ngt_f32_e64 s8, 0xc2ce8ed0, v52
	v_mul_f32_e32 v50, 0x3fb8aa3b, v44
	v_cmp_nlt_f32_e64 s5, 0x42b17218, v49
	v_cmp_nlt_f32_e64 s9, 0x42b17218, v41
	v_cmp_ngt_f32_e64 s11, 0xc2ce8ed0, v42
	v_cndmask_b32_e64 v48, 0, v48, s8
	v_fma_f32 v57, 0x3fb8aa3b, v44, -v50
	v_rndne_f32_e32 v58, v50
	v_cmp_ngt_f32_e64 s8, 0xc2ce8ed0, v44
	v_cmp_nlt_f32_e64 s10, 0x42b17218, v42
	s_delay_alu instid0(VALU_DEP_3) | instskip(SKIP_1) | instid1(VALU_DEP_2)
	v_dual_fmac_f32 v57, 0x32a5705f, v44 :: v_dual_sub_f32 v50, v50, v58
	v_cvt_i32_f32_e32 v55, v58
	v_add_f32_e32 v50, v50, v57
	s_delay_alu instid0(VALU_DEP_1) | instskip(SKIP_2) | instid1(VALU_DEP_1)
	v_exp_f32_e32 v50, v50
	s_waitcnt_depctr 0xfff
	v_ldexp_f32 v50, v50, v55
	v_cndmask_b32_e64 v50, 0, v50, s8
	v_cmp_ngt_f32_e64 s8, 0xc2ce8ed0, v47
	s_delay_alu instid0(VALU_DEP_1) | instskip(SKIP_1) | instid1(VALU_DEP_1)
	v_cndmask_b32_e64 v51, 0, v51, s8
	v_cmp_nlt_f32_e64 s8, 0x42b17218, v45
	v_cndmask_b32_e64 v46, 0x7f800000, v46, s8
	v_cmp_nlt_f32_e64 s8, 0x42b17218, v44
	s_delay_alu instid0(VALU_DEP_2) | instskip(NEXT) | instid1(VALU_DEP_2)
	v_cvt_f16_f32_e32 v44, v46
	v_cndmask_b32_e64 v45, 0x7f800000, v50, s8
	v_cmp_nlt_f32_e64 s8, 0x42b17218, v47
	s_delay_alu instid0(VALU_DEP_2) | instskip(NEXT) | instid1(VALU_DEP_2)
	v_cvt_f16_f32_e32 v50, v45
	;; [unrolled: 4-line block ×3, first 2 shown]
	v_cndmask_b32_e64 v48, 0x7f800000, v48, s8
	v_cmp_ngt_f32_e64 s8, 0xc2ce8ed0, v41
	s_delay_alu instid0(VALU_DEP_3) | instskip(NEXT) | instid1(VALU_DEP_3)
	v_pack_b32_f16 v51, v51, v50
	v_cvt_f16_f32_e32 v52, v48
	s_delay_alu instid0(VALU_DEP_1)
	v_pack_b32_f16 v50, v52, v44
	ds_store_b64 v35, v[50:51]
	s_and_saveexec_b32 s35, vcc_lo
	s_cbranch_execz .LBB21_17
; %bb.16:                               ;   in Loop: Header=BB21_11 Depth=1
	v_add_co_u32 v50, s12, s26, v9
	s_delay_alu instid0(VALU_DEP_1)
	v_add_co_ci_u32_e64 v51, s12, s27, v10, s12
	global_load_b128 v[50:53], v[50:51], off offset:64
	s_waitcnt vmcnt(0)
	ds_store_b128 v33, v[50:53]
.LBB21_17:                              ;   in Loop: Header=BB21_11 Depth=1
	s_or_b32 exec_lo, exec_lo, s35
	s_and_saveexec_b32 s35, s3
	s_cbranch_execz .LBB21_19
; %bb.18:                               ;   in Loop: Header=BB21_11 Depth=1
	v_add_co_u32 v44, s12, s26, v15
	s_delay_alu instid0(VALU_DEP_1) | instskip(NEXT) | instid1(VALU_DEP_2)
	v_add_co_ci_u32_e64 v51, s12, s27, v16, s12
	v_add_co_u32 v50, s12, v44, v36
	s_delay_alu instid0(VALU_DEP_1)
	v_add_co_ci_u32_e64 v51, s12, 0, v51, s12
	global_load_b128 v[50:53], v[50:51], off
	s_waitcnt vmcnt(0)
	ds_store_b128 v34, v[50:53]
.LBB21_19:                              ;   in Loop: Header=BB21_11 Depth=1
	s_or_b32 exec_lo, exec_lo, s35
	v_mul_f32_e32 v44, 0x3fb8aa3b, v49
	v_dual_mul_f32 v50, 0x3fb8aa3b, v43 :: v_dual_mul_f32 v51, 0x3fb8aa3b, v41
	s_waitcnt lgkmcnt(0)
	s_barrier
	s_delay_alu instid0(VALU_DEP_2) | instskip(SKIP_4) | instid1(VALU_DEP_4)
	v_fma_f32 v53, 0x3fb8aa3b, v49, -v44
	v_rndne_f32_e32 v54, v44
	v_fma_f32 v55, 0x3fb8aa3b, v43, -v50
	v_rndne_f32_e32 v56, v50
	v_fma_f32 v57, 0x3fb8aa3b, v41, -v51
	v_dual_fmac_f32 v53, 0x32a5705f, v49 :: v_dual_sub_f32 v44, v44, v54
	v_mul_f32_e32 v52, 0x3fb8aa3b, v42
	v_rndne_f32_e32 v49, v51
	v_fmac_f32_e32 v55, 0x32a5705f, v43
	buffer_gl0_inv
	v_dual_add_f32 v43, v44, v53 :: v_dual_sub_f32 v44, v50, v56
	v_fma_f32 v58, 0x3fb8aa3b, v42, -v52
	v_rndne_f32_e32 v59, v52
	v_fmac_f32_e32 v57, 0x32a5705f, v41
	v_sub_f32_e32 v41, v51, v49
	v_exp_f32_e32 v50, v43
	v_fmac_f32_e32 v58, 0x32a5705f, v42
	v_sub_f32_e32 v42, v52, v59
	s_delay_alu instid0(VALU_DEP_3) | instskip(SKIP_2) | instid1(VALU_DEP_4)
	v_dual_add_f32 v44, v44, v55 :: v_dual_add_f32 v41, v41, v57
	v_cvt_i32_f32_e32 v51, v54
	v_cvt_i32_f32_e32 v53, v56
	v_add_f32_e32 v42, v42, v58
	s_delay_alu instid0(VALU_DEP_4)
	v_exp_f32_e32 v52, v44
	v_exp_f32_e32 v54, v41
	v_cvt_i32_f32_e32 v56, v59
	v_cvt_i32_f32_e32 v49, v49
	v_exp_f32_e32 v55, v42
	ds_load_2addr_b32 v[57:58], v27 offset1:20
	ds_load_b128 v[41:44], v32
	v_ldexp_f32 v50, v50, v51
	v_ldexp_f32 v51, v52, v53
	;; [unrolled: 1-line block ×3, first 2 shown]
	s_delay_alu instid0(VALU_DEP_3) | instskip(SKIP_1) | instid1(VALU_DEP_4)
	v_cndmask_b32_e64 v50, 0, v50, s4
	v_ldexp_f32 v52, v55, v56
	v_cndmask_b32_e64 v51, 0, v51, s6
	s_delay_alu instid0(VALU_DEP_4) | instskip(NEXT) | instid1(VALU_DEP_4)
	v_cndmask_b32_e64 v49, 0, v49, s8
	v_cndmask_b32_e64 v63, 0x7f800000, v50, s5
	s_delay_alu instid0(VALU_DEP_4) | instskip(NEXT) | instid1(VALU_DEP_4)
	v_cndmask_b32_e64 v52, 0, v52, s11
	;; [unrolled: 3-line block ×3, first 2 shown]
	v_cvt_f16_f32_e32 v53, v63
	v_fmac_f32_e32 v48, v40, v63
	v_cndmask_b32_e64 v65, 0x7f800000, v52, s10
	ds_load_b128 v[49:52], v32 offset:16
	ds_load_2addr_b32 v[59:60], v27 offset0:40 offset1:60
	s_waitcnt lgkmcnt(2)
	v_pk_mul_f16 v55, v57, v41 op_sel_hi:[1,0]
	v_cvt_f16_f32_e32 v56, v64
	v_pk_mul_f16 v41, v57, v41 op_sel:[0,1]
	v_cvt_f16_f32_e32 v54, v65
	v_cvt_f16_f32_e32 v67, v66
	v_pk_mul_f16 v68, v57, v42 op_sel_hi:[1,0]
	v_pk_fma_f16 v20, v53, v20, v55 op_sel_hi:[0,1,1]
	v_pk_fma_f16 v19, v56, v19, v41 op_sel_hi:[0,1,1]
	v_pk_mul_f16 v17, v54, v17 op_sel_hi:[0,1]
	ds_load_2addr_b32 v[61:62], v27 offset0:80 offset1:100
	ds_load_b128 v[53:56], v32 offset:32
	v_pk_fma_f16 v41, v67, v18, v68 op_sel_hi:[0,1,1]
	v_dual_fmac_f32 v47, v38, v66 :: v_dual_fmac_f32 v46, v39, v64
	v_pk_fma_f16 v42, v57, v42, v17 op_sel:[0,1,0]
	v_pk_fma_f16 v57, v58, v43, v20 op_sel_hi:[1,0,1]
	v_pk_fma_f16 v43, v58, v43, v19 op_sel:[0,1,0]
	v_pk_fma_f16 v41, v58, v44, v41 op_sel_hi:[1,0,1]
	ds_load_b128 v[17:20], v32 offset:48
	v_pk_fma_f16 v42, v58, v44, v42 op_sel:[0,1,0]
	s_waitcnt lgkmcnt(3)
	v_pk_fma_f16 v44, v59, v49, v57 op_sel_hi:[1,0,1]
	v_pk_fma_f16 v43, v59, v49, v43 op_sel:[0,1,0]
	ds_load_2addr_b32 v[57:58], v27 offset0:120 offset1:140
	v_pk_fma_f16 v41, v59, v50, v41 op_sel_hi:[1,0,1]
	v_pk_fma_f16 v42, v59, v50, v42 op_sel:[0,1,0]
	v_pk_fma_f16 v44, v60, v51, v44 op_sel_hi:[1,0,1]
	v_pk_fma_f16 v43, v60, v51, v43 op_sel:[0,1,0]
	v_fmac_f32_e32 v45, v37, v65
	v_pk_fma_f16 v49, v60, v52, v41 op_sel_hi:[1,0,1]
	v_pk_fma_f16 v50, v60, v52, v42 op_sel:[0,1,0]
	s_waitcnt lgkmcnt(2)
	v_pk_fma_f16 v51, v61, v53, v44 op_sel_hi:[1,0,1]
	v_pk_fma_f16 v52, v61, v53, v43 op_sel:[0,1,0]
	ds_load_2addr_b32 v[59:60], v27 offset0:160 offset1:180
	ds_load_b128 v[41:44], v32 offset:64
	v_pk_fma_f16 v49, v61, v54, v49 op_sel_hi:[1,0,1]
	v_pk_fma_f16 v50, v61, v54, v50 op_sel:[0,1,0]
	v_pk_fma_f16 v51, v62, v55, v51 op_sel_hi:[1,0,1]
	v_pk_fma_f16 v52, v62, v55, v52 op_sel:[0,1,0]
	s_delay_alu instid0(VALU_DEP_4) | instskip(NEXT) | instid1(VALU_DEP_4)
	v_pk_fma_f16 v55, v62, v56, v49 op_sel_hi:[1,0,1]
	v_pk_fma_f16 v56, v62, v56, v50 op_sel:[0,1,0]
	s_waitcnt lgkmcnt(2)
	v_pk_fma_f16 v61, v57, v17, v51 op_sel_hi:[1,0,1]
	v_pk_fma_f16 v17, v57, v17, v52 op_sel:[0,1,0]
	ds_load_2addr_b32 v[53:54], v27 offset0:200 offset1:220
	ds_load_b128 v[49:52], v32 offset:80
	v_pk_fma_f16 v55, v57, v18, v55 op_sel_hi:[1,0,1]
	v_pk_fma_f16 v18, v57, v18, v56 op_sel:[0,1,0]
	v_pk_fma_f16 v56, v58, v19, v61 op_sel_hi:[1,0,1]
	v_pk_fma_f16 v17, v58, v19, v17 op_sel:[0,1,0]
	v_add_nc_u32_e32 v19, 0x200, v27
	v_pk_fma_f16 v57, v58, v20, v55 op_sel_hi:[1,0,1]
	v_pk_fma_f16 v58, v58, v20, v18 op_sel:[0,1,0]
	s_waitcnt lgkmcnt(2)
	v_pk_fma_f16 v61, v59, v41, v56 op_sel_hi:[1,0,1]
	v_pk_fma_f16 v41, v59, v41, v17 op_sel:[0,1,0]
	ds_load_2addr_b32 v[55:56], v19 offset0:112 offset1:132
	ds_load_b128 v[17:20], v32 offset:96
	v_pk_fma_f16 v57, v59, v42, v57 op_sel_hi:[1,0,1]
	v_pk_fma_f16 v42, v59, v42, v58 op_sel:[0,1,0]
	v_pk_fma_f16 v58, v60, v43, v61 op_sel_hi:[1,0,1]
	v_pk_fma_f16 v41, v60, v43, v41 op_sel:[0,1,0]
	v_add_nc_u32_e32 v59, 0x400, v27
	v_pk_fma_f16 v61, v60, v44, v57 op_sel_hi:[1,0,1]
	v_pk_fma_f16 v60, v60, v44, v42 op_sel:[0,1,0]
	s_waitcnt lgkmcnt(2)
	v_pk_fma_f16 v62, v53, v49, v58 op_sel_hi:[1,0,1]
	v_pk_fma_f16 v49, v53, v49, v41 op_sel:[0,1,0]
	ds_load_2addr_b32 v[57:58], v59 offset0:24 offset1:44
	ds_load_b128 v[41:44], v32 offset:112
	v_pk_fma_f16 v61, v53, v50, v61 op_sel_hi:[1,0,1]
	v_pk_fma_f16 v50, v53, v50, v60 op_sel:[0,1,0]
	v_pk_fma_f16 v53, v54, v51, v62 op_sel_hi:[1,0,1]
	v_pk_fma_f16 v49, v54, v51, v49 op_sel:[0,1,0]
	s_delay_alu instid0(VALU_DEP_4) | instskip(NEXT) | instid1(VALU_DEP_4)
	v_pk_fma_f16 v60, v54, v52, v61 op_sel_hi:[1,0,1]
	v_pk_fma_f16 v61, v54, v52, v50 op_sel:[0,1,0]
	s_waitcnt lgkmcnt(2)
	v_pk_fma_f16 v62, v55, v17, v53 op_sel_hi:[1,0,1]
	v_pk_fma_f16 v17, v55, v17, v49 op_sel:[0,1,0]
	ds_load_2addr_b32 v[53:54], v59 offset0:64 offset1:84
	ds_load_b128 v[49:52], v32 offset:128
	v_pk_fma_f16 v60, v55, v18, v60 op_sel_hi:[1,0,1]
	v_pk_fma_f16 v18, v55, v18, v61 op_sel:[0,1,0]
	v_pk_fma_f16 v55, v56, v19, v62 op_sel_hi:[1,0,1]
	v_pk_fma_f16 v17, v56, v19, v17 op_sel:[0,1,0]
	s_delay_alu instid0(VALU_DEP_4) | instskip(NEXT) | instid1(VALU_DEP_4)
	;; [unrolled: 12-line block ×5, first 2 shown]
	v_pk_fma_f16 v60, v56, v20, v60 op_sel_hi:[1,0,1]
	v_pk_fma_f16 v61, v56, v20, v18 op_sel:[0,1,0]
	s_waitcnt lgkmcnt(2)
	v_pk_fma_f16 v62, v57, v41, v55 op_sel_hi:[1,0,1]
	v_pk_fma_f16 v41, v57, v41, v17 op_sel:[0,1,0]
	ds_load_2addr_b32 v[55:56], v59 offset0:224 offset1:244
	ds_load_b128 v[17:20], v32 offset:192
	v_pk_fma_f16 v59, v57, v42, v60 op_sel_hi:[1,0,1]
	v_pk_fma_f16 v42, v57, v42, v61 op_sel:[0,1,0]
	v_pk_fma_f16 v57, v58, v43, v62 op_sel_hi:[1,0,1]
	v_pk_fma_f16 v41, v58, v43, v41 op_sel:[0,1,0]
	v_add_nc_u32_e32 v60, 0x800, v27
	v_pk_fma_f16 v59, v58, v44, v59 op_sel_hi:[1,0,1]
	v_pk_fma_f16 v61, v58, v44, v42 op_sel:[0,1,0]
	s_waitcnt lgkmcnt(2)
	v_pk_fma_f16 v62, v53, v49, v57 op_sel_hi:[1,0,1]
	v_pk_fma_f16 v49, v53, v49, v41 op_sel:[0,1,0]
	ds_load_2addr_b32 v[57:58], v60 offset0:8 offset1:28
	ds_load_b128 v[41:44], v32 offset:208
	v_pk_fma_f16 v59, v53, v50, v59 op_sel_hi:[1,0,1]
	v_pk_fma_f16 v50, v53, v50, v61 op_sel:[0,1,0]
	v_pk_fma_f16 v53, v54, v51, v62 op_sel_hi:[1,0,1]
	v_pk_fma_f16 v49, v54, v51, v49 op_sel:[0,1,0]
	s_delay_alu instid0(VALU_DEP_4) | instskip(NEXT) | instid1(VALU_DEP_4)
	v_pk_fma_f16 v51, v54, v52, v59 op_sel_hi:[1,0,1]
	v_pk_fma_f16 v50, v54, v52, v50 op_sel:[0,1,0]
	s_waitcnt lgkmcnt(2)
	v_pk_fma_f16 v53, v55, v17, v53 op_sel_hi:[1,0,1]
	v_pk_fma_f16 v54, v55, v17, v49 op_sel:[0,1,0]
	v_pk_fma_f16 v59, v55, v18, v51 op_sel_hi:[1,0,1]
	v_pk_fma_f16 v55, v55, v18, v50 op_sel:[0,1,0]
	ds_load_2addr_b32 v[17:18], v60 offset0:48 offset1:68
	ds_load_b128 v[49:52], v32 offset:224
	v_pk_fma_f16 v53, v56, v19, v53 op_sel_hi:[1,0,1]
	v_pk_fma_f16 v19, v56, v19, v54 op_sel:[0,1,0]
	v_pk_fma_f16 v54, v56, v20, v59 op_sel_hi:[1,0,1]
	v_pk_fma_f16 v20, v56, v20, v55 op_sel:[0,1,0]
	s_waitcnt lgkmcnt(2)
	v_pk_fma_f16 v59, v57, v41, v53 op_sel_hi:[1,0,1]
	v_pk_fma_f16 v19, v57, v41, v19 op_sel:[0,1,0]
	v_pk_fma_f16 v61, v57, v42, v54 op_sel_hi:[1,0,1]
	ds_load_2addr_b32 v[40:41], v60 offset0:88 offset1:108
	ds_load_b128 v[53:56], v32 offset:240
	v_pk_fma_f16 v20, v57, v42, v20 op_sel:[0,1,0]
	s_waitcnt lgkmcnt(0)
	s_barrier
	buffer_gl0_inv
	s_load_b32 s4, s[16:17], 0x4
	v_pk_fma_f16 v42, v58, v43, v59 op_sel_hi:[1,0,1]
	v_pk_fma_f16 v19, v58, v43, v19 op_sel:[0,1,0]
	v_pk_fma_f16 v43, v58, v44, v61 op_sel_hi:[1,0,1]
	v_pk_fma_f16 v20, v58, v44, v20 op_sel:[0,1,0]
	s_delay_alu instid0(VALU_DEP_4) | instskip(NEXT) | instid1(VALU_DEP_4)
	v_pk_fma_f16 v42, v17, v49, v42 op_sel_hi:[1,0,1]
	v_pk_fma_f16 v19, v17, v49, v19 op_sel:[0,1,0]
	s_delay_alu instid0(VALU_DEP_4) | instskip(NEXT) | instid1(VALU_DEP_4)
	;; [unrolled: 3-line block ×6, first 2 shown]
	v_pk_fma_f16 v38, v40, v54, v39 op_sel_hi:[1,0,1]
	v_pk_fma_f16 v17, v40, v54, v17 op_sel:[0,1,0]
	s_waitcnt lgkmcnt(0)
	s_lshl_b32 s4, s4, 5
	v_pk_fma_f16 v20, v41, v55, v18 op_sel_hi:[1,0,1]
	v_pk_fma_f16 v19, v41, v55, v19 op_sel:[0,1,0]
	v_pk_fma_f16 v18, v41, v56, v38 op_sel_hi:[1,0,1]
	v_pk_fma_f16 v17, v41, v56, v17 op_sel:[0,1,0]
	s_add_i32 s13, s4, s13
	s_delay_alu instid0(SALU_CYCLE_1)
	s_cmp_ge_i32 s13, s34
	s_cbranch_scc1 .LBB21_21
; %bb.20:                               ;   in Loop: Header=BB21_11 Depth=1
	v_dual_mov_b32 v41, v0 :: v_dual_mov_b32 v44, v2
	v_dual_mov_b32 v43, v1 :: v_dual_mov_b32 v42, v3
	;; [unrolled: 1-line block ×4, first 2 shown]
	s_branch .LBB21_11
.LBB21_21:
	v_mov_b32_e32 v4, v11
.LBB21_22:
	v_cmp_lt_i32_e32 vcc_lo, v26, v21
	s_cmp_lg_u64 s[24:25], 0
	s_cselect_b32 s3, -1, 0
	s_cmp_eq_u32 s14, 0
	v_cndmask_b32_e32 v5, v4, v26, vcc_lo
	v_cmp_lt_i32_e32 vcc_lo, v25, v21
	s_cselect_b32 s4, -1, 0
	s_delay_alu instid0(SALU_CYCLE_1) | instskip(NEXT) | instid1(VALU_DEP_2)
	s_and_b32 s3, s4, s3
	v_lshlrev_b32_e32 v5, 2, v5
	v_cndmask_b32_e32 v9, v4, v25, vcc_lo
	v_cmp_lt_i32_e32 vcc_lo, v24, v21
	ds_bpermute_b32 v6, v5, v48
	v_cndmask_b32_e32 v16, v4, v24, vcc_lo
	v_cmp_lt_i32_e32 vcc_lo, v23, v21
	s_delay_alu instid0(VALU_DEP_2)
	v_lshlrev_b32_e32 v16, 2, v16
	s_waitcnt lgkmcnt(0)
	v_add_f32_e32 v6, v48, v6
	ds_bpermute_b32 v7, v5, v46
	ds_bpermute_b32 v8, v5, v47
	v_lshlrev_b32_e32 v9, 2, v9
	ds_bpermute_b32 v5, v5, v45
	ds_bpermute_b32 v10, v9, v6
	s_waitcnt lgkmcnt(2)
	v_dual_add_f32 v7, v46, v7 :: v_dual_add_f32 v8, v47, v8
	s_waitcnt lgkmcnt(0)
	v_add_f32_e32 v6, v6, v10
	ds_bpermute_b32 v15, v9, v8
	v_add_f32_e32 v5, v45, v5
	ds_bpermute_b32 v11, v9, v7
	s_waitcnt lgkmcnt(1)
	v_add_f32_e32 v8, v8, v15
	ds_bpermute_b32 v9, v9, v5
	s_waitcnt lgkmcnt(1)
	v_add_f32_e32 v7, v7, v11
	ds_bpermute_b32 v11, v16, v8
	ds_bpermute_b32 v10, v16, v7
	s_waitcnt lgkmcnt(2)
	v_add_f32_e32 v5, v5, v9
	ds_bpermute_b32 v9, v16, v6
	ds_bpermute_b32 v15, v16, v5
	v_cndmask_b32_e32 v16, v4, v23, vcc_lo
	v_cmp_lt_i32_e32 vcc_lo, v22, v21
	s_waitcnt lgkmcnt(2)
	s_delay_alu instid0(VALU_DEP_2)
	v_dual_add_f32 v7, v7, v10 :: v_dual_lshlrev_b32 v16, 2, v16
	v_cndmask_b32_e32 v4, v4, v22, vcc_lo
	s_and_b32 vcc_lo, exec_lo, s3
	ds_bpermute_b32 v10, v16, v7
	v_add_f32_e32 v8, v8, v11
	s_waitcnt lgkmcnt(1)
	v_dual_add_f32 v6, v6, v9 :: v_dual_add_f32 v5, v5, v15
	ds_bpermute_b32 v9, v16, v6
	ds_bpermute_b32 v15, v16, v5
	s_waitcnt lgkmcnt(2)
	v_dual_add_f32 v7, v7, v10 :: v_dual_lshlrev_b32 v4, 2, v4
	ds_bpermute_b32 v11, v16, v8
	s_waitcnt lgkmcnt(1)
	v_dual_add_f32 v6, v6, v9 :: v_dual_add_f32 v9, v5, v15
	ds_bpermute_b32 v5, v4, v6
	ds_bpermute_b32 v10, v4, v7
	;; [unrolled: 1-line block ×3, first 2 shown]
	s_waitcnt lgkmcnt(3)
	v_add_f32_e32 v8, v8, v11
	ds_bpermute_b32 v11, v4, v8
	s_waitcnt lgkmcnt(2)
	v_dual_add_f32 v4, v6, v5 :: v_dual_add_f32 v5, v7, v10
	s_waitcnt lgkmcnt(1)
	v_add_f32_e32 v7, v9, v15
	s_waitcnt lgkmcnt(0)
	v_add_f32_e32 v6, v8, v11
	s_cbranch_vccz .LBB21_25
; %bb.23:
	s_ashr_i32 s23, s22, 31
	v_dual_mov_b32 v8, 0 :: v_dual_max_f32 v15, v0, v0
	s_lshl_b64 s[4:5], s[22:23], 2
	v_dual_max_f32 v16, v1, v1 :: v_dual_max_f32 v23, v2, v2
	s_add_u32 s4, s24, s4
	s_addc_u32 s5, s25, s5
	v_max_f32_e32 v24, v3, v3
	global_load_b128 v[8:11], v8, s[4:5]
	s_waitcnt vmcnt(0)
	v_dual_max_f32 v21, v8, v8 :: v_dual_max_f32 v22, v9, v9
	v_max_f32_e32 v25, v10, v10
	s_delay_alu instid0(VALU_DEP_2) | instskip(NEXT) | instid1(VALU_DEP_1)
	v_dual_max_f32 v21, v15, v21 :: v_dual_max_f32 v22, v16, v22
	v_dual_max_f32 v26, v11, v11 :: v_dual_sub_f32 v15, v0, v21
	s_delay_alu instid0(VALU_DEP_1) | instskip(NEXT) | instid1(VALU_DEP_3)
	v_dual_max_f32 v23, v23, v25 :: v_dual_max_f32 v24, v24, v26
	v_sub_f32_e32 v16, v1, v22
	v_dual_sub_f32 v8, v8, v21 :: v_dual_sub_f32 v9, v9, v22
	s_delay_alu instid0(VALU_DEP_3)
	v_dual_sub_f32 v25, v2, v23 :: v_dual_sub_f32 v26, v3, v24
	v_dual_mov_b32 v0, v21 :: v_dual_mov_b32 v3, v24
	v_dual_mov_b32 v1, v22 :: v_dual_mov_b32 v2, v23
	v_mul_f32_e32 v21, 0x3fb8aa3b, v15
	v_dual_sub_f32 v10, v10, v23 :: v_dual_sub_f32 v11, v11, v24
	v_dual_mul_f32 v22, 0x3fb8aa3b, v8 :: v_dual_mul_f32 v27, 0x3fb8aa3b, v25
	s_delay_alu instid0(VALU_DEP_3) | instskip(SKIP_4) | instid1(VALU_DEP_4)
	v_fma_f32 v31, 0x3fb8aa3b, v15, -v21
	v_rndne_f32_e32 v32, v21
	v_dual_mul_f32 v23, 0x3fb8aa3b, v16 :: v_dual_mul_f32 v24, 0x3fb8aa3b, v9
	v_mul_f32_e32 v28, 0x3fb8aa3b, v10
	v_fma_f32 v33, 0x3fb8aa3b, v8, -v22
	v_sub_f32_e32 v21, v21, v32
	v_rndne_f32_e32 v34, v22
	v_fmac_f32_e32 v31, 0x32a5705f, v15
	v_rndne_f32_e32 v38, v24
	v_rndne_f32_e32 v40, v27
	s_delay_alu instid0(VALU_DEP_4) | instskip(NEXT) | instid1(VALU_DEP_4)
	v_dual_fmac_f32 v33, 0x32a5705f, v8 :: v_dual_sub_f32 v22, v22, v34
	v_add_f32_e32 v21, v21, v31
	v_fma_f32 v37, 0x3fb8aa3b, v9, -v24
	v_fma_f32 v39, 0x3fb8aa3b, v25, -v27
	v_dual_sub_f32 v24, v24, v38 :: v_dual_sub_f32 v27, v27, v40
	v_add_f32_e32 v22, v22, v33
	v_exp_f32_e32 v21, v21
	v_cvt_i32_f32_e32 v32, v32
	v_dual_mul_f32 v29, 0x3fb8aa3b, v26 :: v_dual_mul_f32 v30, 0x3fb8aa3b, v11
	s_delay_alu instid0(VALU_DEP_3)
	v_exp_f32_e32 v22, v22
	v_fma_f32 v35, 0x3fb8aa3b, v16, -v23
	v_rndne_f32_e32 v36, v23
	v_cvt_i32_f32_e32 v34, v34
	v_cmp_ngt_f32_e32 vcc_lo, 0xc2ce8ed0, v15
	v_rndne_f32_e32 v42, v28
	s_delay_alu instid0(TRANS32_DEP_2)
	v_ldexp_f32 v21, v21, v32
	v_rndne_f32_e32 v46, v30
	v_fmac_f32_e32 v35, 0x32a5705f, v16
	v_sub_f32_e32 v23, v23, v36
	v_ldexp_f32 v22, v22, v34
	v_cndmask_b32_e32 v21, 0, v21, vcc_lo
	v_cmp_ngt_f32_e32 vcc_lo, 0xc2ce8ed0, v8
	v_fma_f32 v41, 0x3fb8aa3b, v10, -v28
	v_fma_f32 v45, 0x3fb8aa3b, v11, -v30
	v_dual_fmac_f32 v37, 0x32a5705f, v9 :: v_dual_sub_f32 v28, v28, v42
	v_cndmask_b32_e32 v22, 0, v22, vcc_lo
	v_dual_sub_f32 v30, v30, v46 :: v_dual_add_f32 v23, v23, v35
	s_delay_alu instid0(VALU_DEP_3) | instskip(SKIP_2) | instid1(VALU_DEP_4)
	v_dual_fmac_f32 v41, 0x32a5705f, v10 :: v_dual_add_f32 v24, v24, v37
	v_cvt_i32_f32_e32 v36, v36
	v_cvt_i32_f32_e32 v38, v38
	v_exp_f32_e32 v23, v23
	v_cmp_ngt_f32_e32 vcc_lo, 0xc2ce8ed0, v16
	v_exp_f32_e32 v24, v24
	v_fma_f32 v43, 0x3fb8aa3b, v26, -v29
	v_add_f32_e32 v28, v28, v41
	v_cvt_i32_f32_e32 v40, v40
	v_cvt_i32_f32_e32 v42, v42
	v_rndne_f32_e32 v44, v29
	v_fmac_f32_e32 v43, 0x32a5705f, v26
	v_exp_f32_e32 v28, v28
	v_ldexp_f32 v23, v23, v36
	v_cvt_i32_f32_e32 v33, v46
	v_ldexp_f32 v24, v24, v38
	v_cvt_i32_f32_e32 v31, v44
	s_delay_alu instid0(VALU_DEP_4) | instskip(SKIP_2) | instid1(TRANS32_DEP_1)
	v_cndmask_b32_e32 v23, 0, v23, vcc_lo
	v_cmp_ngt_f32_e32 vcc_lo, 0xc2ce8ed0, v9
	v_fmac_f32_e32 v39, 0x32a5705f, v25
	v_ldexp_f32 v28, v28, v42
	s_delay_alu instid0(VALU_DEP_2) | instskip(SKIP_1) | instid1(VALU_DEP_2)
	v_dual_cndmask_b32 v24, 0, v24 :: v_dual_add_f32 v27, v27, v39
	v_cmp_ngt_f32_e32 vcc_lo, 0xc2ce8ed0, v25
	v_exp_f32_e32 v27, v27
	s_waitcnt_depctr 0xfff
	v_ldexp_f32 v27, v27, v40
	s_delay_alu instid0(VALU_DEP_1) | instskip(SKIP_2) | instid1(VALU_DEP_1)
	v_cndmask_b32_e32 v27, 0, v27, vcc_lo
	v_cmp_ngt_f32_e32 vcc_lo, 0xc2ce8ed0, v10
	v_dual_fmac_f32 v45, 0x32a5705f, v11 :: v_dual_cndmask_b32 v28, 0, v28
	v_dual_sub_f32 v29, v29, v44 :: v_dual_add_f32 v30, v30, v45
	v_cmp_ngt_f32_e32 vcc_lo, 0xc2ce8ed0, v26
	s_delay_alu instid0(VALU_DEP_2) | instskip(NEXT) | instid1(VALU_DEP_3)
	v_add_f32_e32 v29, v29, v43
	v_exp_f32_e32 v30, v30
	s_delay_alu instid0(VALU_DEP_1) | instskip(SKIP_3) | instid1(VALU_DEP_1)
	v_exp_f32_e32 v29, v29
	s_waitcnt_depctr 0xfff
	v_ldexp_f32 v30, v30, v33
	v_ldexp_f32 v29, v29, v31
	v_cndmask_b32_e32 v29, 0, v29, vcc_lo
	v_cmp_ngt_f32_e32 vcc_lo, 0xc2ce8ed0, v11
	s_delay_alu instid0(VALU_DEP_4)
	v_cndmask_b32_e32 v30, 0, v30, vcc_lo
	v_cmp_nlt_f32_e32 vcc_lo, 0x42b17218, v15
	v_cndmask_b32_e32 v15, 0x7f800000, v21, vcc_lo
	v_cmp_nlt_f32_e32 vcc_lo, 0x42b17218, v8
	v_cndmask_b32_e32 v8, 0x7f800000, v22, vcc_lo
	v_cmp_nlt_f32_e32 vcc_lo, 0x42b17218, v16
	s_delay_alu instid0(VALU_DEP_2) | instskip(SKIP_1) | instid1(VALU_DEP_1)
	v_fmac_f32_e32 v8, v4, v15
	v_cvt_f16_f32_e32 v4, v15
	v_pk_mul_f16 v20, v20, v4 op_sel_hi:[1,0]
	s_delay_alu instid0(VALU_DEP_3)
	v_mov_b32_e32 v4, v8
	v_cndmask_b32_e32 v16, 0x7f800000, v23, vcc_lo
	v_cmp_nlt_f32_e32 vcc_lo, 0x42b17218, v9
	v_cndmask_b32_e32 v9, 0x7f800000, v24, vcc_lo
	v_cmp_nlt_f32_e32 vcc_lo, 0x42b17218, v25
	v_cndmask_b32_e32 v21, 0x7f800000, v27, vcc_lo
	v_cmp_nlt_f32_e32 vcc_lo, 0x42b17218, v10
	v_cndmask_b32_e32 v10, 0x7f800000, v28, vcc_lo
	v_cmp_nlt_f32_e32 vcc_lo, 0x42b17218, v26
	s_delay_alu instid0(VALU_DEP_2) | instskip(SKIP_4) | instid1(VALU_DEP_2)
	v_fmac_f32_e32 v10, v6, v21
	v_cndmask_b32_e32 v22, 0x7f800000, v29, vcc_lo
	v_cmp_nlt_f32_e32 vcc_lo, 0x42b17218, v11
	v_cvt_f16_f32_e32 v6, v21
	v_cndmask_b32_e32 v11, 0x7f800000, v30, vcc_lo
	v_pk_mul_f16 v18, v18, v6 op_sel_hi:[1,0]
	s_delay_alu instid0(VALU_DEP_2) | instskip(SKIP_3) | instid1(VALU_DEP_4)
	v_dual_mov_b32 v6, v10 :: v_dual_fmac_f32 v11, v7, v22
	v_fmac_f32_e32 v9, v5, v16
	v_cvt_f16_f32_e32 v5, v16
	v_cvt_f16_f32_e32 v15, v22
	v_mov_b32_e32 v7, v11
	s_delay_alu instid0(VALU_DEP_3) | instskip(NEXT) | instid1(VALU_DEP_3)
	v_pk_mul_f16 v19, v19, v5 op_sel_hi:[1,0]
	v_pk_mul_f16 v17, v17, v15 op_sel_hi:[1,0]
	v_mov_b32_e32 v5, v9
	s_mov_b32 s3, exec_lo
	v_cmpx_gt_i32_e64 s38, v14
	s_cbranch_execnz .LBB21_26
.LBB21_24:
	s_nop 0
	s_sendmsg sendmsg(MSG_DEALLOC_VGPRS)
	s_endpgm
.LBB21_25:
	s_delay_alu instid0(VALU_DEP_1)
	v_dual_mov_b32 v11, v7 :: v_dual_mov_b32 v10, v6
	v_dual_mov_b32 v9, v5 :: v_dual_mov_b32 v8, v4
	s_mov_b32 s3, exec_lo
	v_cmpx_gt_i32_e64 s38, v14
	s_cbranch_execz .LBB21_24
.LBB21_26:
	s_load_b32 s0, s[0:1], 0xd4
	v_mov_b32_e32 v15, 1.0
	s_waitcnt lgkmcnt(0)
	s_cmp_lg_u32 s0, 1
	s_cselect_b32 s1, -1, 0
	s_cmp_eq_u32 s0, 1
	s_cselect_b32 s3, -1, 0
	s_and_b32 vcc_lo, exec_lo, s1
	s_cbranch_vccnz .LBB21_28
; %bb.27:
	v_div_scale_f32 v15, null, v4, v4, 1.0
	s_delay_alu instid0(VALU_DEP_1) | instskip(SKIP_2) | instid1(VALU_DEP_1)
	v_rcp_f32_e32 v16, v15
	s_waitcnt_depctr 0xfff
	v_fma_f32 v21, -v15, v16, 1.0
	v_fmac_f32_e32 v16, v21, v16
	v_div_scale_f32 v21, vcc_lo, 1.0, v4, 1.0
	s_delay_alu instid0(VALU_DEP_1) | instskip(NEXT) | instid1(VALU_DEP_1)
	v_mul_f32_e32 v22, v21, v16
	v_fma_f32 v23, -v15, v22, v21
	s_delay_alu instid0(VALU_DEP_1) | instskip(NEXT) | instid1(VALU_DEP_1)
	v_fmac_f32_e32 v22, v23, v16
	v_fma_f32 v15, -v15, v22, v21
	s_delay_alu instid0(VALU_DEP_1) | instskip(NEXT) | instid1(VALU_DEP_1)
	v_div_fmas_f32 v15, v15, v16, v22
	v_div_fixup_f32 v15, v15, v4, 1.0
.LBB21_28:
	s_delay_alu instid0(VALU_DEP_1) | instskip(NEXT) | instid1(VALU_DEP_1)
	v_mad_u64_u32 v[21:22], null, s33, s38, v[14:15]
	v_mad_u64_u32 v[22:23], null, v21, s39, s[22:23]
	s_delay_alu instid0(VALU_DEP_1) | instskip(NEXT) | instid1(VALU_DEP_1)
	v_mul_lo_u32 v4, s0, v22
	v_add_nc_u32_e32 v14, s14, v4
	s_and_saveexec_b32 s4, s2
	s_cbranch_execz .LBB21_30
; %bb.29:
	v_lshrrev_b32_e32 v16, 16, v20
	s_delay_alu instid0(VALU_DEP_2) | instskip(SKIP_1) | instid1(VALU_DEP_3)
	v_mad_u64_u32 v[21:22], null, v14, 40, v[12:13]
	v_cvt_f32_f16_e32 v23, v20
	v_cvt_f32_f16_e32 v16, v16
	v_mov_b32_e32 v22, 0
	s_delay_alu instid0(VALU_DEP_1) | instskip(NEXT) | instid1(VALU_DEP_4)
	v_lshlrev_b64 v[20:21], 2, v[21:22]
	v_mul_f32_e32 v22, v15, v23
	s_delay_alu instid0(VALU_DEP_4) | instskip(NEXT) | instid1(VALU_DEP_3)
	v_mul_f32_e32 v23, v15, v16
	v_add_co_u32 v15, vcc_lo, s28, v20
	s_delay_alu instid0(VALU_DEP_4)
	v_add_co_ci_u32_e32 v16, vcc_lo, s29, v21, vcc_lo
	global_store_b64 v[15:16], v[22:23], off
.LBB21_30:
	s_or_b32 exec_lo, exec_lo, s4
	v_cmp_eq_u32_e32 vcc_lo, 0, v13
	s_and_b32 s1, vcc_lo, s1
	s_delay_alu instid0(SALU_CYCLE_1)
	s_and_saveexec_b32 s4, s1
	s_cbranch_execz .LBB21_32
; %bb.31:
	v_ashrrev_i32_e32 v15, 31, v14
	v_mov_b32_e32 v16, v8
	s_delay_alu instid0(VALU_DEP_2) | instskip(SKIP_1) | instid1(VALU_DEP_2)
	v_lshlrev_b64 v[13:14], 3, v[14:15]
	v_mov_b32_e32 v15, v0
	v_add_co_u32 v13, vcc_lo, s30, v13
	s_delay_alu instid0(VALU_DEP_3)
	v_add_co_ci_u32_e32 v14, vcc_lo, s31, v14, vcc_lo
	global_store_b64 v[13:14], v[15:16], off
.LBB21_32:
	s_or_b32 exec_lo, exec_lo, s4
	v_cndmask_b32_e64 v13, 0, 1, s3
	v_mov_b32_e32 v8, 1.0
	s_and_not1_b32 vcc_lo, exec_lo, s3
	s_cbranch_vccz .LBB21_43
; %bb.33:
	v_add_nc_u32_e32 v0, s0, v4
	s_delay_alu instid0(VALU_DEP_1)
	v_add_nc_u32_e32 v4, s14, v0
	s_and_saveexec_b32 s3, s2
	s_cbranch_execnz .LBB21_44
.LBB21_34:
	s_or_b32 exec_lo, exec_lo, s3
	s_and_saveexec_b32 s3, s1
	s_cbranch_execz .LBB21_36
.LBB21_35:
	v_ashrrev_i32_e32 v5, 31, v4
	v_mov_b32_e32 v8, v1
	s_delay_alu instid0(VALU_DEP_2) | instskip(NEXT) | instid1(VALU_DEP_1)
	v_lshlrev_b64 v[4:5], 3, v[4:5]
	v_add_co_u32 v4, vcc_lo, s30, v4
	s_delay_alu instid0(VALU_DEP_2)
	v_add_co_ci_u32_e32 v5, vcc_lo, s31, v5, vcc_lo
	global_store_b64 v[4:5], v[8:9], off
.LBB21_36:
	s_or_b32 exec_lo, exec_lo, s3
	v_cmp_ne_u32_e32 vcc_lo, 1, v13
	v_mov_b32_e32 v1, 1.0
	s_cbranch_vccz .LBB21_45
; %bb.37:
	v_add_nc_u32_e32 v4, s0, v0
	s_delay_alu instid0(VALU_DEP_1)
	v_add_nc_u32_e32 v0, s14, v4
	s_and_saveexec_b32 s3, s2
	s_cbranch_execnz .LBB21_46
.LBB21_38:
	s_or_b32 exec_lo, exec_lo, s3
	s_and_saveexec_b32 s3, s1
	s_cbranch_execz .LBB21_40
.LBB21_39:
	v_ashrrev_i32_e32 v1, 31, v0
	v_mov_b32_e32 v9, v2
	s_delay_alu instid0(VALU_DEP_2) | instskip(NEXT) | instid1(VALU_DEP_1)
	v_lshlrev_b64 v[0:1], 3, v[0:1]
	v_add_co_u32 v0, vcc_lo, s30, v0
	s_delay_alu instid0(VALU_DEP_2)
	v_add_co_ci_u32_e32 v1, vcc_lo, s31, v1, vcc_lo
	global_store_b64 v[0:1], v[9:10], off
.LBB21_40:
	s_or_b32 exec_lo, exec_lo, s3
	v_cmp_ne_u32_e32 vcc_lo, 1, v13
	v_mov_b32_e32 v1, 1.0
	s_cbranch_vccz .LBB21_47
; %bb.41:
	v_add3_u32 v0, s14, s0, v4
	s_and_saveexec_b32 s0, s2
	s_cbranch_execnz .LBB21_48
.LBB21_42:
	s_or_b32 exec_lo, exec_lo, s0
	s_delay_alu instid0(SALU_CYCLE_1)
	s_and_b32 exec_lo, exec_lo, s1
	s_cbranch_execz .LBB21_24
	s_branch .LBB21_49
.LBB21_43:
	v_div_scale_f32 v0, null, v5, v5, 1.0
	s_delay_alu instid0(VALU_DEP_1) | instskip(SKIP_2) | instid1(VALU_DEP_1)
	v_rcp_f32_e32 v8, v0
	s_waitcnt_depctr 0xfff
	v_fma_f32 v14, -v0, v8, 1.0
	v_fmac_f32_e32 v8, v14, v8
	v_div_scale_f32 v14, vcc_lo, 1.0, v5, 1.0
	s_delay_alu instid0(VALU_DEP_1) | instskip(NEXT) | instid1(VALU_DEP_1)
	v_mul_f32_e32 v15, v14, v8
	v_fma_f32 v16, -v0, v15, v14
	s_delay_alu instid0(VALU_DEP_1) | instskip(NEXT) | instid1(VALU_DEP_1)
	v_fmac_f32_e32 v15, v16, v8
	v_fma_f32 v0, -v0, v15, v14
	s_delay_alu instid0(VALU_DEP_1) | instskip(NEXT) | instid1(VALU_DEP_1)
	v_div_fmas_f32 v0, v0, v8, v15
	v_div_fixup_f32 v8, v0, v5, 1.0
	v_add_nc_u32_e32 v0, s0, v4
	s_delay_alu instid0(VALU_DEP_1)
	v_add_nc_u32_e32 v4, s14, v0
	s_and_saveexec_b32 s3, s2
	s_cbranch_execz .LBB21_34
.LBB21_44:
	v_lshrrev_b32_e32 v5, 16, v19
	s_delay_alu instid0(VALU_DEP_2) | instskip(SKIP_1) | instid1(VALU_DEP_3)
	v_mad_u64_u32 v[14:15], null, v4, 40, v[12:13]
	v_cvt_f32_f16_e32 v16, v19
	v_cvt_f32_f16_e32 v5, v5
	v_mov_b32_e32 v15, 0
	s_delay_alu instid0(VALU_DEP_3) | instskip(NEXT) | instid1(VALU_DEP_3)
	v_mul_f32_e32 v19, v8, v16
	v_mul_f32_e32 v20, v8, v5
	s_delay_alu instid0(VALU_DEP_3) | instskip(NEXT) | instid1(VALU_DEP_1)
	v_lshlrev_b64 v[14:15], 2, v[14:15]
	v_add_co_u32 v14, vcc_lo, s28, v14
	s_delay_alu instid0(VALU_DEP_2)
	v_add_co_ci_u32_e32 v15, vcc_lo, s29, v15, vcc_lo
	global_store_b64 v[14:15], v[19:20], off
	s_or_b32 exec_lo, exec_lo, s3
	s_and_saveexec_b32 s3, s1
	s_cbranch_execnz .LBB21_35
	s_branch .LBB21_36
.LBB21_45:
	v_div_scale_f32 v1, null, v6, v6, 1.0
	s_delay_alu instid0(VALU_DEP_1) | instskip(SKIP_2) | instid1(VALU_DEP_1)
	v_rcp_f32_e32 v4, v1
	s_waitcnt_depctr 0xfff
	v_fma_f32 v5, -v1, v4, 1.0
	v_fmac_f32_e32 v4, v5, v4
	v_div_scale_f32 v5, vcc_lo, 1.0, v6, 1.0
	s_delay_alu instid0(VALU_DEP_1) | instskip(NEXT) | instid1(VALU_DEP_1)
	v_mul_f32_e32 v8, v5, v4
	v_fma_f32 v9, -v1, v8, v5
	s_delay_alu instid0(VALU_DEP_1) | instskip(NEXT) | instid1(VALU_DEP_1)
	v_fmac_f32_e32 v8, v9, v4
	v_fma_f32 v1, -v1, v8, v5
	s_delay_alu instid0(VALU_DEP_1) | instskip(NEXT) | instid1(VALU_DEP_1)
	v_div_fmas_f32 v1, v1, v4, v8
	v_div_fixup_f32 v1, v1, v6, 1.0
	v_add_nc_u32_e32 v4, s0, v0
	s_delay_alu instid0(VALU_DEP_1)
	v_add_nc_u32_e32 v0, s14, v4
	s_and_saveexec_b32 s3, s2
	s_cbranch_execz .LBB21_38
.LBB21_46:
	v_lshrrev_b32_e32 v8, 16, v18
	s_delay_alu instid0(VALU_DEP_2) | instskip(SKIP_1) | instid1(VALU_DEP_3)
	v_mad_u64_u32 v[5:6], null, v0, 40, v[12:13]
	v_cvt_f32_f16_e32 v9, v18
	v_cvt_f32_f16_e32 v14, v8
	v_mov_b32_e32 v6, 0
	s_delay_alu instid0(VALU_DEP_3) | instskip(NEXT) | instid1(VALU_DEP_3)
	v_mul_f32_e32 v8, v1, v9
	v_mul_f32_e32 v9, v1, v14
	s_delay_alu instid0(VALU_DEP_3) | instskip(NEXT) | instid1(VALU_DEP_1)
	v_lshlrev_b64 v[5:6], 2, v[5:6]
	v_add_co_u32 v5, vcc_lo, s28, v5
	s_delay_alu instid0(VALU_DEP_2)
	v_add_co_ci_u32_e32 v6, vcc_lo, s29, v6, vcc_lo
	global_store_b64 v[5:6], v[8:9], off
	s_or_b32 exec_lo, exec_lo, s3
	s_and_saveexec_b32 s3, s1
	s_cbranch_execnz .LBB21_39
	s_branch .LBB21_40
.LBB21_47:
	v_div_scale_f32 v0, null, v7, v7, 1.0
	s_delay_alu instid0(VALU_DEP_1) | instskip(SKIP_2) | instid1(VALU_DEP_1)
	v_rcp_f32_e32 v1, v0
	s_waitcnt_depctr 0xfff
	v_fma_f32 v2, -v0, v1, 1.0
	v_fmac_f32_e32 v1, v2, v1
	v_div_scale_f32 v2, vcc_lo, 1.0, v7, 1.0
	s_delay_alu instid0(VALU_DEP_1) | instskip(NEXT) | instid1(VALU_DEP_1)
	v_mul_f32_e32 v5, v2, v1
	v_fma_f32 v6, -v0, v5, v2
	s_delay_alu instid0(VALU_DEP_1) | instskip(NEXT) | instid1(VALU_DEP_1)
	v_fmac_f32_e32 v5, v6, v1
	v_fma_f32 v0, -v0, v5, v2
	s_delay_alu instid0(VALU_DEP_1) | instskip(NEXT) | instid1(VALU_DEP_1)
	v_div_fmas_f32 v0, v0, v1, v5
	v_div_fixup_f32 v1, v0, v7, 1.0
	v_add3_u32 v0, s14, s0, v4
	s_and_saveexec_b32 s0, s2
	s_cbranch_execz .LBB21_42
.LBB21_48:
	s_delay_alu instid0(VALU_DEP_1) | instskip(SKIP_3) | instid1(VALU_DEP_3)
	v_mad_u64_u32 v[4:5], null, v0, 40, v[12:13]
	v_cvt_f32_f16_e32 v6, v17
	v_mov_b32_e32 v5, 0
	v_lshrrev_b32_e32 v2, 16, v17
	v_mul_f32_e32 v6, v1, v6
	s_delay_alu instid0(VALU_DEP_3) | instskip(NEXT) | instid1(VALU_DEP_3)
	v_lshlrev_b64 v[4:5], 2, v[4:5]
	v_cvt_f32_f16_e32 v2, v2
	s_delay_alu instid0(VALU_DEP_1) | instskip(NEXT) | instid1(VALU_DEP_3)
	v_mul_f32_e32 v7, v1, v2
	v_add_co_u32 v1, vcc_lo, s28, v4
	s_delay_alu instid0(VALU_DEP_4) | instskip(SKIP_2) | instid1(SALU_CYCLE_1)
	v_add_co_ci_u32_e32 v2, vcc_lo, s29, v5, vcc_lo
	global_store_b64 v[1:2], v[6:7], off
	s_or_b32 exec_lo, exec_lo, s0
	s_and_b32 exec_lo, exec_lo, s1
	s_cbranch_execz .LBB21_24
.LBB21_49:
	v_ashrrev_i32_e32 v1, 31, v0
	v_mov_b32_e32 v10, v3
	s_delay_alu instid0(VALU_DEP_2) | instskip(NEXT) | instid1(VALU_DEP_1)
	v_lshlrev_b64 v[0:1], 3, v[0:1]
	v_add_co_u32 v0, vcc_lo, s30, v0
	s_delay_alu instid0(VALU_DEP_2)
	v_add_co_ci_u32_e32 v1, vcc_lo, s31, v1, vcc_lo
	global_store_b64 v[0:1], v[10:11], off
	s_nop 0
	s_sendmsg sendmsg(MSG_DEALLOC_VGPRS)
	s_endpgm
	.section	.rodata,"a",@progbits
	.p2align	6, 0x0
	.amdhsa_kernel _ZL15flash_attn_tileILi40ELi40ELi8ELi4ELb0EEvPKcS1_S1_S1_S1_PKiPfP15HIP_vector_typeIfLj2EEffffjfiS5_IjLj3EEiiiiiiiiiiiliiliiiiil
		.amdhsa_group_segment_fixed_size 7776
		.amdhsa_private_segment_fixed_size 0
		.amdhsa_kernarg_size 464
		.amdhsa_user_sgpr_count 13
		.amdhsa_user_sgpr_dispatch_ptr 0
		.amdhsa_user_sgpr_queue_ptr 0
		.amdhsa_user_sgpr_kernarg_segment_ptr 1
		.amdhsa_user_sgpr_dispatch_id 0
		.amdhsa_user_sgpr_private_segment_size 0
		.amdhsa_wavefront_size32 1
		.amdhsa_uses_dynamic_stack 0
		.amdhsa_enable_private_segment 0
		.amdhsa_system_sgpr_workgroup_id_x 1
		.amdhsa_system_sgpr_workgroup_id_y 1
		.amdhsa_system_sgpr_workgroup_id_z 1
		.amdhsa_system_sgpr_workgroup_info 0
		.amdhsa_system_vgpr_workitem_id 1
		.amdhsa_next_free_vgpr 69
		.amdhsa_next_free_sgpr 42
		.amdhsa_reserve_vcc 1
		.amdhsa_float_round_mode_32 0
		.amdhsa_float_round_mode_16_64 0
		.amdhsa_float_denorm_mode_32 3
		.amdhsa_float_denorm_mode_16_64 3
		.amdhsa_dx10_clamp 1
		.amdhsa_ieee_mode 1
		.amdhsa_fp16_overflow 0
		.amdhsa_workgroup_processor_mode 1
		.amdhsa_memory_ordered 1
		.amdhsa_forward_progress 0
		.amdhsa_shared_vgpr_count 0
		.amdhsa_exception_fp_ieee_invalid_op 0
		.amdhsa_exception_fp_denorm_src 0
		.amdhsa_exception_fp_ieee_div_zero 0
		.amdhsa_exception_fp_ieee_overflow 0
		.amdhsa_exception_fp_ieee_underflow 0
		.amdhsa_exception_fp_ieee_inexact 0
		.amdhsa_exception_int_div_zero 0
	.end_amdhsa_kernel
	.section	.text._ZL15flash_attn_tileILi40ELi40ELi8ELi4ELb0EEvPKcS1_S1_S1_S1_PKiPfP15HIP_vector_typeIfLj2EEffffjfiS5_IjLj3EEiiiiiiiiiiiliiliiiiil,"axG",@progbits,_ZL15flash_attn_tileILi40ELi40ELi8ELi4ELb0EEvPKcS1_S1_S1_S1_PKiPfP15HIP_vector_typeIfLj2EEffffjfiS5_IjLj3EEiiiiiiiiiiiliiliiiiil,comdat
.Lfunc_end21:
	.size	_ZL15flash_attn_tileILi40ELi40ELi8ELi4ELb0EEvPKcS1_S1_S1_S1_PKiPfP15HIP_vector_typeIfLj2EEffffjfiS5_IjLj3EEiiiiiiiiiiiliiliiiiil, .Lfunc_end21-_ZL15flash_attn_tileILi40ELi40ELi8ELi4ELb0EEvPKcS1_S1_S1_S1_PKiPfP15HIP_vector_typeIfLj2EEffffjfiS5_IjLj3EEiiiiiiiiiiiliiliiiiil
                                        ; -- End function
	.section	.AMDGPU.csdata,"",@progbits
; Kernel info:
; codeLenInByte = 9856
; NumSgprs: 44
; NumVgprs: 69
; ScratchSize: 0
; MemoryBound: 0
; FloatMode: 240
; IeeeMode: 1
; LDSByteSize: 7776 bytes/workgroup (compile time only)
; SGPRBlocks: 5
; VGPRBlocks: 8
; NumSGPRsForWavesPerEU: 44
; NumVGPRsForWavesPerEU: 69
; Occupancy: 16
; WaveLimiterHint : 1
; COMPUTE_PGM_RSRC2:SCRATCH_EN: 0
; COMPUTE_PGM_RSRC2:USER_SGPR: 13
; COMPUTE_PGM_RSRC2:TRAP_HANDLER: 0
; COMPUTE_PGM_RSRC2:TGID_X_EN: 1
; COMPUTE_PGM_RSRC2:TGID_Y_EN: 1
; COMPUTE_PGM_RSRC2:TGID_Z_EN: 1
; COMPUTE_PGM_RSRC2:TIDIG_COMP_CNT: 1
	.section	.text._ZL33flash_attn_stream_k_fixup_uniformILi40ELi8ELi4EEvPfPK15HIP_vector_typeIfLj2EEiiiiiiS1_IjLj3EES5_S5_,"axG",@progbits,_ZL33flash_attn_stream_k_fixup_uniformILi40ELi8ELi4EEvPfPK15HIP_vector_typeIfLj2EEiiiiiiS1_IjLj3EES5_S5_,comdat
	.globl	_ZL33flash_attn_stream_k_fixup_uniformILi40ELi8ELi4EEvPfPK15HIP_vector_typeIfLj2EEiiiiiiS1_IjLj3EES5_S5_ ; -- Begin function _ZL33flash_attn_stream_k_fixup_uniformILi40ELi8ELi4EEvPfPK15HIP_vector_typeIfLj2EEiiiiiiS1_IjLj3EES5_S5_
	.p2align	8
	.type	_ZL33flash_attn_stream_k_fixup_uniformILi40ELi8ELi4EEvPfPK15HIP_vector_typeIfLj2EEiiiiiiS1_IjLj3EES5_S5_,@function
_ZL33flash_attn_stream_k_fixup_uniformILi40ELi8ELi4EEvPfPK15HIP_vector_typeIfLj2EEiiiiiiS1_IjLj3EES5_S5_: ; @_ZL33flash_attn_stream_k_fixup_uniformILi40ELi8ELi4EEvPfPK15HIP_vector_typeIfLj2EEiiiiiiS1_IjLj3EES5_S5_
; %bb.0:
	s_clause 0x1
	s_load_b256 s[4:11], s[0:1], 0x1c
	s_load_b128 s[16:19], s[0:1], 0x3c
	s_waitcnt lgkmcnt(0)
	s_mul_hi_u32 s2, s7, s13
	s_delay_alu instid0(SALU_CYCLE_1) | instskip(NEXT) | instid1(SALU_CYCLE_1)
	s_add_i32 s2, s13, s2
	s_lshr_b32 s2, s2, s8
	s_delay_alu instid0(SALU_CYCLE_1) | instskip(SKIP_2) | instid1(SALU_CYCLE_1)
	s_mul_i32 s3, s2, s9
	s_load_b64 s[8:9], s[0:1], 0x10
	s_sub_i32 s3, s13, s3
	s_mul_hi_u32 s7, s3, s10
	s_delay_alu instid0(SALU_CYCLE_1) | instskip(NEXT) | instid1(SALU_CYCLE_1)
	s_add_i32 s7, s3, s7
	s_lshr_b32 s7, s7, s11
	s_delay_alu instid0(SALU_CYCLE_1) | instskip(NEXT) | instid1(SALU_CYCLE_1)
	s_mul_i32 s10, s7, s16
	s_sub_i32 s3, s3, s10
	s_delay_alu instid0(SALU_CYCLE_1) | instskip(NEXT) | instid1(SALU_CYCLE_1)
	s_mul_hi_u32 s10, s3, s17
	s_add_i32 s10, s3, s10
	s_delay_alu instid0(SALU_CYCLE_1) | instskip(NEXT) | instid1(SALU_CYCLE_1)
	s_lshr_b32 s11, s10, s18
	s_mul_i32 s10, s11, s19
	s_lshl_b32 s11, s11, 2
	s_sub_i32 s10, s3, s10
	s_delay_alu instid0(SALU_CYCLE_1) | instskip(NEXT) | instid1(SALU_CYCLE_1)
	s_lshl_b32 s3, s10, 3
	s_add_i32 s3, s3, s14
	s_waitcnt lgkmcnt(0)
	s_cmp_lt_i32 s3, s8
	s_cselect_b32 s3, -1, 0
	s_add_i32 s11, s11, s15
	s_delay_alu instid0(SALU_CYCLE_1) | instskip(SKIP_1) | instid1(SALU_CYCLE_1)
	s_cmp_lt_i32 s11, s5
	s_cselect_b32 s12, -1, 0
	s_and_b32 s3, s3, s12
	s_delay_alu instid0(SALU_CYCLE_1)
	s_and_not1_b32 vcc_lo, exec_lo, s3
	s_cbranch_vccnz .LBB22_6
; %bb.1:
	s_mul_i32 s8, s2, s8
	s_mul_i32 s7, s7, s5
	s_add_i32 s8, s8, s14
	s_add_i32 s5, s11, s7
	s_mul_i32 s8, s8, s9
	s_load_b128 s[0:3], s[0:1], 0x0
	s_mul_i32 s7, s9, s10
	s_add_i32 s5, s5, s8
	s_mulk_i32 s7, 0x140
	s_mul_i32 s5, s5, 40
	s_lshl_b32 s9, s14, 2
	v_add3_u32 v1, s5, s7, v0
	s_mul_i32 s5, s13, s6
	s_delay_alu instid0(SALU_CYCLE_1) | instskip(NEXT) | instid1(VALU_DEP_1)
	s_add_i32 s10, s5, s6
	v_ashrrev_i32_e32 v2, 31, v1
	s_delay_alu instid0(VALU_DEP_1) | instskip(SKIP_1) | instid1(VALU_DEP_1)
	v_lshlrev_b64 v[1:2], 2, v[1:2]
	s_waitcnt lgkmcnt(0)
	v_add_co_u32 v1, vcc_lo, s0, v1
	s_delay_alu instid0(VALU_DEP_2) | instskip(SKIP_4) | instid1(SALU_CYCLE_1)
	v_add_co_ci_u32_e32 v2, vcc_lo, s1, v2, vcc_lo
	s_add_i32 s0, s9, s15
	s_lshl_b32 s1, s10, 5
	global_load_b32 v5, v[1:2], off
	s_add_i32 s0, s0, s1
	s_sub_i32 s0, s0, 32
	s_delay_alu instid0(SALU_CYCLE_1) | instskip(NEXT) | instid1(SALU_CYCLE_1)
	s_ashr_i32 s1, s0, 31
	s_lshl_b64 s[0:1], s[0:1], 3
	s_delay_alu instid0(SALU_CYCLE_1)
	s_add_u32 s0, s2, s0
	s_addc_u32 s1, s3, s1
	s_add_i32 s7, s10, -2
	s_load_b32 s11, s[0:1], 0x4
	s_cmp_lt_i32 s7, s5
	s_cbranch_scc1 .LBB22_4
; %bb.2:
	s_load_b32 s12, s[0:1], 0x0
	s_lshl_b32 s16, s4, 7
	s_mulk_i32 s14, 0xa0
	s_ashr_i32 s17, s16, 31
	s_waitcnt lgkmcnt(0)
	v_mov_b32_e32 v6, s11
	s_lshl_b64 s[0:1], s[16:17], 2
	s_delay_alu instid0(SALU_CYCLE_1)
	s_add_u32 s7, s2, s0
	s_addc_u32 s8, s3, s1
	s_add_i32 s13, s13, 1
	s_lshl_b32 s4, s4, 5
	s_mul_i32 s0, s6, s13
	s_mul_i32 s6, s15, 40
	s_lshl_b32 s1, s0, 5
	s_mulk_i32 s0, 0x500
	s_add_i32 s6, s6, s14
	s_add_i32 s1, s15, s1
	;; [unrolled: 1-line block ×4, first 2 shown]
	v_add3_u32 v3, s6, v0, 0xfffff600
	v_mov_b32_e32 v0, s12
	s_add_i32 s0, s0, s9
	s_add_i32 s4, s10, -1
	s_sub_i32 s0, s0, 64
.LBB22_3:                               ; =>This Inner Loop Header: Depth=1
	s_delay_alu instid0(VALU_DEP_2) | instskip(SKIP_1) | instid1(SALU_CYCLE_1)
	v_ashrrev_i32_e32 v4, 31, v3
	s_ashr_i32 s1, s0, 31
	s_lshl_b64 s[10:11], s[0:1], 3
	s_delay_alu instid0(SALU_CYCLE_1) | instskip(NEXT) | instid1(VALU_DEP_1)
	s_add_u32 s10, s2, s10
	v_lshlrev_b64 v[7:8], 2, v[3:4]
	s_addc_u32 s11, s3, s11
	s_add_i32 s4, s4, -1
	s_sub_i32 s0, s0, 32
	s_cmp_le_i32 s4, s5
	s_load_b64 s[10:11], s[10:11], 0x0
	v_add_co_u32 v7, vcc_lo, s7, v7
	v_add_co_ci_u32_e32 v8, vcc_lo, s8, v8, vcc_lo
	global_load_b32 v4, v[7:8], off
	v_max_f32_e32 v7, v0, v0
	s_waitcnt lgkmcnt(0)
	v_max_f32_e64 v8, s10, s10
	s_delay_alu instid0(VALU_DEP_1) | instskip(NEXT) | instid1(VALU_DEP_1)
	v_max_f32_e32 v7, v7, v8
	v_sub_f32_e32 v8, s10, v7
	s_delay_alu instid0(VALU_DEP_1) | instskip(NEXT) | instid1(VALU_DEP_1)
	v_dual_sub_f32 v0, v0, v7 :: v_dual_mul_f32 v9, 0x3fb8aa3b, v8
	v_fma_f32 v10, 0x3fb8aa3b, v8, -v9
	v_rndne_f32_e32 v11, v9
	s_delay_alu instid0(VALU_DEP_3) | instskip(NEXT) | instid1(VALU_DEP_2)
	v_mul_f32_e32 v12, 0x3fb8aa3b, v0
	v_dual_fmac_f32 v10, 0x32a5705f, v8 :: v_dual_sub_f32 v9, v9, v11
	v_cvt_i32_f32_e32 v11, v11
	s_delay_alu instid0(VALU_DEP_3) | instskip(SKIP_1) | instid1(VALU_DEP_4)
	v_fma_f32 v13, 0x3fb8aa3b, v0, -v12
	v_rndne_f32_e32 v14, v12
	v_add_f32_e32 v9, v9, v10
	v_cmp_ngt_f32_e32 vcc_lo, 0xc2ce8ed0, v8
	s_delay_alu instid0(VALU_DEP_3) | instskip(NEXT) | instid1(VALU_DEP_3)
	v_sub_f32_e32 v10, v12, v14
	v_exp_f32_e32 v9, v9
	s_waitcnt_depctr 0xfff
	v_ldexp_f32 v9, v9, v11
	v_cvt_i32_f32_e32 v11, v14
	s_delay_alu instid0(VALU_DEP_2) | instskip(SKIP_1) | instid1(VALU_DEP_2)
	v_cndmask_b32_e32 v9, 0, v9, vcc_lo
	v_cmp_nlt_f32_e32 vcc_lo, 0x42b17218, v8
	v_cndmask_b32_e32 v9, 0x7f800000, v9, vcc_lo
	v_cmp_ngt_f32_e32 vcc_lo, 0xc2ce8ed0, v0
	v_fmac_f32_e32 v13, 0x32a5705f, v0
	s_delay_alu instid0(VALU_DEP_1) | instskip(NEXT) | instid1(VALU_DEP_1)
	v_add_f32_e32 v10, v10, v13
	v_exp_f32_e32 v10, v10
	s_waitcnt_depctr 0xfff
	v_ldexp_f32 v10, v10, v11
	s_delay_alu instid0(VALU_DEP_1)
	v_dual_mov_b32 v11, v6 :: v_dual_cndmask_b32 v10, 0, v10
	v_cmp_le_f32_e32 vcc_lo, 0xc1a00000, v8
	s_waitcnt vmcnt(1)
	v_dual_cndmask_b32 v8, 0, v9 :: v_dual_mov_b32 v9, v5
	v_cmp_nlt_f32_e32 vcc_lo, 0x42b17218, v0
	v_cndmask_b32_e32 v5, 0x7f800000, v10, vcc_lo
	s_delay_alu instid0(VALU_DEP_3) | instskip(SKIP_2) | instid1(VALU_DEP_3)
	v_mul_f32_e32 v10, s11, v8
	v_cmp_le_f32_e32 vcc_lo, 0xc1a00000, v0
	v_mov_b32_e32 v0, v7
	v_mov_b32_e32 v6, v10
	s_waitcnt vmcnt(0)
	v_dual_cndmask_b32 v12, 0, v5 :: v_dual_mul_f32 v5, v4, v8
	s_delay_alu instid0(VALU_DEP_1) | instskip(NEXT) | instid1(VALU_DEP_2)
	v_dual_fmac_f32 v6, v11, v12 :: v_dual_add_nc_u32 v3, 0xfffffb00, v3
	v_fmac_f32_e32 v5, v9, v12
	s_cbranch_scc0 .LBB22_3
	s_branch .LBB22_5
.LBB22_4:
	s_waitcnt lgkmcnt(0)
	v_mov_b32_e32 v6, s11
.LBB22_5:
	s_waitcnt vmcnt(0)
	s_delay_alu instid0(VALU_DEP_1) | instskip(NEXT) | instid1(VALU_DEP_1)
	v_div_scale_f32 v0, null, v6, v6, v5
	v_rcp_f32_e32 v3, v0
	s_waitcnt_depctr 0xfff
	v_fma_f32 v4, -v0, v3, 1.0
	s_delay_alu instid0(VALU_DEP_1) | instskip(SKIP_1) | instid1(VALU_DEP_1)
	v_fmac_f32_e32 v3, v4, v3
	v_div_scale_f32 v4, vcc_lo, v5, v6, v5
	v_mul_f32_e32 v7, v4, v3
	s_delay_alu instid0(VALU_DEP_1) | instskip(NEXT) | instid1(VALU_DEP_1)
	v_fma_f32 v8, -v0, v7, v4
	v_fmac_f32_e32 v7, v8, v3
	s_delay_alu instid0(VALU_DEP_1) | instskip(NEXT) | instid1(VALU_DEP_1)
	v_fma_f32 v0, -v0, v7, v4
	v_div_fmas_f32 v0, v0, v3, v7
	s_delay_alu instid0(VALU_DEP_1)
	v_div_fixup_f32 v0, v0, v6, v5
	global_store_b32 v[1:2], v0, off
.LBB22_6:
	s_nop 0
	s_sendmsg sendmsg(MSG_DEALLOC_VGPRS)
	s_endpgm
	.section	.rodata,"a",@progbits
	.p2align	6, 0x0
	.amdhsa_kernel _ZL33flash_attn_stream_k_fixup_uniformILi40ELi8ELi4EEvPfPK15HIP_vector_typeIfLj2EEiiiiiiS1_IjLj3EES5_S5_
		.amdhsa_group_segment_fixed_size 0
		.amdhsa_private_segment_fixed_size 0
		.amdhsa_kernarg_size 76
		.amdhsa_user_sgpr_count 13
		.amdhsa_user_sgpr_dispatch_ptr 0
		.amdhsa_user_sgpr_queue_ptr 0
		.amdhsa_user_sgpr_kernarg_segment_ptr 1
		.amdhsa_user_sgpr_dispatch_id 0
		.amdhsa_user_sgpr_private_segment_size 0
		.amdhsa_wavefront_size32 1
		.amdhsa_uses_dynamic_stack 0
		.amdhsa_enable_private_segment 0
		.amdhsa_system_sgpr_workgroup_id_x 1
		.amdhsa_system_sgpr_workgroup_id_y 1
		.amdhsa_system_sgpr_workgroup_id_z 1
		.amdhsa_system_sgpr_workgroup_info 0
		.amdhsa_system_vgpr_workitem_id 0
		.amdhsa_next_free_vgpr 15
		.amdhsa_next_free_sgpr 20
		.amdhsa_reserve_vcc 1
		.amdhsa_float_round_mode_32 0
		.amdhsa_float_round_mode_16_64 0
		.amdhsa_float_denorm_mode_32 3
		.amdhsa_float_denorm_mode_16_64 3
		.amdhsa_dx10_clamp 1
		.amdhsa_ieee_mode 1
		.amdhsa_fp16_overflow 0
		.amdhsa_workgroup_processor_mode 1
		.amdhsa_memory_ordered 1
		.amdhsa_forward_progress 0
		.amdhsa_shared_vgpr_count 0
		.amdhsa_exception_fp_ieee_invalid_op 0
		.amdhsa_exception_fp_denorm_src 0
		.amdhsa_exception_fp_ieee_div_zero 0
		.amdhsa_exception_fp_ieee_overflow 0
		.amdhsa_exception_fp_ieee_underflow 0
		.amdhsa_exception_fp_ieee_inexact 0
		.amdhsa_exception_int_div_zero 0
	.end_amdhsa_kernel
	.section	.text._ZL33flash_attn_stream_k_fixup_uniformILi40ELi8ELi4EEvPfPK15HIP_vector_typeIfLj2EEiiiiiiS1_IjLj3EES5_S5_,"axG",@progbits,_ZL33flash_attn_stream_k_fixup_uniformILi40ELi8ELi4EEvPfPK15HIP_vector_typeIfLj2EEiiiiiiS1_IjLj3EES5_S5_,comdat
.Lfunc_end22:
	.size	_ZL33flash_attn_stream_k_fixup_uniformILi40ELi8ELi4EEvPfPK15HIP_vector_typeIfLj2EEiiiiiiS1_IjLj3EES5_S5_, .Lfunc_end22-_ZL33flash_attn_stream_k_fixup_uniformILi40ELi8ELi4EEvPfPK15HIP_vector_typeIfLj2EEiiiiiiS1_IjLj3EES5_S5_
                                        ; -- End function
	.section	.AMDGPU.csdata,"",@progbits
; Kernel info:
; codeLenInByte = 988
; NumSgprs: 22
; NumVgprs: 15
; ScratchSize: 0
; MemoryBound: 0
; FloatMode: 240
; IeeeMode: 1
; LDSByteSize: 0 bytes/workgroup (compile time only)
; SGPRBlocks: 2
; VGPRBlocks: 1
; NumSGPRsForWavesPerEU: 22
; NumVGPRsForWavesPerEU: 15
; Occupancy: 16
; WaveLimiterHint : 0
; COMPUTE_PGM_RSRC2:SCRATCH_EN: 0
; COMPUTE_PGM_RSRC2:USER_SGPR: 13
; COMPUTE_PGM_RSRC2:TRAP_HANDLER: 0
; COMPUTE_PGM_RSRC2:TGID_X_EN: 1
; COMPUTE_PGM_RSRC2:TGID_Y_EN: 1
; COMPUTE_PGM_RSRC2:TGID_Z_EN: 1
; COMPUTE_PGM_RSRC2:TIDIG_COMP_CNT: 0
	.section	.text._ZL33flash_attn_stream_k_fixup_generalILi40ELi8ELi4EEvPfPK15HIP_vector_typeIfLj2EEiiiiS1_IjLj3EES5_S5_S5_,"axG",@progbits,_ZL33flash_attn_stream_k_fixup_generalILi40ELi8ELi4EEvPfPK15HIP_vector_typeIfLj2EEiiiiS1_IjLj3EES5_S5_S5_,comdat
	.globl	_ZL33flash_attn_stream_k_fixup_generalILi40ELi8ELi4EEvPfPK15HIP_vector_typeIfLj2EEiiiiS1_IjLj3EES5_S5_S5_ ; -- Begin function _ZL33flash_attn_stream_k_fixup_generalILi40ELi8ELi4EEvPfPK15HIP_vector_typeIfLj2EEiiiiS1_IjLj3EES5_S5_S5_
	.p2align	8
	.type	_ZL33flash_attn_stream_k_fixup_generalILi40ELi8ELi4EEvPfPK15HIP_vector_typeIfLj2EEiiiiS1_IjLj3EES5_S5_S5_,@function
_ZL33flash_attn_stream_k_fixup_generalILi40ELi8ELi4EEvPfPK15HIP_vector_typeIfLj2EEiiiiS1_IjLj3EES5_S5_S5_: ; @_ZL33flash_attn_stream_k_fixup_generalILi40ELi8ELi4EEvPfPK15HIP_vector_typeIfLj2EEiiiiS1_IjLj3EES5_S5_S5_
; %bb.0:
	s_clause 0x1
	s_load_b128 s[4:7], s[0:1], 0x10
	s_load_b32 s20, s[0:1], 0x50
	s_mov_b32 s2, 0
	s_waitcnt lgkmcnt(0)
	s_mul_hi_i32 s3, s7, s13
	s_mul_i32 s12, s7, s13
	s_cmp_lg_u64 s[2:3], 0
	s_cbranch_scc0 .LBB23_21
; %bb.1:
	v_cvt_f32_ubyte0_e32 v1, 0
	v_cvt_f32_u32_e32 v2, s20
	s_sub_u32 s10, 0, s20
	s_subb_u32 s11, 0, 0
	s_delay_alu instid0(VALU_DEP_1) | instskip(NEXT) | instid1(VALU_DEP_1)
	v_fmamk_f32 v1, v1, 0x4f800000, v2
	v_rcp_f32_e32 v1, v1
	s_waitcnt_depctr 0xfff
	v_mul_f32_e32 v1, 0x5f7ffffc, v1
	s_delay_alu instid0(VALU_DEP_1) | instskip(NEXT) | instid1(VALU_DEP_1)
	v_mul_f32_e32 v2, 0x2f800000, v1
	v_trunc_f32_e32 v2, v2
	s_delay_alu instid0(VALU_DEP_1) | instskip(SKIP_1) | instid1(VALU_DEP_2)
	v_fmamk_f32 v1, v2, 0xcf800000, v1
	v_cvt_u32_f32_e32 v2, v2
	v_cvt_u32_f32_e32 v1, v1
	s_delay_alu instid0(VALU_DEP_2) | instskip(NEXT) | instid1(VALU_DEP_2)
	v_readfirstlane_b32 s8, v2
	v_readfirstlane_b32 s9, v1
	s_delay_alu instid0(VALU_DEP_2) | instskip(NEXT) | instid1(VALU_DEP_1)
	s_mul_i32 s16, s10, s8
	s_mul_hi_u32 s18, s10, s9
	s_mul_i32 s17, s11, s9
	s_add_i32 s16, s18, s16
	s_mul_i32 s19, s10, s9
	s_add_i32 s16, s16, s17
	s_mul_hi_u32 s18, s9, s19
	s_mul_hi_u32 s21, s8, s19
	s_mul_i32 s17, s8, s19
	s_mul_hi_u32 s19, s9, s16
	s_mul_i32 s9, s9, s16
	s_mul_hi_u32 s22, s8, s16
	s_add_u32 s9, s18, s9
	s_addc_u32 s18, 0, s19
	s_add_u32 s9, s9, s17
	s_mul_i32 s16, s8, s16
	s_addc_u32 s9, s18, s21
	s_addc_u32 s17, s22, 0
	s_add_u32 s9, s9, s16
	s_addc_u32 s16, 0, s17
	v_add_co_u32 v1, s9, v1, s9
	s_delay_alu instid0(VALU_DEP_1) | instskip(SKIP_1) | instid1(VALU_DEP_1)
	s_cmp_lg_u32 s9, 0
	s_addc_u32 s8, s8, s16
	v_readfirstlane_b32 s9, v1
	s_mul_i32 s16, s10, s8
	s_delay_alu instid0(VALU_DEP_1)
	s_mul_hi_u32 s17, s10, s9
	s_mul_i32 s11, s11, s9
	s_add_i32 s16, s17, s16
	s_mul_i32 s10, s10, s9
	s_add_i32 s16, s16, s11
	s_mul_hi_u32 s17, s8, s10
	s_mul_i32 s18, s8, s10
	s_mul_hi_u32 s10, s9, s10
	s_mul_hi_u32 s19, s9, s16
	s_mul_i32 s9, s9, s16
	s_mul_hi_u32 s11, s8, s16
	s_add_u32 s9, s10, s9
	s_addc_u32 s10, 0, s19
	s_add_u32 s9, s9, s18
	s_mul_i32 s16, s8, s16
	s_addc_u32 s9, s10, s17
	s_addc_u32 s10, s11, 0
	s_add_u32 s9, s9, s16
	s_addc_u32 s10, 0, s10
	v_add_co_u32 v1, s9, v1, s9
	s_delay_alu instid0(VALU_DEP_1) | instskip(SKIP_2) | instid1(SALU_CYCLE_1)
	s_cmp_lg_u32 s9, 0
	s_addc_u32 s16, s8, s10
	s_ashr_i32 s8, s3, 31
	s_add_u32 s10, s12, s8
	s_addc_u32 s11, s3, s8
	v_readfirstlane_b32 s3, v1
	s_mov_b32 s9, s8
	s_delay_alu instid0(SALU_CYCLE_1) | instskip(NEXT) | instid1(SALU_CYCLE_1)
	s_xor_b64 s[10:11], s[10:11], s[8:9]
	s_mul_i32 s18, s10, s16
	s_delay_alu instid0(VALU_DEP_1)
	s_mul_hi_u32 s19, s10, s3
	s_mul_hi_u32 s17, s10, s16
	;; [unrolled: 1-line block ×3, first 2 shown]
	s_mul_i32 s3, s11, s3
	s_add_u32 s18, s19, s18
	s_addc_u32 s17, 0, s17
	s_mul_hi_u32 s21, s11, s16
	s_add_u32 s3, s18, s3
	s_mul_i32 s16, s11, s16
	s_addc_u32 s3, s17, s22
	s_addc_u32 s17, s21, 0
	s_add_u32 s3, s3, s16
	s_addc_u32 s16, 0, s17
	s_mul_i32 s18, s20, s3
	s_add_u32 s17, s3, 1
	v_sub_co_u32 v1, s10, s10, s18
	s_mul_hi_u32 s18, s20, s3
	s_addc_u32 s19, s16, 0
	s_mul_i32 s21, s20, s16
	s_delay_alu instid0(VALU_DEP_1)
	v_sub_co_u32 v2, s22, v1, s20
	s_add_u32 s23, s3, 2
	s_addc_u32 s24, s16, 0
	s_add_i32 s18, s18, s21
	s_cmp_lg_u32 s10, 0
	v_readfirstlane_b32 s10, v2
	s_subb_u32 s11, s11, s18
	s_cmp_lg_u32 s22, 0
	s_subb_u32 s18, s11, 0
	s_delay_alu instid0(VALU_DEP_1) | instskip(SKIP_4) | instid1(SALU_CYCLE_1)
	s_cmp_ge_u32 s10, s20
	s_cselect_b32 s10, -1, 0
	s_cmp_eq_u32 s18, 0
	v_readfirstlane_b32 s18, v1
	s_cselect_b32 s10, s10, -1
	s_cmp_lg_u32 s10, 0
	s_cselect_b32 s10, s23, s17
	s_cselect_b32 s17, s24, s19
	s_cmp_ge_u32 s18, s20
	s_cselect_b32 s18, -1, 0
	s_cmp_eq_u32 s11, 0
	s_cselect_b32 s11, s18, -1
	s_delay_alu instid0(SALU_CYCLE_1) | instskip(SKIP_2) | instid1(SALU_CYCLE_1)
	s_cmp_lg_u32 s11, 0
	s_cselect_b32 s11, s17, s16
	s_cselect_b32 s10, s10, s3
	s_xor_b64 s[10:11], s[10:11], s[8:9]
	s_delay_alu instid0(SALU_CYCLE_1)
	s_sub_u32 s16, s10, s8
	s_load_b128 s[8:11], s[0:1], 0x44
	s_and_not1_b32 vcc_lo, exec_lo, s2
	s_cbranch_vccnz .LBB23_3
.LBB23_2:
	v_cvt_f32_u32_e32 v1, s20
	s_sub_i32 s3, 0, s20
	s_delay_alu instid0(VALU_DEP_1) | instskip(SKIP_2) | instid1(VALU_DEP_1)
	v_rcp_iflag_f32_e32 v1, v1
	s_waitcnt_depctr 0xfff
	v_mul_f32_e32 v1, 0x4f7ffffe, v1
	v_cvt_u32_f32_e32 v1, v1
	s_delay_alu instid0(VALU_DEP_1) | instskip(NEXT) | instid1(VALU_DEP_1)
	v_readfirstlane_b32 s2, v1
	s_mul_i32 s3, s3, s2
	s_delay_alu instid0(SALU_CYCLE_1) | instskip(NEXT) | instid1(SALU_CYCLE_1)
	s_mul_hi_u32 s3, s2, s3
	s_add_i32 s2, s2, s3
	s_delay_alu instid0(SALU_CYCLE_1) | instskip(NEXT) | instid1(SALU_CYCLE_1)
	s_mul_hi_u32 s2, s12, s2
	s_mul_i32 s3, s2, s20
	s_waitcnt lgkmcnt(0)
	s_add_i32 s11, s2, 1
	s_sub_i32 s3, s12, s3
	s_delay_alu instid0(SALU_CYCLE_1)
	s_sub_i32 s12, s3, s20
	s_cmp_ge_u32 s3, s20
	s_cselect_b32 s2, s11, s2
	s_cselect_b32 s3, s12, s3
	s_add_i32 s11, s2, 1
	s_cmp_ge_u32 s3, s20
	s_cselect_b32 s16, s11, s2
.LBB23_3:
	s_waitcnt lgkmcnt(0)
	s_add_i32 s11, s13, 1
	s_mov_b32 s2, 0
	s_mul_hi_i32 s3, s7, s11
	s_mul_i32 s11, s7, s11
	s_cmp_lg_u64 s[2:3], 0
	s_cbranch_scc0 .LBB23_22
; %bb.4:
	v_cvt_f32_ubyte0_e32 v1, 0
	v_cvt_f32_u32_e32 v2, s20
	s_sub_u32 s18, 0, s20
	s_subb_u32 s19, 0, 0
	s_delay_alu instid0(VALU_DEP_1) | instskip(NEXT) | instid1(VALU_DEP_1)
	v_fmamk_f32 v1, v1, 0x4f800000, v2
	v_rcp_f32_e32 v1, v1
	s_waitcnt_depctr 0xfff
	v_mul_f32_e32 v1, 0x5f7ffffc, v1
	s_delay_alu instid0(VALU_DEP_1) | instskip(NEXT) | instid1(VALU_DEP_1)
	v_mul_f32_e32 v2, 0x2f800000, v1
	v_trunc_f32_e32 v2, v2
	s_delay_alu instid0(VALU_DEP_1) | instskip(SKIP_1) | instid1(VALU_DEP_2)
	v_fmamk_f32 v1, v2, 0xcf800000, v1
	v_cvt_u32_f32_e32 v2, v2
	v_cvt_u32_f32_e32 v1, v1
	s_delay_alu instid0(VALU_DEP_2) | instskip(NEXT) | instid1(VALU_DEP_2)
	v_readfirstlane_b32 s12, v2
	v_readfirstlane_b32 s17, v1
	s_delay_alu instid0(VALU_DEP_2) | instskip(NEXT) | instid1(VALU_DEP_1)
	s_mul_i32 s21, s18, s12
	s_mul_hi_u32 s23, s18, s17
	s_mul_i32 s22, s19, s17
	s_add_i32 s21, s23, s21
	s_mul_i32 s24, s18, s17
	s_add_i32 s21, s21, s22
	s_mul_hi_u32 s23, s17, s24
	s_mul_hi_u32 s25, s12, s24
	s_mul_i32 s22, s12, s24
	s_mul_hi_u32 s24, s17, s21
	s_mul_i32 s17, s17, s21
	s_mul_hi_u32 s26, s12, s21
	s_add_u32 s17, s23, s17
	s_addc_u32 s23, 0, s24
	s_add_u32 s17, s17, s22
	s_mul_i32 s21, s12, s21
	s_addc_u32 s17, s23, s25
	s_addc_u32 s22, s26, 0
	s_add_u32 s17, s17, s21
	s_addc_u32 s21, 0, s22
	v_add_co_u32 v1, s17, v1, s17
	s_delay_alu instid0(VALU_DEP_1) | instskip(SKIP_1) | instid1(VALU_DEP_1)
	s_cmp_lg_u32 s17, 0
	s_addc_u32 s12, s12, s21
	v_readfirstlane_b32 s17, v1
	s_mul_i32 s21, s18, s12
	s_delay_alu instid0(VALU_DEP_1)
	s_mul_hi_u32 s22, s18, s17
	s_mul_i32 s19, s19, s17
	s_add_i32 s21, s22, s21
	s_mul_i32 s18, s18, s17
	s_add_i32 s21, s21, s19
	s_mul_hi_u32 s22, s12, s18
	s_mul_i32 s23, s12, s18
	s_mul_hi_u32 s18, s17, s18
	s_mul_hi_u32 s24, s17, s21
	s_mul_i32 s17, s17, s21
	s_mul_hi_u32 s19, s12, s21
	s_add_u32 s17, s18, s17
	s_addc_u32 s18, 0, s24
	s_add_u32 s17, s17, s23
	s_mul_i32 s21, s12, s21
	s_addc_u32 s17, s18, s22
	s_addc_u32 s18, s19, 0
	s_add_u32 s17, s17, s21
	s_addc_u32 s18, 0, s18
	v_add_co_u32 v1, s17, v1, s17
	s_delay_alu instid0(VALU_DEP_1) | instskip(SKIP_2) | instid1(SALU_CYCLE_1)
	s_cmp_lg_u32 s17, 0
	s_addc_u32 s12, s12, s18
	s_ashr_i32 s18, s3, 31
	s_add_u32 s22, s11, s18
	s_addc_u32 s23, s3, s18
	v_readfirstlane_b32 s3, v1
	s_mov_b32 s19, s18
	s_delay_alu instid0(SALU_CYCLE_1) | instskip(NEXT) | instid1(SALU_CYCLE_1)
	s_xor_b64 s[22:23], s[22:23], s[18:19]
	s_mul_i32 s21, s22, s12
	s_delay_alu instid0(VALU_DEP_1)
	s_mul_hi_u32 s24, s22, s3
	s_mul_hi_u32 s17, s22, s12
	;; [unrolled: 1-line block ×3, first 2 shown]
	s_mul_i32 s3, s23, s3
	s_add_u32 s21, s24, s21
	s_addc_u32 s17, 0, s17
	s_mul_hi_u32 s25, s23, s12
	s_add_u32 s3, s21, s3
	s_mul_i32 s12, s23, s12
	s_addc_u32 s3, s17, s26
	s_addc_u32 s17, s25, 0
	s_add_u32 s3, s3, s12
	s_addc_u32 s12, 0, s17
	s_mul_i32 s21, s20, s3
	s_add_u32 s17, s3, 1
	v_sub_co_u32 v1, s21, s22, s21
	s_mul_hi_u32 s22, s20, s3
	s_addc_u32 s24, s12, 0
	s_mul_i32 s25, s20, s12
	s_delay_alu instid0(VALU_DEP_1)
	v_sub_co_u32 v2, s26, v1, s20
	s_add_u32 s27, s3, 2
	s_addc_u32 s28, s12, 0
	s_add_i32 s22, s22, s25
	s_cmp_lg_u32 s21, 0
	v_readfirstlane_b32 s21, v2
	s_subb_u32 s22, s23, s22
	s_cmp_lg_u32 s26, 0
	s_subb_u32 s23, s22, 0
	s_delay_alu instid0(VALU_DEP_1) | instskip(SKIP_4) | instid1(SALU_CYCLE_1)
	s_cmp_ge_u32 s21, s20
	s_cselect_b32 s21, -1, 0
	s_cmp_eq_u32 s23, 0
	v_readfirstlane_b32 s23, v1
	s_cselect_b32 s21, s21, -1
	s_cmp_lg_u32 s21, 0
	s_cselect_b32 s17, s27, s17
	s_cselect_b32 s21, s28, s24
	s_cmp_ge_u32 s23, s20
	s_cselect_b32 s23, -1, 0
	s_cmp_eq_u32 s22, 0
	s_cselect_b32 s22, s23, -1
	s_delay_alu instid0(SALU_CYCLE_1) | instskip(SKIP_2) | instid1(SALU_CYCLE_1)
	s_cmp_lg_u32 s22, 0
	s_cselect_b32 s23, s21, s12
	s_cselect_b32 s22, s17, s3
	s_xor_b64 s[22:23], s[22:23], s[18:19]
	s_delay_alu instid0(SALU_CYCLE_1)
	s_sub_u32 s18, s22, s18
	s_and_not1_b32 vcc_lo, exec_lo, s2
	s_cbranch_vccnz .LBB23_6
.LBB23_5:
	v_cvt_f32_u32_e32 v1, s20
	s_sub_i32 s3, 0, s20
	s_delay_alu instid0(VALU_DEP_1) | instskip(SKIP_2) | instid1(VALU_DEP_1)
	v_rcp_iflag_f32_e32 v1, v1
	s_waitcnt_depctr 0xfff
	v_mul_f32_e32 v1, 0x4f7ffffe, v1
	v_cvt_u32_f32_e32 v1, v1
	s_delay_alu instid0(VALU_DEP_1) | instskip(NEXT) | instid1(VALU_DEP_1)
	v_readfirstlane_b32 s2, v1
	s_mul_i32 s3, s3, s2
	s_delay_alu instid0(SALU_CYCLE_1) | instskip(NEXT) | instid1(SALU_CYCLE_1)
	s_mul_hi_u32 s3, s2, s3
	s_add_i32 s2, s2, s3
	s_delay_alu instid0(SALU_CYCLE_1) | instskip(NEXT) | instid1(SALU_CYCLE_1)
	s_mul_hi_u32 s2, s11, s2
	s_mul_i32 s3, s2, s20
	s_delay_alu instid0(SALU_CYCLE_1)
	s_sub_i32 s3, s11, s3
	s_add_i32 s11, s2, 1
	s_sub_i32 s12, s3, s20
	s_cmp_ge_u32 s3, s20
	s_cselect_b32 s2, s11, s2
	s_cselect_b32 s3, s12, s3
	s_add_i32 s11, s2, 1
	s_cmp_ge_u32 s3, s20
	s_cselect_b32 s18, s11, s2
.LBB23_6:
	s_delay_alu instid0(SALU_CYCLE_1) | instskip(SKIP_3) | instid1(SALU_CYCLE_1)
	s_cmp_eq_u32 s16, s18
	s_mul_hi_u32 s2, s16, s8
	s_cselect_b32 s3, -1, 0
	s_add_i32 s2, s2, s16
	s_lshr_b32 s11, s2, s9
	s_delay_alu instid0(SALU_CYCLE_1) | instskip(NEXT) | instid1(SALU_CYCLE_1)
	s_mul_i32 s2, s11, s10
	s_cmp_eq_u32 s2, s16
	s_mul_hi_u32 s2, s18, s8
	s_cselect_b32 s12, -1, 0
	s_add_i32 s2, s2, s18
	s_delay_alu instid0(SALU_CYCLE_1) | instskip(NEXT) | instid1(SALU_CYCLE_1)
	s_lshr_b32 s2, s2, s9
	s_cmp_eq_u32 s11, s2
	s_mul_i32 s2, s2, s10
	s_cselect_b32 s17, -1, 0
	s_cmp_lg_u32 s2, s18
	s_cselect_b32 s2, -1, 0
	s_or_b32 s3, s3, s12
	s_and_b32 s2, s17, s2
	s_delay_alu instid0(SALU_CYCLE_1) | instskip(NEXT) | instid1(SALU_CYCLE_1)
	s_or_b32 s2, s3, s2
	s_and_b32 vcc_lo, exec_lo, s2
	s_cbranch_vccnz .LBB23_24
; %bb.7:
	s_load_b256 s[24:31], s[0:1], 0x20
	s_waitcnt lgkmcnt(0)
	s_mul_hi_u32 s2, s16, s24
	s_delay_alu instid0(SALU_CYCLE_1) | instskip(NEXT) | instid1(SALU_CYCLE_1)
	s_add_i32 s2, s2, s16
	s_lshr_b32 s17, s2, s25
	s_load_b32 s2, s[0:1], 0x40
	s_mul_i32 s3, s17, s26
	s_delay_alu instid0(SALU_CYCLE_1) | instskip(NEXT) | instid1(SALU_CYCLE_1)
	s_sub_i32 s3, s16, s3
	s_mul_hi_u32 s12, s3, s27
	s_delay_alu instid0(SALU_CYCLE_1) | instskip(NEXT) | instid1(SALU_CYCLE_1)
	s_add_i32 s12, s3, s12
	s_lshr_b32 s19, s12, s28
	s_delay_alu instid0(SALU_CYCLE_1) | instskip(NEXT) | instid1(SALU_CYCLE_1)
	s_mul_i32 s12, s19, s29
	s_sub_i32 s3, s3, s12
	s_delay_alu instid0(SALU_CYCLE_1) | instskip(NEXT) | instid1(SALU_CYCLE_1)
	s_mul_hi_u32 s12, s3, s30
	s_add_i32 s12, s3, s12
	s_delay_alu instid0(SALU_CYCLE_1)
	s_lshr_b32 s12, s12, s31
	s_waitcnt lgkmcnt(0)
	s_mul_i32 s2, s12, s2
	s_lshl_b32 s21, s12, 2
	s_sub_i32 s2, s3, s2
	s_mov_b32 s12, 0
	s_mul_hi_u32 s3, s2, s8
	s_delay_alu instid0(SALU_CYCLE_1) | instskip(NEXT) | instid1(SALU_CYCLE_1)
	s_add_i32 s2, s2, s3
	s_lshr_b32 s18, s2, s9
	s_delay_alu instid0(SALU_CYCLE_1) | instskip(NEXT) | instid1(SALU_CYCLE_1)
	s_lshl_b32 s2, s18, 3
	s_add_i32 s2, s2, s14
	s_delay_alu instid0(SALU_CYCLE_1) | instskip(SKIP_2) | instid1(SALU_CYCLE_1)
	s_cmp_lt_i32 s2, s4
	s_cselect_b32 s2, -1, 0
	s_add_i32 s21, s21, s15
	s_cmp_lt_i32 s21, s6
	s_cselect_b32 s3, -1, 0
	s_delay_alu instid0(SALU_CYCLE_1) | instskip(NEXT) | instid1(SALU_CYCLE_1)
	s_and_b32 s2, s2, s3
	s_and_not1_b32 vcc_lo, exec_lo, s2
	s_cbranch_vccnz .LBB23_24
; %bb.8:
	s_load_b128 s[0:3], s[0:1], 0x0
	s_lshl_b32 s22, s20, 7
	s_mov_b32 s23, s12
	s_lshl_b32 s24, s14, 2
	s_lshl_b64 s[22:23], s[22:23], 2
	s_mul_i32 s19, s19, s6
	s_mul_i32 s4, s17, s4
	s_add_i32 s6, s24, s15
	v_cvt_f32_ubyte0_e32 v3, 0
	v_cvt_f32_u32_e32 v4, s20
	s_waitcnt lgkmcnt(0)
	s_add_u32 s15, s2, s22
	s_addc_u32 s17, s3, s23
	s_add_i32 s4, s4, s14
	s_add_i32 s14, s21, s19
	s_mul_i32 s4, s4, s5
	s_mul_i32 s5, s5, s18
	s_add_i32 s4, s14, s4
	s_mulk_i32 s5, 0x140
	s_mul_i32 s4, s4, 40
	s_delay_alu instid0(SALU_CYCLE_1) | instskip(NEXT) | instid1(VALU_DEP_1)
	v_add3_u32 v1, s5, s4, v0
	v_ashrrev_i32_e32 v2, 31, v1
	s_delay_alu instid0(VALU_DEP_1) | instskip(NEXT) | instid1(VALU_DEP_1)
	v_lshlrev_b64 v[1:2], 2, v[1:2]
	v_add_co_u32 v1, vcc_lo, s0, v1
	s_delay_alu instid0(VALU_DEP_2) | instskip(SKIP_1) | instid1(SALU_CYCLE_1)
	v_add_co_ci_u32_e32 v2, vcc_lo, s1, v2, vcc_lo
	s_lshl_b32 s0, s13, 5
	s_add_i32 s0, s6, s0
	global_load_b32 v5, v[1:2], off
	s_ashr_i32 s1, s0, 31
	s_delay_alu instid0(SALU_CYCLE_1) | instskip(NEXT) | instid1(SALU_CYCLE_1)
	s_lshl_b64 s[0:1], s[0:1], 3
	s_add_u32 s0, s2, s0
	s_addc_u32 s1, s3, s1
	s_add_i32 s18, s13, -1
	s_load_b64 s[0:1], s[0:1], 0x0
	v_fmac_f32_e32 v4, 0x4f800000, v3
	s_sub_i32 s14, 0, s20
	s_delay_alu instid0(VALU_DEP_1)
	v_rcp_f32_e32 v3, v4
	s_waitcnt_depctr 0xfff
	v_mul_f32_e32 v6, 0x5f7ffffc, v3
	v_cvt_f32_u32_e32 v3, s20
	s_waitcnt lgkmcnt(0)
	v_mov_b32_e32 v8, s0
	s_delay_alu instid0(VALU_DEP_3) | instskip(NEXT) | instid1(VALU_DEP_3)
	v_mul_f32_e32 v4, 0x2f800000, v6
	v_rcp_iflag_f32_e32 v7, v3
	s_delay_alu instid0(VALU_DEP_1) | instskip(SKIP_1) | instid1(VALU_DEP_2)
	v_trunc_f32_e32 v9, v4
	v_mad_u64_u32 v[3:4], null, s6, 40, v[0:1]
	v_fmac_f32_e32 v6, 0xcf800000, v9
	s_waitcnt_depctr 0xfff
	v_dual_mul_f32 v10, 0x4f7ffffe, v7 :: v_dual_mov_b32 v7, s1
	v_cvt_u32_f32_e32 v4, v9
	v_cvt_u32_f32_e32 v0, v6
	s_delay_alu instid0(VALU_DEP_3)
	v_cvt_u32_f32_e32 v6, v10
.LBB23_9:                               ; =>This Inner Loop Header: Depth=1
	s_mul_hi_i32 s13, s18, s7
	s_mul_i32 s4, s18, s7
	s_cmp_lg_u64 s[12:13], 0
	s_mov_b32 s5, -1
                                        ; implicit-def: $sgpr0_sgpr1
	s_cbranch_scc0 .LBB23_11
; %bb.10:                               ;   in Loop: Header=BB23_9 Depth=1
	v_readfirstlane_b32 s0, v0
	v_readfirstlane_b32 s1, v4
	s_sub_u32 s5, 0, s20
	s_subb_u32 s19, 0, 0
	s_delay_alu instid0(VALU_DEP_2) | instskip(NEXT) | instid1(VALU_DEP_1)
	s_mul_hi_u32 s21, s5, s0
	s_mul_i32 s22, s5, s1
	s_mul_i32 s23, s19, s0
	s_add_i32 s21, s21, s22
	s_mul_i32 s22, s5, s0
	s_add_i32 s21, s21, s23
	s_mul_hi_u32 s23, s0, s22
	s_mul_i32 s24, s0, s21
	s_mul_hi_u32 s0, s0, s21
	s_add_u32 s23, s23, s24
	s_mul_i32 s25, s1, s22
	s_addc_u32 s0, 0, s0
	s_mul_hi_u32 s22, s1, s22
	s_mul_hi_u32 s24, s1, s21
	s_add_u32 s23, s23, s25
	s_addc_u32 s0, s0, s22
	s_mul_i32 s21, s1, s21
	s_addc_u32 s22, s24, 0
	s_add_u32 s0, s0, s21
	s_addc_u32 s21, 0, s22
	v_add_co_u32 v9, s0, v0, s0
	s_delay_alu instid0(VALU_DEP_1) | instskip(SKIP_1) | instid1(VALU_DEP_1)
	s_cmp_lg_u32 s0, 0
	s_addc_u32 s1, s1, s21
	v_readfirstlane_b32 s0, v9
	s_mul_i32 s21, s5, s1
	s_delay_alu instid0(VALU_DEP_1)
	s_mul_hi_u32 s22, s5, s0
	s_mul_i32 s19, s19, s0
	s_add_i32 s21, s22, s21
	s_mul_i32 s5, s5, s0
	s_add_i32 s21, s21, s19
	s_mul_hi_u32 s19, s1, s5
	s_mul_i32 s23, s1, s5
	s_mul_i32 s24, s0, s21
	s_mul_hi_u32 s5, s0, s5
	s_mul_hi_u32 s0, s0, s21
	s_add_u32 s5, s5, s24
	s_addc_u32 s0, 0, s0
	s_mul_hi_u32 s22, s1, s21
	s_add_u32 s5, s5, s23
	s_addc_u32 s0, s0, s19
	s_mul_i32 s5, s1, s21
	s_addc_u32 s19, s22, 0
	s_add_u32 s0, s0, s5
	s_addc_u32 s5, 0, s19
	v_add_co_u32 v9, s0, v9, s0
	s_delay_alu instid0(VALU_DEP_1) | instskip(SKIP_2) | instid1(SALU_CYCLE_1)
	s_cmp_lg_u32 s0, 0
	s_addc_u32 s5, s1, s5
	s_ashr_i32 s0, s13, 31
	s_add_u32 s22, s4, s0
	s_addc_u32 s23, s13, s0
	v_readfirstlane_b32 s13, v9
	s_mov_b32 s1, s0
	s_delay_alu instid0(SALU_CYCLE_1) | instskip(NEXT) | instid1(SALU_CYCLE_1)
	s_xor_b64 s[22:23], s[22:23], s[0:1]
	s_mul_i32 s19, s22, s5
	s_delay_alu instid0(VALU_DEP_1)
	s_mul_hi_u32 s21, s22, s13
	s_mul_hi_u32 s24, s22, s5
	s_add_u32 s19, s21, s19
	s_mul_i32 s25, s23, s13
	s_addc_u32 s21, 0, s24
	s_mul_hi_u32 s13, s23, s13
	s_mul_hi_u32 s24, s23, s5
	s_add_u32 s19, s19, s25
	s_addc_u32 s13, s21, s13
	s_mul_i32 s5, s23, s5
	s_addc_u32 s19, s24, 0
	s_add_u32 s5, s13, s5
	s_addc_u32 s13, 0, s19
	s_mul_i32 s21, s20, s5
	s_add_u32 s19, s5, 1
	v_sub_co_u32 v9, s21, s22, s21
	s_addc_u32 s22, s13, 0
	s_mul_i32 s25, s20, s13
	s_mul_hi_u32 s27, s20, s5
	s_delay_alu instid0(VALU_DEP_1)
	v_sub_co_u32 v10, s26, v9, s20
	s_add_u32 s24, s5, 2
	s_addc_u32 s28, s13, 0
	s_add_i32 s27, s27, s25
	s_cmp_lg_u32 s21, 0
	v_readfirstlane_b32 s21, v10
	s_subb_u32 s23, s23, s27
	s_cmp_lg_u32 s26, 0
	s_subb_u32 s25, s23, 0
	s_delay_alu instid0(VALU_DEP_1) | instskip(SKIP_4) | instid1(SALU_CYCLE_1)
	s_cmp_ge_u32 s21, s20
	s_cselect_b32 s21, -1, 0
	s_cmp_eq_u32 s25, 0
	v_readfirstlane_b32 s25, v9
	s_cselect_b32 s21, s21, -1
	s_cmp_lg_u32 s21, 0
	s_cselect_b32 s19, s24, s19
	s_cselect_b32 s21, s28, s22
	s_cmp_ge_u32 s25, s20
	s_cselect_b32 s22, -1, 0
	s_cmp_eq_u32 s23, 0
	s_cselect_b32 s22, s22, -1
	s_delay_alu instid0(SALU_CYCLE_1) | instskip(SKIP_4) | instid1(SALU_CYCLE_1)
	s_cmp_lg_u32 s22, 0
	s_cselect_b32 s23, s21, s13
	s_cselect_b32 s22, s19, s5
	s_mov_b32 s5, 0
	s_xor_b64 s[22:23], s[22:23], s[0:1]
	s_sub_u32 s0, s22, s0
.LBB23_11:                              ;   in Loop: Header=BB23_9 Depth=1
	s_and_not1_b32 vcc_lo, exec_lo, s5
	s_cbranch_vccnz .LBB23_13
; %bb.12:                               ;   in Loop: Header=BB23_9 Depth=1
	v_readfirstlane_b32 s0, v6
	s_delay_alu instid0(VALU_DEP_1) | instskip(NEXT) | instid1(SALU_CYCLE_1)
	s_mul_i32 s1, s14, s0
	s_mul_hi_u32 s1, s0, s1
	s_delay_alu instid0(SALU_CYCLE_1) | instskip(NEXT) | instid1(SALU_CYCLE_1)
	s_add_i32 s0, s0, s1
	s_mul_hi_u32 s0, s4, s0
	s_delay_alu instid0(SALU_CYCLE_1) | instskip(NEXT) | instid1(SALU_CYCLE_1)
	s_mul_i32 s1, s0, s20
	s_sub_i32 s1, s4, s1
	s_add_i32 s4, s0, 1
	s_sub_i32 s5, s1, s20
	s_cmp_ge_u32 s1, s20
	s_cselect_b32 s0, s4, s0
	s_cselect_b32 s1, s5, s1
	s_add_i32 s4, s0, 1
	s_cmp_ge_u32 s1, s20
	s_cselect_b32 s0, s4, s0
.LBB23_13:                              ;   in Loop: Header=BB23_9 Depth=1
	s_delay_alu instid0(SALU_CYCLE_1)
	s_cmp_lg_u32 s16, s0
	s_cbranch_scc0 .LBB23_17
; %bb.14:                               ;   in Loop: Header=BB23_9 Depth=1
	s_add_i32 s1, s18, s20
	s_mov_b32 s5, s12
	s_lshl_b32 s1, s1, 5
	s_mov_b32 s19, s16
	s_add_i32 s4, s1, s6
	s_mul_hi_u32 s1, s0, s8
	s_lshl_b64 s[4:5], s[4:5], 3
	s_delay_alu instid0(SALU_CYCLE_1) | instskip(SKIP_2) | instid1(SALU_CYCLE_1)
	s_add_u32 s4, s2, s4
	s_addc_u32 s5, s3, s5
	s_add_i32 s1, s1, s0
	s_lshr_b32 s1, s1, s9
	s_delay_alu instid0(SALU_CYCLE_1) | instskip(NEXT) | instid1(SALU_CYCLE_1)
	s_mul_i32 s13, s1, s10
	s_cmp_eq_u32 s13, s0
	s_cselect_b32 s13, -1, 0
	s_cmp_lt_u32 s1, s11
	s_cselect_b32 s1, -1, 0
	s_delay_alu instid0(SALU_CYCLE_1)
	s_or_b32 s1, s1, s13
	s_mov_b32 s13, -1
	s_and_b32 vcc_lo, exec_lo, s1
	s_mov_b32 s1, s18
	s_cbranch_vccnz .LBB23_16
; %bb.15:                               ;   in Loop: Header=BB23_9 Depth=1
	s_add_i32 s1, s18, -1
	s_mov_b32 s13, 0
	s_mov_b32 s19, s0
.LBB23_16:                              ;   in Loop: Header=BB23_9 Depth=1
	v_mad_u64_u32 v[9:10], null, 0x500, s18, v[3:4]
	s_load_b64 s[4:5], s[4:5], 0x0
	s_delay_alu instid0(VALU_DEP_1) | instskip(NEXT) | instid1(VALU_DEP_1)
	v_ashrrev_i32_e32 v10, 31, v9
	v_lshlrev_b64 v[9:10], 2, v[9:10]
	s_delay_alu instid0(VALU_DEP_1) | instskip(NEXT) | instid1(VALU_DEP_2)
	v_add_co_u32 v9, vcc_lo, s15, v9
	v_add_co_ci_u32_e32 v10, vcc_lo, s17, v10, vcc_lo
	s_waitcnt lgkmcnt(0)
	v_max_f32_e64 v11, s4, s4
	global_load_b32 v10, v[9:10], off
	v_max_f32_e32 v9, v8, v8
	s_delay_alu instid0(VALU_DEP_1) | instskip(NEXT) | instid1(VALU_DEP_1)
	v_max_f32_e32 v9, v9, v11
	v_sub_f32_e32 v12, v8, v9
	s_delay_alu instid0(VALU_DEP_1) | instskip(NEXT) | instid1(VALU_DEP_1)
	v_dual_mul_f32 v14, 0x3fb8aa3b, v12 :: v_dual_sub_f32 v11, s4, v9
	v_rndne_f32_e32 v18, v14
	s_delay_alu instid0(VALU_DEP_2) | instskip(SKIP_2) | instid1(VALU_DEP_4)
	v_mul_f32_e32 v13, 0x3fb8aa3b, v11
	v_fma_f32 v17, 0x3fb8aa3b, v12, -v14
	v_cmp_ngt_f32_e32 vcc_lo, 0xc2ce8ed0, v11
	v_sub_f32_e32 v14, v14, v18
	s_delay_alu instid0(VALU_DEP_4) | instskip(SKIP_2) | instid1(VALU_DEP_3)
	v_fma_f32 v15, 0x3fb8aa3b, v11, -v13
	v_rndne_f32_e32 v16, v13
	v_fmac_f32_e32 v17, 0x32a5705f, v12
	v_fmac_f32_e32 v15, 0x32a5705f, v11
	s_delay_alu instid0(VALU_DEP_2) | instskip(NEXT) | instid1(VALU_DEP_1)
	v_dual_sub_f32 v13, v13, v16 :: v_dual_add_f32 v14, v14, v17
	v_add_f32_e32 v13, v13, v15
	s_delay_alu instid0(VALU_DEP_2) | instskip(SKIP_2) | instid1(VALU_DEP_3)
	v_exp_f32_e32 v14, v14
	v_cvt_i32_f32_e32 v15, v16
	v_cvt_i32_f32_e32 v16, v18
	v_exp_f32_e32 v13, v13
	s_waitcnt_depctr 0xfff
	v_ldexp_f32 v14, v14, v16
	v_ldexp_f32 v13, v13, v15
	s_delay_alu instid0(VALU_DEP_1) | instskip(SKIP_1) | instid1(VALU_DEP_4)
	v_cndmask_b32_e32 v13, 0, v13, vcc_lo
	v_cmp_ngt_f32_e32 vcc_lo, 0xc2ce8ed0, v12
	v_cndmask_b32_e32 v14, 0, v14, vcc_lo
	v_cmp_nlt_f32_e32 vcc_lo, 0x42b17218, v11
	s_delay_alu instid0(VALU_DEP_4) | instskip(SKIP_1) | instid1(VALU_DEP_4)
	v_cndmask_b32_e32 v13, 0x7f800000, v13, vcc_lo
	v_cmp_nlt_f32_e32 vcc_lo, 0x42b17218, v12
	v_cndmask_b32_e32 v14, 0x7f800000, v14, vcc_lo
	v_cmp_le_f32_e32 vcc_lo, 0xc1a00000, v11
	s_delay_alu instid0(VALU_DEP_4) | instskip(SKIP_1) | instid1(VALU_DEP_4)
	v_cndmask_b32_e32 v11, 0, v13, vcc_lo
	v_cmp_le_f32_e32 vcc_lo, 0xc1a00000, v12
	v_cndmask_b32_e32 v12, 0, v14, vcc_lo
	s_waitcnt vmcnt(0)
	s_delay_alu instid0(VALU_DEP_3) | instskip(NEXT) | instid1(VALU_DEP_1)
	v_mul_f32_e32 v10, v10, v11
	v_dual_mul_f32 v11, s5, v11 :: v_dual_fmac_f32 v10, v5, v12
	s_delay_alu instid0(VALU_DEP_1)
	v_fmac_f32_e32 v11, v7, v12
	s_cbranch_execz .LBB23_18
	s_branch .LBB23_19
.LBB23_17:                              ;   in Loop: Header=BB23_9 Depth=1
                                        ; implicit-def: $sgpr13
                                        ; implicit-def: $vgpr10
                                        ; implicit-def: $vgpr9
                                        ; implicit-def: $vgpr11
                                        ; implicit-def: $sgpr1
                                        ; implicit-def: $sgpr19
.LBB23_18:                              ;   in Loop: Header=BB23_9 Depth=1
	s_waitcnt vmcnt(0)
	v_dual_mov_b32 v11, v7 :: v_dual_mov_b32 v10, v5
	v_mov_b32_e32 v9, v8
	s_add_i32 s1, s18, -1
	s_mov_b32 s13, 0
	s_mov_b32 s19, s16
.LBB23_19:                              ;   in Loop: Header=BB23_9 Depth=1
	s_and_not1_b32 vcc_lo, exec_lo, s13
	s_cbranch_vccz .LBB23_23
; %bb.20:                               ;   in Loop: Header=BB23_9 Depth=1
	v_dual_mov_b32 v7, v11 :: v_dual_mov_b32 v8, v9
	s_waitcnt vmcnt(0)
	v_mov_b32_e32 v5, v10
	s_mov_b32 s16, s19
	s_mov_b32 s18, s1
	s_branch .LBB23_9
.LBB23_21:
                                        ; implicit-def: $sgpr16_sgpr17
	s_load_b128 s[8:11], s[0:1], 0x44
	s_branch .LBB23_2
.LBB23_22:
                                        ; implicit-def: $sgpr18_sgpr19
	s_branch .LBB23_5
.LBB23_23:
	v_div_scale_f32 v0, null, v11, v11, v10
	s_delay_alu instid0(VALU_DEP_1) | instskip(SKIP_2) | instid1(VALU_DEP_1)
	v_rcp_f32_e32 v3, v0
	s_waitcnt_depctr 0xfff
	v_fma_f32 v4, -v0, v3, 1.0
	v_fmac_f32_e32 v3, v4, v3
	v_div_scale_f32 v4, vcc_lo, v10, v11, v10
	s_waitcnt vmcnt(0)
	s_delay_alu instid0(VALU_DEP_1) | instskip(NEXT) | instid1(VALU_DEP_1)
	v_mul_f32_e32 v5, v4, v3
	v_fma_f32 v6, -v0, v5, v4
	s_delay_alu instid0(VALU_DEP_1) | instskip(NEXT) | instid1(VALU_DEP_1)
	v_fmac_f32_e32 v5, v6, v3
	v_fma_f32 v0, -v0, v5, v4
	s_delay_alu instid0(VALU_DEP_1) | instskip(NEXT) | instid1(VALU_DEP_1)
	v_div_fmas_f32 v0, v0, v3, v5
	v_div_fixup_f32 v0, v0, v11, v10
	global_store_b32 v[1:2], v0, off
.LBB23_24:
	s_nop 0
	s_sendmsg sendmsg(MSG_DEALLOC_VGPRS)
	s_endpgm
	.section	.rodata,"a",@progbits
	.p2align	6, 0x0
	.amdhsa_kernel _ZL33flash_attn_stream_k_fixup_generalILi40ELi8ELi4EEvPfPK15HIP_vector_typeIfLj2EEiiiiS1_IjLj3EES5_S5_S5_
		.amdhsa_group_segment_fixed_size 0
		.amdhsa_private_segment_fixed_size 0
		.amdhsa_kernarg_size 336
		.amdhsa_user_sgpr_count 13
		.amdhsa_user_sgpr_dispatch_ptr 0
		.amdhsa_user_sgpr_queue_ptr 0
		.amdhsa_user_sgpr_kernarg_segment_ptr 1
		.amdhsa_user_sgpr_dispatch_id 0
		.amdhsa_user_sgpr_private_segment_size 0
		.amdhsa_wavefront_size32 1
		.amdhsa_uses_dynamic_stack 0
		.amdhsa_enable_private_segment 0
		.amdhsa_system_sgpr_workgroup_id_x 1
		.amdhsa_system_sgpr_workgroup_id_y 1
		.amdhsa_system_sgpr_workgroup_id_z 1
		.amdhsa_system_sgpr_workgroup_info 0
		.amdhsa_system_vgpr_workitem_id 0
		.amdhsa_next_free_vgpr 19
		.amdhsa_next_free_sgpr 32
		.amdhsa_reserve_vcc 1
		.amdhsa_float_round_mode_32 0
		.amdhsa_float_round_mode_16_64 0
		.amdhsa_float_denorm_mode_32 3
		.amdhsa_float_denorm_mode_16_64 3
		.amdhsa_dx10_clamp 1
		.amdhsa_ieee_mode 1
		.amdhsa_fp16_overflow 0
		.amdhsa_workgroup_processor_mode 1
		.amdhsa_memory_ordered 1
		.amdhsa_forward_progress 0
		.amdhsa_shared_vgpr_count 0
		.amdhsa_exception_fp_ieee_invalid_op 0
		.amdhsa_exception_fp_denorm_src 0
		.amdhsa_exception_fp_ieee_div_zero 0
		.amdhsa_exception_fp_ieee_overflow 0
		.amdhsa_exception_fp_ieee_underflow 0
		.amdhsa_exception_fp_ieee_inexact 0
		.amdhsa_exception_int_div_zero 0
	.end_amdhsa_kernel
	.section	.text._ZL33flash_attn_stream_k_fixup_generalILi40ELi8ELi4EEvPfPK15HIP_vector_typeIfLj2EEiiiiS1_IjLj3EES5_S5_S5_,"axG",@progbits,_ZL33flash_attn_stream_k_fixup_generalILi40ELi8ELi4EEvPfPK15HIP_vector_typeIfLj2EEiiiiS1_IjLj3EES5_S5_S5_,comdat
.Lfunc_end23:
	.size	_ZL33flash_attn_stream_k_fixup_generalILi40ELi8ELi4EEvPfPK15HIP_vector_typeIfLj2EEiiiiS1_IjLj3EES5_S5_S5_, .Lfunc_end23-_ZL33flash_attn_stream_k_fixup_generalILi40ELi8ELi4EEvPfPK15HIP_vector_typeIfLj2EEiiiiS1_IjLj3EES5_S5_S5_
                                        ; -- End function
	.section	.AMDGPU.csdata,"",@progbits
; Kernel info:
; codeLenInByte = 3220
; NumSgprs: 34
; NumVgprs: 19
; ScratchSize: 0
; MemoryBound: 0
; FloatMode: 240
; IeeeMode: 1
; LDSByteSize: 0 bytes/workgroup (compile time only)
; SGPRBlocks: 4
; VGPRBlocks: 2
; NumSGPRsForWavesPerEU: 34
; NumVGPRsForWavesPerEU: 19
; Occupancy: 16
; WaveLimiterHint : 0
; COMPUTE_PGM_RSRC2:SCRATCH_EN: 0
; COMPUTE_PGM_RSRC2:USER_SGPR: 13
; COMPUTE_PGM_RSRC2:TRAP_HANDLER: 0
; COMPUTE_PGM_RSRC2:TGID_X_EN: 1
; COMPUTE_PGM_RSRC2:TGID_Y_EN: 1
; COMPUTE_PGM_RSRC2:TGID_Z_EN: 1
; COMPUTE_PGM_RSRC2:TIDIG_COMP_CNT: 0
	.section	.text._ZL15flash_attn_tileILi40ELi40ELi4ELi4ELb0EEvPKcS1_S1_S1_S1_PKiPfP15HIP_vector_typeIfLj2EEffffjfiS5_IjLj3EEiiiiiiiiiiiliiliiiiil,"axG",@progbits,_ZL15flash_attn_tileILi40ELi40ELi4ELi4ELb0EEvPKcS1_S1_S1_S1_PKiPfP15HIP_vector_typeIfLj2EEffffjfiS5_IjLj3EEiiiiiiiiiiiliiliiiiil,comdat
	.globl	_ZL15flash_attn_tileILi40ELi40ELi4ELi4ELb0EEvPKcS1_S1_S1_S1_PKiPfP15HIP_vector_typeIfLj2EEffffjfiS5_IjLj3EEiiiiiiiiiiiliiliiiiil ; -- Begin function _ZL15flash_attn_tileILi40ELi40ELi4ELi4ELb0EEvPKcS1_S1_S1_S1_PKiPfP15HIP_vector_typeIfLj2EEffffjfiS5_IjLj3EEiiiiiiiiiiiliiliiiiil
	.p2align	8
	.type	_ZL15flash_attn_tileILi40ELi40ELi4ELi4ELb0EEvPKcS1_S1_S1_S1_PKiPfP15HIP_vector_typeIfLj2EEffffjfiS5_IjLj3EEiiiiiiiiiiiliiliiiiil,@function
_ZL15flash_attn_tileILi40ELi40ELi4ELi4ELb0EEvPKcS1_S1_S1_S1_PKiPfP15HIP_vector_typeIfLj2EEffffjfiS5_IjLj3EEiiiiiiiiiiiliiliiiiil: ; @_ZL15flash_attn_tileILi40ELi40ELi4ELi4ELb0EEvPKcS1_S1_S1_S1_PKiPfP15HIP_vector_typeIfLj2EEffffjfiS5_IjLj3EEiiiiiiiiiiiliiliiiiil
; %bb.0:
	s_clause 0x1
	s_load_b128 s[8:11], s[0:1], 0x5c
	s_load_b64 s[34:35], s[0:1], 0x80
	s_mov_b64 s[36:37], 0
	s_waitcnt lgkmcnt(0)
	s_ashr_i32 s2, s11, 31
	s_delay_alu instid0(SALU_CYCLE_1) | instskip(NEXT) | instid1(SALU_CYCLE_1)
	s_lshr_b32 s2, s2, 30
	s_add_i32 s2, s11, s2
	s_delay_alu instid0(SALU_CYCLE_1) | instskip(NEXT) | instid1(SALU_CYCLE_1)
	s_ashr_i32 s2, s2, 2
	v_cvt_f32_u32_e32 v1, s2
	s_sub_i32 s4, 0, s2
	s_delay_alu instid0(VALU_DEP_1) | instskip(SKIP_2) | instid1(VALU_DEP_1)
	v_rcp_iflag_f32_e32 v1, v1
	s_waitcnt_depctr 0xfff
	v_mul_f32_e32 v1, 0x4f7ffffe, v1
	v_cvt_u32_f32_e32 v1, v1
	s_delay_alu instid0(VALU_DEP_1) | instskip(NEXT) | instid1(VALU_DEP_1)
	v_readfirstlane_b32 s3, v1
	s_mul_i32 s4, s4, s3
	s_delay_alu instid0(SALU_CYCLE_1) | instskip(NEXT) | instid1(SALU_CYCLE_1)
	s_mul_hi_u32 s4, s3, s4
	s_add_i32 s3, s3, s4
	s_delay_alu instid0(SALU_CYCLE_1) | instskip(NEXT) | instid1(SALU_CYCLE_1)
	s_mul_hi_u32 s3, s15, s3
	s_mul_i32 s4, s3, s2
	s_add_i32 s5, s3, 1
	s_sub_i32 s4, s15, s4
	s_delay_alu instid0(SALU_CYCLE_1)
	s_sub_i32 s6, s4, s2
	s_cmp_ge_u32 s4, s2
	s_cselect_b32 s3, s5, s3
	s_cselect_b32 s4, s6, s4
	s_add_i32 s5, s3, 1
	s_cmp_ge_u32 s4, s2
	s_cselect_b32 s33, s5, s3
	s_abs_i32 s2, s35
	s_abs_i32 s5, s11
	v_cvt_f32_u32_e32 v1, s2
	s_sub_i32 s4, 0, s2
	s_xor_b32 s6, s11, s35
	s_delay_alu instid0(SALU_CYCLE_1) | instskip(NEXT) | instid1(VALU_DEP_1)
	s_ashr_i32 s6, s6, 31
	v_rcp_iflag_f32_e32 v1, v1
	s_waitcnt_depctr 0xfff
	v_mul_f32_e32 v1, 0x4f7ffffe, v1
	s_delay_alu instid0(VALU_DEP_1) | instskip(NEXT) | instid1(VALU_DEP_1)
	v_cvt_u32_f32_e32 v1, v1
	v_readfirstlane_b32 s3, v1
	s_delay_alu instid0(VALU_DEP_1) | instskip(NEXT) | instid1(SALU_CYCLE_1)
	s_mul_i32 s4, s4, s3
	s_mul_hi_u32 s4, s3, s4
	s_delay_alu instid0(SALU_CYCLE_1) | instskip(SKIP_2) | instid1(SALU_CYCLE_1)
	s_add_i32 s3, s3, s4
	s_lshl_b32 s4, s15, 2
	s_mul_hi_u32 s3, s5, s3
	s_mul_i32 s7, s3, s2
	s_delay_alu instid0(SALU_CYCLE_1)
	s_sub_i32 s5, s5, s7
	s_add_i32 s7, s3, 1
	s_sub_i32 s12, s5, s2
	s_cmp_ge_u32 s5, s2
	s_cselect_b32 s3, s7, s3
	s_cselect_b32 s5, s12, s5
	s_add_i32 s7, s3, 1
	s_cmp_ge_u32 s5, s2
	s_mul_i32 s5, s33, s11
	s_cselect_b32 s2, s7, s3
	s_delay_alu instid0(SALU_CYCLE_1) | instskip(NEXT) | instid1(SALU_CYCLE_1)
	s_xor_b32 s2, s2, s6
	s_sub_i32 s35, s2, s6
	s_clause 0x1
	s_load_b512 s[16:31], s[0:1], 0x0
	s_load_b64 s[2:3], s[0:1], 0xb8
	s_abs_i32 s12, s35
	s_delay_alu instid0(SALU_CYCLE_1) | instskip(NEXT) | instid1(VALU_DEP_1)
	v_cvt_f32_u32_e32 v1, s12
	v_rcp_iflag_f32_e32 v1, v1
	s_waitcnt_depctr 0xfff
	v_mul_f32_e32 v1, 0x4f7ffffe, v1
	s_waitcnt lgkmcnt(0)
	s_cmp_eq_u64 s[22:23], 0
	s_delay_alu instid0(VALU_DEP_1) | instskip(NEXT) | instid1(VALU_DEP_1)
	v_cvt_u32_f32_e32 v1, v1
	v_readfirstlane_b32 s38, v1
	s_cbranch_scc1 .LBB24_2
; %bb.1:
	s_abs_i32 s2, s2
	s_abs_i32 s15, s33
	v_cvt_f32_u32_e32 v1, s2
	s_sub_i32 s7, 0, s2
	s_delay_alu instid0(VALU_DEP_1) | instskip(SKIP_2) | instid1(VALU_DEP_1)
	v_rcp_iflag_f32_e32 v1, v1
	s_waitcnt_depctr 0xfff
	v_mul_f32_e32 v1, 0x4f7ffffe, v1
	v_cvt_u32_f32_e32 v1, v1
	s_delay_alu instid0(VALU_DEP_1) | instskip(NEXT) | instid1(VALU_DEP_1)
	v_readfirstlane_b32 s6, v1
	s_mul_i32 s7, s7, s6
	s_delay_alu instid0(SALU_CYCLE_1) | instskip(NEXT) | instid1(SALU_CYCLE_1)
	s_mul_hi_u32 s7, s6, s7
	s_add_i32 s36, s6, s7
	s_load_b64 s[6:7], s[0:1], 0xc8
	s_mul_hi_u32 s36, s15, s36
	s_delay_alu instid0(SALU_CYCLE_1) | instskip(NEXT) | instid1(SALU_CYCLE_1)
	s_mul_i32 s36, s36, s2
	s_sub_i32 s15, s15, s36
	s_ashr_i32 s36, s33, 31
	s_sub_i32 s37, s15, s2
	s_cmp_ge_u32 s15, s2
	s_cselect_b32 s15, s37, s15
	s_delay_alu instid0(SALU_CYCLE_1) | instskip(SKIP_2) | instid1(SALU_CYCLE_1)
	s_sub_i32 s37, s15, s2
	s_cmp_ge_u32 s15, s2
	s_cselect_b32 s2, s37, s15
	s_xor_b32 s2, s2, s36
	s_delay_alu instid0(SALU_CYCLE_1)
	s_sub_i32 s2, s2, s36
	s_waitcnt lgkmcnt(0)
	s_mul_i32 s7, s2, s7
	s_mul_hi_u32 s15, s2, s6
	s_ashr_i32 s36, s2, 31
	s_add_i32 s7, s15, s7
	s_mul_i32 s36, s36, s6
	s_mul_i32 s2, s2, s6
	s_add_i32 s7, s7, s36
	s_add_u32 s36, s22, s2
	s_addc_u32 s37, s23, s7
.LBB24_2:
	v_bfe_u32 v7, v0, 10, 10
	s_delay_alu instid0(VALU_DEP_1) | instskip(SKIP_1) | instid1(VALU_DEP_2)
	v_lshrrev_b32_e32 v1, 1, v7
	v_lshlrev_b32_e32 v3, 1, v7
	v_lshl_add_u32 v2, s13, 2, v1
	s_delay_alu instid0(VALU_DEP_2) | instskip(NEXT) | instid1(VALU_DEP_2)
	v_and_b32_e32 v14, 2, v3
	v_mul_hi_u32 v1, s8, v2
	s_delay_alu instid0(VALU_DEP_1) | instskip(NEXT) | instid1(VALU_DEP_1)
	v_add_nc_u32_e32 v1, v2, v1
	v_lshrrev_b32_e32 v1, s9, v1
	s_sub_i32 s9, s4, s5
	s_delay_alu instid0(VALU_DEP_1) | instskip(SKIP_1) | instid1(VALU_DEP_1)
	v_mul_lo_u32 v4, v1, s10
	v_and_b32_e32 v1, 0x3ff, v0
	v_cmp_gt_u32_e64 s2, 20, v1
	v_lshlrev_b32_e32 v0, 1, v1
	s_delay_alu instid0(VALU_DEP_4) | instskip(NEXT) | instid1(VALU_DEP_3)
	v_sub_nc_u32_e32 v8, v2, v4
	s_and_saveexec_b32 s8, s2
	s_cbranch_execz .LBB24_4
; %bb.3:
	s_load_b128 s[4:7], s[0:1], 0x70
	v_or_b32_e32 v13, 1, v3
	s_waitcnt lgkmcnt(0)
	s_mul_i32 s6, s33, s6
	s_mul_i32 s7, s9, s5
	s_ashr_i32 s15, s6, 31
	s_add_u32 s6, s16, s6
	s_addc_u32 s15, s17, s15
	s_ashr_i32 s16, s7, 31
	s_add_u32 s6, s6, s7
	s_addc_u32 s7, s15, s16
	s_ashr_i32 s15, s4, 31
	s_delay_alu instid0(SALU_CYCLE_1) | instskip(SKIP_2) | instid1(SALU_CYCLE_1)
	v_alignbit_b32 v5, s15, s4, 2
	s_lshr_b32 s15, s15, 2
	s_ashr_i32 s4, s5, 31
	v_alignbit_b32 v15, s4, s5, 2
	s_delay_alu instid0(VALU_DEP_2) | instskip(SKIP_4) | instid1(VALU_DEP_3)
	v_mad_u64_u32 v[3:4], null, v5, v8, 0
	s_lshr_b32 s16, s4, 2
	s_load_b32 s4, s[0:1], 0x40
	v_mul_lo_u32 v16, s16, v14
	v_mad_u64_u32 v[11:12], null, v15, v14, 0
	v_mad_u64_u32 v[5:6], null, s15, v8, v[4:5]
	v_and_b32_e32 v17, 3, v13
	s_delay_alu instid0(VALU_DEP_3) | instskip(NEXT) | instid1(VALU_DEP_3)
	v_or_b32_e32 v12, v12, v16
	v_mov_b32_e32 v4, v5
	s_delay_alu instid0(VALU_DEP_3) | instskip(NEXT) | instid1(VALU_DEP_2)
	v_mad_u64_u32 v[9:10], null, v15, v17, 0
	v_lshlrev_b64 v[3:4], 2, v[3:4]
	s_delay_alu instid0(VALU_DEP_2) | instskip(NEXT) | instid1(VALU_DEP_2)
	v_mov_b32_e32 v5, v10
	v_add_co_u32 v3, vcc_lo, s6, v3
	s_delay_alu instid0(VALU_DEP_3) | instskip(NEXT) | instid1(VALU_DEP_3)
	v_add_co_ci_u32_e32 v4, vcc_lo, s7, v4, vcc_lo
	v_mad_u64_u32 v[15:16], null, s16, v17, v[5:6]
	v_lshlrev_b32_e32 v16, 2, v0
	v_lshlrev_b64 v[5:6], 2, v[11:12]
	s_delay_alu instid0(VALU_DEP_2) | instskip(NEXT) | instid1(VALU_DEP_4)
	v_add_co_u32 v11, vcc_lo, v3, v16
	v_mov_b32_e32 v10, v15
	v_add_co_ci_u32_e32 v12, vcc_lo, 0, v4, vcc_lo
	s_delay_alu instid0(VALU_DEP_3) | instskip(NEXT) | instid1(VALU_DEP_3)
	v_add_co_u32 v5, vcc_lo, v11, v5
	v_lshlrev_b64 v[3:4], 2, v[9:10]
	s_delay_alu instid0(VALU_DEP_3) | instskip(SKIP_2) | instid1(VALU_DEP_4)
	v_add_co_ci_u32_e32 v6, vcc_lo, v12, v6, vcc_lo
	v_mul_u32_u24_e32 v9, 40, v7
	v_mul_u32_u24_e32 v10, 20, v13
	v_add_co_u32 v3, vcc_lo, v11, v3
	v_add_co_ci_u32_e32 v4, vcc_lo, v12, v4, vcc_lo
	s_clause 0x1
	global_load_b64 v[5:6], v[5:6], off
	global_load_b64 v[3:4], v[3:4], off
	v_add_lshl_u32 v9, v9, v1, 2
	v_add_lshl_u32 v10, v10, v1, 2
	s_waitcnt vmcnt(1) lgkmcnt(0)
	v_fma_mixlo_f16 v5, v5, s4, 0
	s_waitcnt vmcnt(0)
	v_fma_mixlo_f16 v3, v3, s4, 0
	s_delay_alu instid0(VALU_DEP_2) | instskip(NEXT) | instid1(VALU_DEP_2)
	v_fma_mixhi_f16 v5, v6, s4, 0
	v_fma_mixhi_f16 v3, v4, s4, 0
	ds_store_b32 v9, v5 offset:3168
	ds_store_b32 v10, v3 offset:3168
.LBB24_4:
	s_or_b32 exec_lo, exec_lo, s8
	s_cmp_eq_u64 s[26:27], 0
	s_waitcnt lgkmcnt(0)
	s_barrier
	buffer_gl0_inv
	s_cbranch_scc1 .LBB24_6
; %bb.5:
	s_load_b32 s4, s[0:1], 0xd0
	s_mov_b32 s5, 0
	s_waitcnt lgkmcnt(0)
	s_mul_i32 s4, s4, s33
	s_delay_alu instid0(SALU_CYCLE_1) | instskip(NEXT) | instid1(SALU_CYCLE_1)
	s_add_i32 s4, s4, s13
	s_lshl_b64 s[4:5], s[4:5], 2
	s_delay_alu instid0(SALU_CYCLE_1)
	s_add_u32 s4, s26, s4
	s_addc_u32 s5, s27, s5
	s_load_b32 s34, s[4:5], 0x0
.LBB24_6:
	v_mbcnt_lo_u32_b32 v16, -1, 0
	s_lshl_b32 s15, s14, 5
	s_waitcnt lgkmcnt(0)
	s_cmp_lt_i32 s15, s34
	s_cbranch_scc1 .LBB24_8
; %bb.7:
	v_mbcnt_lo_u32_b32 v5, -1, 0
	v_mov_b32_e32 v18, 32
	s_mov_b32 s4, 0
	s_mov_b32 s5, 0xfeffffff
	s_delay_alu instid0(VALU_DEP_2)
	v_xor_b32_e32 v23, 16, v5
	v_xor_b32_e32 v22, 8, v5
	;; [unrolled: 1-line block ×5, first 2 shown]
	s_branch .LBB24_9
.LBB24_8:
	s_mov_b32 s4, -1
                                        ; implicit-def: $sgpr5
                                        ; implicit-def: $vgpr5
                                        ; implicit-def: $vgpr18
                                        ; implicit-def: $vgpr23
                                        ; implicit-def: $vgpr22
                                        ; implicit-def: $vgpr21
                                        ; implicit-def: $vgpr20
                                        ; implicit-def: $vgpr19
.LBB24_9:
	s_delay_alu instid0(SALU_CYCLE_1) | instskip(SKIP_2) | instid1(VALU_DEP_3)
	v_cndmask_b32_e64 v3, 0, 1, s4
	v_dual_mov_b32 v4, s5 :: v_dual_mov_b32 v17, s4
	v_dual_mov_b32 v38, s4 :: v_dual_mov_b32 v39, s4
	v_cmp_ne_u32_e32 vcc_lo, 1, v3
	v_mov_b32_e32 v3, s5
	v_mov_b32_e32 v15, s4
	s_cbranch_vccnz .LBB24_22
; %bb.10:
	s_clause 0x1
	s_load_b128 s[4:7], s[0:1], 0x98
	s_load_b64 s[22:23], s[0:1], 0x8c
	s_sub_i32 s8, 0, s12
	s_abs_i32 s13, s9
	s_mul_i32 s8, s8, s38
	s_ashr_i32 s39, s9, 31
	s_mul_hi_u32 s8, s38, s8
	s_ashr_i32 s35, s35, 31
	s_add_i32 s38, s38, s8
	s_ashr_i32 s8, s3, 1
	s_mul_hi_u32 s3, s13, s38
	s_ashr_i32 s38, s33, 31
	s_load_b64 s[26:27], s[0:1], 0xa8
	s_mul_i32 s40, s3, s12
	v_lshrrev_b32_e32 v3, 2, v1
	v_lshl_add_u32 v12, v7, 5, v1
	v_dual_mov_b32 v15, 0 :: v_dual_lshlrev_b32 v24, 2, v1
	v_mov_b32_e32 v36, 0xfeffffff
	s_delay_alu instid0(VALU_DEP_4)
	v_lshl_add_u32 v13, v7, 3, v3
	s_waitcnt lgkmcnt(0)
	s_ashr_i32 s16, s6, 2
	s_mul_i32 s5, s33, s5
	s_mul_hi_u32 s6, s33, s4
	s_ashr_i32 s17, s22, 2
	s_mul_i32 s22, s38, s4
	s_add_i32 s5, s6, s5
	s_mul_i32 s4, s33, s4
	s_add_i32 s5, s5, s22
	s_add_u32 s4, s18, s4
	s_addc_u32 s5, s19, s5
	s_sub_i32 s13, s13, s40
	s_xor_b32 s6, s39, s35
	s_add_i32 s18, s3, 1
	s_sub_i32 s19, s13, s12
	s_cmp_ge_u32 s13, s12
	v_mul_lo_u32 v3, s17, v13
	s_cselect_b32 s3, s18, s3
	s_cselect_b32 s13, s19, s13
	s_add_i32 s18, s3, 1
	s_cmp_ge_u32 s13, s12
	v_mul_lo_u32 v9, s17, v12
	s_cselect_b32 s3, s18, s3
	v_mul_lo_u32 v11, s16, v12
	s_xor_b32 s3, s3, s6
	v_mul_lo_u32 v33, s16, v13
	s_sub_i32 s3, s3, s6
	v_and_b32_e32 v17, 12, v24
	s_mul_i32 s6, s3, s23
	s_mul_i32 s12, s33, s27
	s_mul_hi_u32 s13, s33, s26
	s_ashr_i32 s19, s6, 31
	s_add_u32 s18, s4, s6
	s_mul_i32 s38, s38, s26
	s_addc_u32 s19, s5, s19
	s_add_i32 s4, s13, s12
	v_cmp_gt_u32_e32 vcc_lo, 32, v12
	v_lshlrev_b32_e32 v18, 2, v17
	v_ashrrev_i32_e32 v4, 31, v3
	v_ashrrev_i32_e32 v10, 31, v9
	v_mad_u32_u24 v28, 0x60, v12, 64
	v_mad_u32_u24 v30, 0x50, v12, 64
	v_ashrrev_i32_e32 v12, 31, v11
	v_ashrrev_i32_e32 v34, 31, v33
	s_mul_i32 s22, s33, s26
	v_lshl_add_u32 v29, v7, 7, 0x1160
	s_mul_i32 s3, s3, s7
	s_add_i32 s4, s4, s38
	s_add_u32 s5, s20, s22
	v_mad_u64_u32 v[5:6], null, v8, s8, v[1:2]
	s_addc_u32 s4, s21, s4
	s_ashr_i32 s6, s3, 31
	s_add_u32 s20, s5, s3
	v_cmp_gt_u32_e64 s3, 32, v13
	v_mul_u32_u24_e32 v26, 0xa0, v7
	v_mad_u32_u24 v27, 0x60, v13, v18
	v_mad_u32_u24 v31, 0x50, v13, v18
	v_lshlrev_b64 v[6:7], 2, v[9:10]
	v_lshlrev_b64 v[8:9], 2, v[3:4]
	;; [unrolled: 1-line block ×4, first 2 shown]
	v_mul_u32_u24_e32 v25, 0x60, v1
	v_dual_mov_b32 v18, 32 :: v_dual_lshlrev_b32 v33, 2, v17
	v_xor_b32_e32 v23, 16, v16
	v_xor_b32_e32 v22, 8, v16
	;; [unrolled: 1-line block ×5, first 2 shown]
	v_dual_mov_b32 v37, 0xfeffffff :: v_dual_add_nc_u32 v32, v29, v24
	v_dual_mov_b32 v17, 0 :: v_dual_mov_b32 v34, 0
	v_mov_b32_e32 v35, 0
	s_addc_u32 s21, s4, s6
	s_add_u32 s12, s0, 0xd0
	s_addc_u32 s13, s1, 0
.LBB24_11:                              ; =>This Inner Loop Header: Depth=1
	s_mul_hi_i32 s5, s15, s17
	s_mul_i32 s4, s15, s17
	s_delay_alu instid0(SALU_CYCLE_1) | instskip(NEXT) | instid1(SALU_CYCLE_1)
	s_lshl_b64 s[6:7], s[4:5], 2
	s_add_u32 s5, s18, s6
	s_addc_u32 s6, s19, s7
	s_and_saveexec_b32 s7, vcc_lo
	s_cbranch_execz .LBB24_13
; %bb.12:                               ;   in Loop: Header=BB24_11 Depth=1
	v_add_co_u32 v3, s4, s5, v6
	s_delay_alu instid0(VALU_DEP_1)
	v_add_co_ci_u32_e64 v4, s4, s6, v7, s4
	global_load_b128 v[38:41], v[3:4], off offset:64
	s_waitcnt vmcnt(0)
	ds_store_b128 v28, v[38:41]
.LBB24_13:                              ;   in Loop: Header=BB24_11 Depth=1
	s_or_b32 exec_lo, exec_lo, s7
	s_and_saveexec_b32 s7, s3
	s_cbranch_execz .LBB24_15
; %bb.14:                               ;   in Loop: Header=BB24_11 Depth=1
	v_add_co_u32 v3, s4, s5, v8
	s_delay_alu instid0(VALU_DEP_1) | instskip(NEXT) | instid1(VALU_DEP_2)
	v_add_co_ci_u32_e64 v4, s4, s6, v9, s4
	v_add_co_u32 v3, s4, v3, v33
	s_delay_alu instid0(VALU_DEP_1)
	v_add_co_ci_u32_e64 v4, s4, 0, v4, s4
	global_load_b128 v[38:41], v[3:4], off
	s_waitcnt vmcnt(0)
	ds_store_b128 v27, v[38:41]
.LBB24_15:                              ;   in Loop: Header=BB24_11 Depth=1
	s_or_b32 exec_lo, exec_lo, s7
	s_waitcnt lgkmcnt(0)
	s_barrier
	buffer_gl0_inv
	ds_load_b128 v[38:41], v25
	ds_load_b128 v[42:45], v26 offset:3168
	ds_load_b128 v[46:49], v26 offset:3248
	v_dual_mov_b32 v50, 0 :: v_dual_mov_b32 v51, 0
	v_add_nc_u32_e32 v3, s15, v5
	s_mul_hi_i32 s23, s15, s16
	s_mul_i32 s22, s15, s16
	s_waitcnt lgkmcnt(1)
	;;#ASMSTART
	v_dot2_f32_f16 v50, v38, v42, v50
	;;#ASMEND
	;;#ASMSTART
	v_dot2_f32_f16 v50, v39, v43, v50
	;;#ASMEND
	;; [unrolled: 3-line block ×4, first 2 shown]
	s_waitcnt lgkmcnt(0)
	;;#ASMSTART
	v_dot2_f32_f16 v51, v38, v46, v51
	;;#ASMEND
	;;#ASMSTART
	v_dot2_f32_f16 v51, v39, v47, v51
	;;#ASMEND
	;; [unrolled: 3-line block ×4, first 2 shown]
	ds_load_b128 v[38:41], v25 offset:16
	ds_load_b128 v[42:45], v26 offset:3184
	;; [unrolled: 1-line block ×3, first 2 shown]
	v_ashrrev_i32_e32 v4, 31, v3
	s_lshl_b64 s[22:23], s[22:23], 2
	s_waitcnt lgkmcnt(1)
	;;#ASMSTART
	v_dot2_f32_f16 v50, v38, v42, v50
	;;#ASMEND
	;;#ASMSTART
	v_dot2_f32_f16 v50, v39, v43, v50
	;;#ASMEND
	;; [unrolled: 3-line block ×4, first 2 shown]
	s_waitcnt lgkmcnt(0)
	;;#ASMSTART
	v_dot2_f32_f16 v51, v38, v46, v51
	;;#ASMEND
	;;#ASMSTART
	v_dot2_f32_f16 v51, v39, v47, v51
	;;#ASMEND
	;; [unrolled: 3-line block ×4, first 2 shown]
	ds_load_b128 v[38:41], v25 offset:32
	ds_load_b128 v[42:45], v26 offset:3200
	;; [unrolled: 1-line block ×3, first 2 shown]
	v_lshlrev_b64 v[3:4], 1, v[3:4]
	s_add_u32 s22, s20, s22
	s_addc_u32 s23, s21, s23
	s_waitcnt lgkmcnt(1)
	;;#ASMSTART
	v_dot2_f32_f16 v50, v38, v42, v50
	;;#ASMEND
	;;#ASMSTART
	v_dot2_f32_f16 v50, v39, v43, v50
	;;#ASMEND
	;; [unrolled: 3-line block ×4, first 2 shown]
	s_waitcnt lgkmcnt(0)
	;;#ASMSTART
	v_dot2_f32_f16 v51, v38, v46, v51
	;;#ASMEND
	;;#ASMSTART
	v_dot2_f32_f16 v51, v39, v47, v51
	;;#ASMEND
	;;#ASMSTART
	v_dot2_f32_f16 v51, v40, v48, v51
	;;#ASMEND
	;;#ASMSTART
	v_dot2_f32_f16 v51, v41, v49, v51
	;;#ASMEND
	ds_load_b128 v[38:41], v25 offset:48
	ds_load_b128 v[42:45], v26 offset:3216
	;; [unrolled: 1-line block ×3, first 2 shown]
	v_add_co_u32 v3, s4, s36, v3
	s_delay_alu instid0(VALU_DEP_1)
	v_add_co_ci_u32_e64 v4, s4, s37, v4, s4
	v_cmp_gt_i32_e64 s4, 32, v23
	s_waitcnt lgkmcnt(1)
	;;#ASMSTART
	v_dot2_f32_f16 v50, v38, v42, v50
	;;#ASMEND
	;;#ASMSTART
	v_dot2_f32_f16 v50, v39, v43, v50
	;;#ASMEND
	;; [unrolled: 3-line block ×4, first 2 shown]
	s_waitcnt lgkmcnt(0)
	;;#ASMSTART
	v_dot2_f32_f16 v51, v38, v46, v51
	;;#ASMEND
	;;#ASMSTART
	v_dot2_f32_f16 v51, v39, v47, v51
	;;#ASMEND
	;; [unrolled: 3-line block ×4, first 2 shown]
	ds_load_b128 v[38:41], v25 offset:64
	ds_load_b128 v[42:45], v26 offset:3232
	;; [unrolled: 1-line block ×3, first 2 shown]
	s_waitcnt lgkmcnt(1)
	;;#ASMSTART
	v_dot2_f32_f16 v50, v38, v42, v50
	;;#ASMEND
	;;#ASMSTART
	v_dot2_f32_f16 v50, v39, v43, v50
	;;#ASMEND
	;; [unrolled: 3-line block ×4, first 2 shown]
	s_waitcnt lgkmcnt(0)
	;;#ASMSTART
	v_dot2_f32_f16 v51, v38, v46, v51
	;;#ASMEND
	;;#ASMSTART
	v_dot2_f32_f16 v51, v39, v47, v51
	;;#ASMEND
	;; [unrolled: 3-line block ×4, first 2 shown]
	flat_load_u16 v3, v[3:4]
	s_waitcnt vmcnt(0) lgkmcnt(0)
	s_barrier
	buffer_gl0_inv
	v_dual_max_f32 v4, v37, v37 :: v_dual_max_f32 v41, v36, v36
	v_cvt_f32_f16_e32 v3, v3
	s_delay_alu instid0(VALU_DEP_1) | instskip(SKIP_3) | instid1(VALU_DEP_4)
	v_add_f32_e32 v38, v51, v3
	v_add_f32_e32 v39, v50, v3
	v_cndmask_b32_e64 v3, v16, v23, s4
	v_cmp_gt_i32_e64 s4, 32, v22
	v_add_f32_e32 v40, 0x40051340, v38
	s_delay_alu instid0(VALU_DEP_4) | instskip(NEXT) | instid1(VALU_DEP_2)
	v_add_f32_e32 v42, 0x40051340, v39
	v_dual_max_f32 v4, v4, v40 :: v_dual_lshlrev_b32 v3, 2, v3
	s_delay_alu instid0(VALU_DEP_2)
	v_max_f32_e32 v40, v41, v42
	v_cndmask_b32_e64 v42, v16, v22, s4
	v_cmp_gt_i32_e64 s4, 32, v21
	ds_bpermute_b32 v41, v3, v4
	ds_bpermute_b32 v3, v3, v40
	s_waitcnt lgkmcnt(1)
	v_max_f32_e32 v41, v41, v41
	s_waitcnt lgkmcnt(0)
	v_dual_max_f32 v3, v3, v3 :: v_dual_lshlrev_b32 v42, 2, v42
	s_delay_alu instid0(VALU_DEP_2) | instskip(NEXT) | instid1(VALU_DEP_2)
	v_max_f32_e32 v4, v4, v41
	v_max_f32_e32 v3, v40, v3
	ds_bpermute_b32 v40, v42, v4
	ds_bpermute_b32 v41, v42, v3
	v_cndmask_b32_e64 v42, v16, v21, s4
	v_cmp_gt_i32_e64 s4, 32, v20
	s_waitcnt lgkmcnt(0)
	v_dual_max_f32 v40, v40, v40 :: v_dual_max_f32 v41, v41, v41
	s_delay_alu instid0(VALU_DEP_1)
	v_dual_max_f32 v3, v3, v41 :: v_dual_lshlrev_b32 v42, 2, v42
	ds_bpermute_b32 v41, v42, v3
	s_waitcnt lgkmcnt(0)
	v_dual_max_f32 v4, v4, v40 :: v_dual_max_f32 v41, v41, v41
	ds_bpermute_b32 v40, v42, v4
	v_cndmask_b32_e64 v42, v16, v20, s4
	v_cmp_gt_i32_e64 s4, 32, v19
	s_delay_alu instid0(VALU_DEP_2) | instskip(SKIP_3) | instid1(VALU_DEP_1)
	v_dual_max_f32 v3, v3, v41 :: v_dual_lshlrev_b32 v42, 2, v42
	ds_bpermute_b32 v41, v42, v3
	s_waitcnt lgkmcnt(0)
	v_dual_max_f32 v40, v40, v40 :: v_dual_max_f32 v41, v41, v41
	v_dual_max_f32 v4, v4, v40 :: v_dual_max_f32 v3, v3, v41
	ds_bpermute_b32 v40, v42, v4
	v_cndmask_b32_e64 v42, v16, v19, s4
	s_delay_alu instid0(VALU_DEP_1) | instskip(SKIP_3) | instid1(VALU_DEP_1)
	v_lshlrev_b32_e32 v42, 2, v42
	ds_bpermute_b32 v41, v42, v3
	s_waitcnt lgkmcnt(0)
	v_dual_max_f32 v40, v40, v40 :: v_dual_max_f32 v41, v41, v41
	v_max_f32_e32 v3, v3, v41
	s_delay_alu instid0(VALU_DEP_1) | instskip(SKIP_1) | instid1(VALU_DEP_2)
	v_dual_sub_f32 v39, v39, v3 :: v_dual_max_f32 v4, v4, v40
	v_sub_f32_e32 v36, v36, v3
	v_mul_f32_e32 v41, 0x3fb8aa3b, v39
	ds_bpermute_b32 v40, v42, v4
	v_cmp_ngt_f32_e64 s7, 0xc2ce8ed0, v36
	v_rndne_f32_e32 v45, v41
	v_fma_f32 v44, 0x3fb8aa3b, v39, -v41
	s_delay_alu instid0(VALU_DEP_1) | instskip(NEXT) | instid1(VALU_DEP_1)
	v_dual_sub_f32 v41, v41, v45 :: v_dual_fmac_f32 v44, 0x32a5705f, v39
	v_add_f32_e32 v41, v41, v44
	s_waitcnt lgkmcnt(0)
	v_max_f32_e32 v40, v40, v40
	s_delay_alu instid0(VALU_DEP_2) | instskip(NEXT) | instid1(VALU_DEP_1)
	v_exp_f32_e32 v41, v41
	v_max_f32_e32 v4, v4, v40
	s_delay_alu instid0(VALU_DEP_1) | instskip(NEXT) | instid1(VALU_DEP_1)
	v_sub_f32_e32 v38, v38, v4
	v_dual_sub_f32 v37, v37, v4 :: v_dual_mul_f32 v40, 0x3fb8aa3b, v38
	v_cmp_ngt_f32_e64 s4, 0xc2ce8ed0, v38
	s_delay_alu instid0(VALU_DEP_2) | instskip(SKIP_1) | instid1(VALU_DEP_4)
	v_cmp_ngt_f32_e64 s6, 0xc2ce8ed0, v37
	v_cmp_nlt_f32_e64 s5, 0x42b17218, v37
	v_fma_f32 v42, 0x3fb8aa3b, v38, -v40
	v_rndne_f32_e32 v43, v40
	s_delay_alu instid0(VALU_DEP_2) | instskip(NEXT) | instid1(VALU_DEP_2)
	v_fmac_f32_e32 v42, 0x32a5705f, v38
	v_sub_f32_e32 v40, v40, v43
	s_delay_alu instid0(VALU_DEP_1) | instskip(SKIP_2) | instid1(VALU_DEP_3)
	v_add_f32_e32 v40, v40, v42
	v_cvt_i32_f32_e32 v42, v43
	v_cvt_i32_f32_e32 v43, v45
	v_exp_f32_e32 v40, v40
	s_delay_alu instid0(VALU_DEP_1) | instskip(SKIP_2) | instid1(VALU_DEP_1)
	v_ldexp_f32 v41, v41, v43
	s_waitcnt_depctr 0xfff
	v_ldexp_f32 v40, v40, v42
	v_cndmask_b32_e64 v40, 0, v40, s4
	v_cmp_ngt_f32_e64 s4, 0xc2ce8ed0, v39
	s_delay_alu instid0(VALU_DEP_1) | instskip(SKIP_1) | instid1(VALU_DEP_1)
	v_cndmask_b32_e64 v41, 0, v41, s4
	v_cmp_nlt_f32_e64 s4, 0x42b17218, v38
	v_cndmask_b32_e64 v38, 0x7f800000, v40, s4
	v_cmp_nlt_f32_e64 s4, 0x42b17218, v39
	s_delay_alu instid0(VALU_DEP_2) | instskip(NEXT) | instid1(VALU_DEP_2)
	v_cvt_f16_f32_e32 v40, v38
	v_cndmask_b32_e64 v39, 0x7f800000, v41, s4
	v_cmp_nlt_f32_e64 s4, 0x42b17218, v36
	s_delay_alu instid0(VALU_DEP_2) | instskip(NEXT) | instid1(VALU_DEP_1)
	v_cvt_f16_f32_e32 v41, v39
	v_pack_b32_f16 v40, v41, v40
	ds_store_b32 v32, v40
	s_and_saveexec_b32 s26, vcc_lo
	s_cbranch_execz .LBB24_17
; %bb.16:                               ;   in Loop: Header=BB24_11 Depth=1
	v_add_co_u32 v40, s8, s22, v10
	s_delay_alu instid0(VALU_DEP_1)
	v_add_co_ci_u32_e64 v41, s8, s23, v11, s8
	global_load_b128 v[40:43], v[40:41], off offset:64
	s_waitcnt vmcnt(0)
	ds_store_b128 v30, v[40:43]
.LBB24_17:                              ;   in Loop: Header=BB24_11 Depth=1
	s_or_b32 exec_lo, exec_lo, s26
	s_and_saveexec_b32 s26, s3
	s_cbranch_execz .LBB24_19
; %bb.18:                               ;   in Loop: Header=BB24_11 Depth=1
	v_add_co_u32 v40, s8, s22, v12
	s_delay_alu instid0(VALU_DEP_1) | instskip(NEXT) | instid1(VALU_DEP_2)
	v_add_co_ci_u32_e64 v41, s8, s23, v13, s8
	v_add_co_u32 v40, s8, v40, v33
	s_delay_alu instid0(VALU_DEP_1)
	v_add_co_ci_u32_e64 v41, s8, 0, v41, s8
	global_load_b128 v[40:43], v[40:41], off
	s_waitcnt vmcnt(0)
	ds_store_b128 v31, v[40:43]
.LBB24_19:                              ;   in Loop: Header=BB24_11 Depth=1
	s_or_b32 exec_lo, exec_lo, s26
	v_dual_mul_f32 v40, 0x3fb8aa3b, v36 :: v_dual_mul_f32 v41, 0x3fb8aa3b, v37
	s_waitcnt lgkmcnt(0)
	s_barrier
	buffer_gl0_inv
	v_fma_f32 v42, 0x3fb8aa3b, v36, -v40
	v_rndne_f32_e32 v44, v40
	v_fma_f32 v43, 0x3fb8aa3b, v37, -v41
	v_rndne_f32_e32 v45, v41
	v_add_nc_u32_e32 v56, 0x400, v24
	v_fmac_f32_e32 v42, 0x32a5705f, v36
	s_delay_alu instid0(VALU_DEP_4) | instskip(NEXT) | instid1(VALU_DEP_4)
	v_dual_sub_f32 v36, v40, v44 :: v_dual_fmac_f32 v43, 0x32a5705f, v37
	v_sub_f32_e32 v37, v41, v45
	v_cvt_i32_f32_e32 v44, v44
	v_cvt_i32_f32_e32 v45, v45
	s_delay_alu instid0(VALU_DEP_4) | instskip(NEXT) | instid1(VALU_DEP_1)
	v_add_f32_e32 v36, v36, v42
	v_exp_f32_e32 v47, v36
	s_waitcnt_depctr 0xfff
	v_ldexp_f32 v44, v47, v44
	s_delay_alu instid0(VALU_DEP_1) | instskip(NEXT) | instid1(VALU_DEP_1)
	v_cndmask_b32_e64 v44, 0, v44, s7
	v_cndmask_b32_e64 v54, 0x7f800000, v44, s4
	v_add_f32_e32 v46, v37, v43
	ds_load_2addr_b32 v[36:37], v24 offset1:20
	ds_load_b128 v[40:43], v29
	ds_load_2addr_b32 v[48:49], v24 offset0:40 offset1:60
	v_fmac_f32_e32 v39, v34, v54
	v_exp_f32_e32 v46, v46
	v_cvt_f16_f32_e32 v53, v54
	s_waitcnt_depctr 0xfff
	v_ldexp_f32 v45, v46, v45
	s_delay_alu instid0(VALU_DEP_1)
	v_cndmask_b32_e64 v50, 0, v45, s6
	s_waitcnt lgkmcnt(1)
	v_pk_mul_f16 v52, v36, v40 op_sel_hi:[1,0]
	v_pk_mul_f16 v36, v36, v40 op_sel:[0,1]
	ds_load_b128 v[44:47], v29 offset:16
	v_cndmask_b32_e64 v55, 0x7f800000, v50, s5
	ds_load_2addr_b32 v[50:51], v24 offset0:80 offset1:100
	v_pk_fma_f16 v17, v53, v17, v52 op_sel_hi:[0,1,1]
	ds_load_2addr_b32 v[52:53], v24 offset0:160 offset1:180
	v_cvt_f16_f32_e32 v40, v55
	v_fmac_f32_e32 v38, v35, v55
	v_pk_fma_f16 v17, v37, v41, v17 op_sel_hi:[1,0,1]
	s_delay_alu instid0(VALU_DEP_3) | instskip(SKIP_1) | instid1(VALU_DEP_2)
	v_pk_fma_f16 v15, v15, v40, v36 op_sel_hi:[1,0,1]
	s_waitcnt lgkmcnt(3)
	v_pk_fma_f16 v17, v48, v42, v17 op_sel_hi:[1,0,1]
	s_delay_alu instid0(VALU_DEP_2) | instskip(SKIP_3) | instid1(VALU_DEP_1)
	v_pk_fma_f16 v15, v37, v41, v15 op_sel:[0,1,0]
	ds_load_2addr_b32 v[36:37], v24 offset0:120 offset1:140
	v_pk_fma_f16 v17, v49, v43, v17 op_sel_hi:[1,0,1]
	v_pk_fma_f16 v15, v48, v42, v15 op_sel:[0,1,0]
	v_pk_fma_f16 v15, v49, v43, v15 op_sel:[0,1,0]
	ds_load_b128 v[40:43], v29 offset:32
	s_waitcnt lgkmcnt(3)
	v_pk_fma_f16 v17, v50, v44, v17 op_sel_hi:[1,0,1]
	v_pk_fma_f16 v15, v50, v44, v15 op_sel:[0,1,0]
	s_delay_alu instid0(VALU_DEP_2) | instskip(NEXT) | instid1(VALU_DEP_2)
	v_pk_fma_f16 v17, v51, v45, v17 op_sel_hi:[1,0,1]
	v_pk_fma_f16 v15, v51, v45, v15 op_sel:[0,1,0]
	ds_load_2addr_b32 v[44:45], v24 offset0:200 offset1:220
	s_waitcnt lgkmcnt(2)
	v_pk_fma_f16 v17, v36, v46, v17 op_sel_hi:[1,0,1]
	ds_load_b128 v[48:51], v29 offset:48
	v_pk_fma_f16 v15, v36, v46, v15 op_sel:[0,1,0]
	v_add_nc_u32_e32 v36, 0x200, v24
	v_pk_fma_f16 v17, v37, v47, v17 op_sel_hi:[1,0,1]
	s_delay_alu instid0(VALU_DEP_3)
	v_pk_fma_f16 v15, v37, v47, v15 op_sel:[0,1,0]
	ds_load_2addr_b32 v[36:37], v36 offset0:112 offset1:132
	s_waitcnt lgkmcnt(3)
	v_pk_fma_f16 v17, v52, v40, v17 op_sel_hi:[1,0,1]
	ds_load_2addr_b32 v[46:47], v56 offset0:24 offset1:44
	v_pk_fma_f16 v15, v52, v40, v15 op_sel:[0,1,0]
	v_pk_fma_f16 v17, v53, v41, v17 op_sel_hi:[1,0,1]
	s_delay_alu instid0(VALU_DEP_2) | instskip(SKIP_4) | instid1(VALU_DEP_2)
	v_pk_fma_f16 v15, v53, v41, v15 op_sel:[0,1,0]
	ds_load_2addr_b32 v[52:53], v56 offset0:64 offset1:84
	s_waitcnt lgkmcnt(4)
	v_pk_fma_f16 v17, v44, v42, v17 op_sel_hi:[1,0,1]
	v_pk_fma_f16 v15, v44, v42, v15 op_sel:[0,1,0]
	v_pk_fma_f16 v17, v45, v43, v17 op_sel_hi:[1,0,1]
	s_delay_alu instid0(VALU_DEP_2) | instskip(SKIP_4) | instid1(VALU_DEP_2)
	v_pk_fma_f16 v15, v45, v43, v15 op_sel:[0,1,0]
	ds_load_b128 v[40:43], v29 offset:64
	s_waitcnt lgkmcnt(3)
	v_pk_fma_f16 v17, v36, v48, v17 op_sel_hi:[1,0,1]
	v_pk_fma_f16 v15, v36, v48, v15 op_sel:[0,1,0]
	v_pk_fma_f16 v17, v37, v49, v17 op_sel_hi:[1,0,1]
	s_delay_alu instid0(VALU_DEP_2) | instskip(SKIP_4) | instid1(VALU_DEP_2)
	v_pk_fma_f16 v15, v37, v49, v15 op_sel:[0,1,0]
	ds_load_2addr_b32 v[36:37], v56 offset0:104 offset1:124
	s_waitcnt lgkmcnt(3)
	v_pk_fma_f16 v17, v46, v50, v17 op_sel_hi:[1,0,1]
	v_pk_fma_f16 v15, v46, v50, v15 op_sel:[0,1,0]
	v_pk_fma_f16 v17, v47, v51, v17 op_sel_hi:[1,0,1]
	s_delay_alu instid0(VALU_DEP_2)
	v_pk_fma_f16 v15, v47, v51, v15 op_sel:[0,1,0]
	ds_load_b128 v[44:47], v29 offset:80
	ds_load_2addr_b32 v[48:49], v56 offset0:144 offset1:164
	s_waitcnt lgkmcnt(3)
	v_pk_fma_f16 v17, v52, v40, v17 op_sel_hi:[1,0,1]
	ds_load_2addr_b32 v[50:51], v56 offset0:184 offset1:204
	v_pk_fma_f16 v15, v52, v40, v15 op_sel:[0,1,0]
	v_add_nc_u32_e32 v52, 0x800, v24
	v_pk_fma_f16 v17, v53, v41, v17 op_sel_hi:[1,0,1]
	s_delay_alu instid0(VALU_DEP_3) | instskip(SKIP_1) | instid1(VALU_DEP_2)
	v_pk_fma_f16 v15, v53, v41, v15 op_sel:[0,1,0]
	s_waitcnt lgkmcnt(3)
	v_pk_fma_f16 v17, v36, v42, v17 op_sel_hi:[1,0,1]
	s_delay_alu instid0(VALU_DEP_2) | instskip(NEXT) | instid1(VALU_DEP_2)
	v_pk_fma_f16 v15, v36, v42, v15 op_sel:[0,1,0]
	v_pk_fma_f16 v17, v37, v43, v17 op_sel_hi:[1,0,1]
	s_delay_alu instid0(VALU_DEP_2)
	v_pk_fma_f16 v15, v37, v43, v15 op_sel:[0,1,0]
	ds_load_2addr_b32 v[36:37], v56 offset0:224 offset1:244
	s_waitcnt lgkmcnt(2)
	v_pk_fma_f16 v17, v48, v44, v17 op_sel_hi:[1,0,1]
	ds_load_b128 v[40:43], v29 offset:96
	v_pk_fma_f16 v15, v48, v44, v15 op_sel:[0,1,0]
	v_pk_fma_f16 v17, v49, v45, v17 op_sel_hi:[1,0,1]
	s_delay_alu instid0(VALU_DEP_2) | instskip(SKIP_4) | instid1(VALU_DEP_2)
	v_pk_fma_f16 v15, v49, v45, v15 op_sel:[0,1,0]
	ds_load_2addr_b32 v[48:49], v52 offset0:8 offset1:28
	s_waitcnt lgkmcnt(3)
	v_pk_fma_f16 v17, v50, v46, v17 op_sel_hi:[1,0,1]
	v_pk_fma_f16 v15, v50, v46, v15 op_sel:[0,1,0]
	v_pk_fma_f16 v17, v51, v47, v17 op_sel_hi:[1,0,1]
	s_delay_alu instid0(VALU_DEP_2)
	v_pk_fma_f16 v15, v51, v47, v15 op_sel:[0,1,0]
	ds_load_b128 v[44:47], v29 offset:112
	ds_load_2addr_b32 v[50:51], v52 offset0:48 offset1:68
	ds_load_2addr_b32 v[52:53], v52 offset0:88 offset1:108
	s_waitcnt lgkmcnt(4)
	v_pk_fma_f16 v17, v36, v40, v17 op_sel_hi:[1,0,1]
	s_waitcnt lgkmcnt(0)
	v_pk_fma_f16 v15, v36, v40, v15 op_sel:[0,1,0]
	s_barrier
	buffer_gl0_inv
	v_pk_fma_f16 v17, v37, v41, v17 op_sel_hi:[1,0,1]
	s_load_b32 s4, s[12:13], 0x4
	v_pk_fma_f16 v15, v37, v41, v15 op_sel:[0,1,0]
	s_delay_alu instid0(VALU_DEP_2) | instskip(NEXT) | instid1(VALU_DEP_2)
	v_pk_fma_f16 v17, v48, v42, v17 op_sel_hi:[1,0,1]
	v_pk_fma_f16 v15, v48, v42, v15 op_sel:[0,1,0]
	s_delay_alu instid0(VALU_DEP_2) | instskip(NEXT) | instid1(VALU_DEP_2)
	v_pk_fma_f16 v17, v49, v43, v17 op_sel_hi:[1,0,1]
	;; [unrolled: 3-line block ×3, first 2 shown]
	v_pk_fma_f16 v15, v50, v44, v15 op_sel:[0,1,0]
	s_delay_alu instid0(VALU_DEP_2) | instskip(SKIP_2) | instid1(VALU_DEP_2)
	v_pk_fma_f16 v17, v51, v45, v17 op_sel_hi:[1,0,1]
	s_waitcnt lgkmcnt(0)
	s_lshl_b32 s4, s4, 5
	v_pk_fma_f16 v15, v51, v45, v15 op_sel:[0,1,0]
	s_add_i32 s15, s4, s15
	v_pk_fma_f16 v17, v52, v46, v17 op_sel_hi:[1,0,1]
	s_cmp_ge_i32 s15, s34
	s_delay_alu instid0(VALU_DEP_2) | instskip(NEXT) | instid1(VALU_DEP_2)
	v_pk_fma_f16 v15, v52, v46, v15 op_sel:[0,1,0]
	v_pk_fma_f16 v17, v53, v47, v17 op_sel_hi:[1,0,1]
	s_delay_alu instid0(VALU_DEP_2)
	v_pk_fma_f16 v15, v53, v47, v15 op_sel:[0,1,0]
	s_cbranch_scc1 .LBB24_21
; %bb.20:                               ;   in Loop: Header=BB24_11 Depth=1
	v_dual_mov_b32 v36, v3 :: v_dual_mov_b32 v37, v4
	v_dual_mov_b32 v34, v39 :: v_dual_mov_b32 v35, v38
	s_branch .LBB24_11
.LBB24_21:
	v_mov_b32_e32 v5, v16
.LBB24_22:
	v_cmp_lt_i32_e32 vcc_lo, v23, v18
	s_cmp_lg_u64 s[24:25], 0
	s_cselect_b32 s3, -1, 0
	s_cmp_eq_u32 s14, 0
	v_cndmask_b32_e32 v6, v5, v23, vcc_lo
	v_cmp_lt_i32_e32 vcc_lo, v22, v18
	s_cselect_b32 s4, -1, 0
	s_delay_alu instid0(SALU_CYCLE_1) | instskip(NEXT) | instid1(VALU_DEP_2)
	s_and_b32 s3, s4, s3
	v_lshlrev_b32_e32 v6, 2, v6
	v_cndmask_b32_e32 v8, v5, v22, vcc_lo
	v_cmp_lt_i32_e32 vcc_lo, v21, v18
	ds_bpermute_b32 v7, v6, v39
	v_lshlrev_b32_e32 v8, 2, v8
	v_cndmask_b32_e32 v10, v5, v21, vcc_lo
	v_cmp_lt_i32_e32 vcc_lo, v20, v18
	s_waitcnt lgkmcnt(0)
	s_delay_alu instid0(VALU_DEP_2)
	v_dual_add_f32 v7, v39, v7 :: v_dual_lshlrev_b32 v10, 2, v10
	ds_bpermute_b32 v6, v6, v38
	ds_bpermute_b32 v9, v8, v7
	s_waitcnt lgkmcnt(0)
	v_dual_add_f32 v7, v7, v9 :: v_dual_add_f32 v6, v38, v6
	ds_bpermute_b32 v8, v8, v6
	s_waitcnt lgkmcnt(0)
	v_add_f32_e32 v6, v6, v8
	ds_bpermute_b32 v8, v10, v7
	ds_bpermute_b32 v9, v10, v6
	v_cndmask_b32_e32 v10, v5, v20, vcc_lo
	v_cmp_lt_i32_e32 vcc_lo, v19, v18
	s_delay_alu instid0(VALU_DEP_2) | instskip(SKIP_1) | instid1(VALU_DEP_1)
	v_dual_cndmask_b32 v5, v5, v19 :: v_dual_lshlrev_b32 v10, 2, v10
	s_and_b32 vcc_lo, exec_lo, s3
	v_lshlrev_b32_e32 v5, 2, v5
	s_waitcnt lgkmcnt(0)
	v_dual_add_f32 v7, v7, v8 :: v_dual_add_f32 v6, v6, v9
	ds_bpermute_b32 v8, v10, v7
	ds_bpermute_b32 v9, v10, v6
	s_waitcnt lgkmcnt(0)
	v_dual_add_f32 v7, v7, v8 :: v_dual_add_f32 v6, v6, v9
	ds_bpermute_b32 v8, v5, v7
	ds_bpermute_b32 v9, v5, v6
	s_waitcnt lgkmcnt(0)
	v_dual_add_f32 v5, v7, v8 :: v_dual_add_f32 v6, v6, v9
	s_cbranch_vccz .LBB24_25
; %bb.23:
	v_add_nc_u32_e32 v7, s9, v14
	v_max_f32_e32 v9, v3, v3
	v_max_f32_e32 v11, v4, v4
	s_delay_alu instid0(VALU_DEP_3) | instskip(NEXT) | instid1(VALU_DEP_1)
	v_ashrrev_i32_e32 v8, 31, v7
	v_lshlrev_b64 v[7:8], 2, v[7:8]
	s_delay_alu instid0(VALU_DEP_1) | instskip(NEXT) | instid1(VALU_DEP_2)
	v_add_co_u32 v7, vcc_lo, s24, v7
	v_add_co_ci_u32_e32 v8, vcc_lo, s25, v8, vcc_lo
	global_load_b64 v[7:8], v[7:8], off
	s_waitcnt vmcnt(0)
	v_max_f32_e32 v10, v7, v7
	s_delay_alu instid0(VALU_DEP_1) | instskip(NEXT) | instid1(VALU_DEP_1)
	v_dual_max_f32 v12, v8, v8 :: v_dual_max_f32 v9, v9, v10
	v_max_f32_e32 v10, v11, v12
	s_delay_alu instid0(VALU_DEP_1) | instskip(SKIP_1) | instid1(VALU_DEP_2)
	v_dual_sub_f32 v3, v3, v9 :: v_dual_sub_f32 v8, v8, v10
	v_dual_sub_f32 v7, v7, v9 :: v_dual_sub_f32 v4, v4, v10
	v_cmp_ngt_f32_e32 vcc_lo, 0xc2ce8ed0, v3
	s_delay_alu instid0(VALU_DEP_3) | instskip(NEXT) | instid1(VALU_DEP_3)
	v_mul_f32_e32 v16, 0x3fb8aa3b, v8
	v_dual_mul_f32 v12, 0x3fb8aa3b, v7 :: v_dual_mul_f32 v13, 0x3fb8aa3b, v4
	s_delay_alu instid0(VALU_DEP_2) | instskip(NEXT) | instid1(VALU_DEP_2)
	v_fma_f32 v24, 0x3fb8aa3b, v8, -v16
	v_rndne_f32_e32 v21, v12
	v_mul_f32_e32 v11, 0x3fb8aa3b, v3
	v_fma_f32 v20, 0x3fb8aa3b, v7, -v12
	v_fma_f32 v22, 0x3fb8aa3b, v4, -v13
	v_rndne_f32_e32 v23, v13
	v_sub_f32_e32 v12, v12, v21
	v_fma_f32 v18, 0x3fb8aa3b, v3, -v11
	v_rndne_f32_e32 v19, v11
	s_delay_alu instid0(VALU_DEP_4) | instskip(SKIP_1) | instid1(VALU_DEP_4)
	v_dual_fmac_f32 v22, 0x32a5705f, v4 :: v_dual_sub_f32 v13, v13, v23
	v_fmac_f32_e32 v24, 0x32a5705f, v8
	v_fmac_f32_e32 v18, 0x32a5705f, v3
	s_delay_alu instid0(VALU_DEP_4) | instskip(SKIP_2) | instid1(VALU_DEP_3)
	v_sub_f32_e32 v11, v11, v19
	v_rndne_f32_e32 v25, v16
	v_dual_add_f32 v13, v13, v22 :: v_dual_fmac_f32 v20, 0x32a5705f, v7
	v_add_f32_e32 v11, v11, v18
	v_cvt_i32_f32_e32 v18, v19
	s_delay_alu instid0(VALU_DEP_3) | instskip(NEXT) | instid1(VALU_DEP_3)
	v_exp_f32_e32 v13, v13
	v_add_f32_e32 v12, v12, v20
	v_cvt_i32_f32_e32 v19, v21
	v_exp_f32_e32 v11, v11
	v_cvt_i32_f32_e32 v20, v23
	v_cvt_i32_f32_e32 v21, v25
	v_exp_f32_e32 v12, v12
	s_delay_alu instid0(TRANS32_DEP_3) | instid1(VALU_DEP_2)
	v_ldexp_f32 v13, v13, v20
	s_waitcnt_depctr 0xfff
	v_ldexp_f32 v11, v11, v18
	v_sub_f32_e32 v16, v16, v25
	v_ldexp_f32 v12, v12, v19
	s_delay_alu instid0(VALU_DEP_2) | instskip(SKIP_1) | instid1(VALU_DEP_2)
	v_dual_cndmask_b32 v11, 0, v11 :: v_dual_add_f32 v16, v16, v24
	v_cmp_ngt_f32_e32 vcc_lo, 0xc2ce8ed0, v7
	v_exp_f32_e32 v16, v16
	s_delay_alu instid0(VALU_DEP_3)
	v_cndmask_b32_e32 v12, 0, v12, vcc_lo
	v_cmp_ngt_f32_e32 vcc_lo, 0xc2ce8ed0, v4
	v_cndmask_b32_e32 v13, 0, v13, vcc_lo
	v_cmp_ngt_f32_e32 vcc_lo, 0xc2ce8ed0, v8
	s_waitcnt_depctr 0xfff
	v_ldexp_f32 v16, v16, v21
	s_delay_alu instid0(VALU_DEP_1) | instskip(SKIP_3) | instid1(VALU_DEP_2)
	v_cndmask_b32_e32 v16, 0, v16, vcc_lo
	v_cmp_nlt_f32_e32 vcc_lo, 0x42b17218, v3
	v_cndmask_b32_e32 v3, 0x7f800000, v11, vcc_lo
	v_cmp_nlt_f32_e32 vcc_lo, 0x42b17218, v7
	v_cvt_f16_f32_e32 v11, v3
	v_cndmask_b32_e32 v7, 0x7f800000, v12, vcc_lo
	v_cmp_nlt_f32_e32 vcc_lo, 0x42b17218, v4
	s_delay_alu instid0(VALU_DEP_3) | instskip(NEXT) | instid1(VALU_DEP_3)
	v_pk_mul_f16 v17, v17, v11 op_sel_hi:[1,0]
	v_dual_fmac_f32 v7, v5, v3 :: v_dual_cndmask_b32 v4, 0x7f800000, v13
	v_cmp_nlt_f32_e32 vcc_lo, 0x42b17218, v8
	s_delay_alu instid0(VALU_DEP_2) | instskip(NEXT) | instid1(VALU_DEP_3)
	v_mov_b32_e32 v5, v7
	v_cvt_f16_f32_e32 v12, v4
	v_cndmask_b32_e32 v8, 0x7f800000, v16, vcc_lo
	s_delay_alu instid0(VALU_DEP_2) | instskip(NEXT) | instid1(VALU_DEP_2)
	v_pk_mul_f16 v15, v15, v12 op_sel_hi:[1,0]
	v_dual_fmac_f32 v8, v6, v4 :: v_dual_mov_b32 v3, v9
	v_mov_b32_e32 v4, v10
	s_delay_alu instid0(VALU_DEP_2)
	v_mov_b32_e32 v6, v8
	s_mov_b32 s3, exec_lo
	v_cmpx_gt_i32_e64 s10, v2
	s_cbranch_execnz .LBB24_26
.LBB24_24:
	s_nop 0
	s_sendmsg sendmsg(MSG_DEALLOC_VGPRS)
	s_endpgm
.LBB24_25:
	s_delay_alu instid0(VALU_DEP_1)
	v_dual_mov_b32 v8, v6 :: v_dual_mov_b32 v7, v5
	s_mov_b32 s3, exec_lo
	v_cmpx_gt_i32_e64 s10, v2
	s_cbranch_execz .LBB24_24
.LBB24_26:
	s_load_b32 s0, s[0:1], 0xd4
	v_mov_b32_e32 v10, 1.0
	s_waitcnt lgkmcnt(0)
	s_cmp_lg_u32 s0, 1
	s_cselect_b32 s3, -1, 0
	s_cmp_eq_u32 s0, 1
	s_cselect_b32 s1, -1, 0
	s_and_b32 vcc_lo, exec_lo, s3
	s_cbranch_vccnz .LBB24_28
; %bb.27:
	v_div_scale_f32 v9, null, v5, v5, 1.0
	s_delay_alu instid0(VALU_DEP_1) | instskip(SKIP_2) | instid1(VALU_DEP_1)
	v_rcp_f32_e32 v10, v9
	s_waitcnt_depctr 0xfff
	v_fma_f32 v11, -v9, v10, 1.0
	v_fmac_f32_e32 v10, v11, v10
	v_div_scale_f32 v11, vcc_lo, 1.0, v5, 1.0
	s_delay_alu instid0(VALU_DEP_1) | instskip(NEXT) | instid1(VALU_DEP_1)
	v_mul_f32_e32 v12, v11, v10
	v_fma_f32 v13, -v9, v12, v11
	s_delay_alu instid0(VALU_DEP_1) | instskip(NEXT) | instid1(VALU_DEP_1)
	v_fmac_f32_e32 v12, v13, v10
	v_fma_f32 v9, -v9, v12, v11
	s_delay_alu instid0(VALU_DEP_1) | instskip(NEXT) | instid1(VALU_DEP_1)
	v_div_fmas_f32 v9, v9, v10, v12
	v_div_fixup_f32 v10, v9, v5, 1.0
.LBB24_28:
	v_mad_u64_u32 v[11:12], null, s33, s10, v[2:3]
	s_delay_alu instid0(VALU_DEP_1) | instskip(NEXT) | instid1(VALU_DEP_1)
	v_mul_lo_u32 v2, v11, s11
	v_add3_u32 v2, s9, v14, v2
	s_delay_alu instid0(VALU_DEP_1) | instskip(NEXT) | instid1(VALU_DEP_1)
	v_mul_lo_u32 v2, s0, v2
	v_add_nc_u32_e32 v9, s14, v2
	s_and_saveexec_b32 s4, s2
	s_cbranch_execz .LBB24_30
; %bb.29:
	s_delay_alu instid0(VALU_DEP_1) | instskip(SKIP_3) | instid1(VALU_DEP_3)
	v_mad_u64_u32 v[11:12], null, v9, 40, v[0:1]
	v_cvt_f32_f16_e32 v13, v17
	v_mov_b32_e32 v12, 0
	v_lshrrev_b32_e32 v5, 16, v17
	v_mul_f32_e32 v13, v10, v13
	s_delay_alu instid0(VALU_DEP_3) | instskip(NEXT) | instid1(VALU_DEP_3)
	v_lshlrev_b64 v[11:12], 2, v[11:12]
	v_cvt_f32_f16_e32 v5, v5
	s_delay_alu instid0(VALU_DEP_1) | instskip(NEXT) | instid1(VALU_DEP_3)
	v_mul_f32_e32 v14, v10, v5
	v_add_co_u32 v10, vcc_lo, s28, v11
	s_delay_alu instid0(VALU_DEP_4)
	v_add_co_ci_u32_e32 v11, vcc_lo, s29, v12, vcc_lo
	global_store_b64 v[10:11], v[13:14], off
.LBB24_30:
	s_or_b32 exec_lo, exec_lo, s4
	v_cmp_eq_u32_e32 vcc_lo, 0, v1
	s_and_b32 s3, vcc_lo, s3
	s_delay_alu instid0(SALU_CYCLE_1)
	s_and_saveexec_b32 s4, s3
	s_cbranch_execnz .LBB24_34
; %bb.31:
	s_or_b32 exec_lo, exec_lo, s4
	v_mov_b32_e32 v3, 1.0
	s_and_not1_b32 vcc_lo, exec_lo, s1
	s_cbranch_vccz .LBB24_35
.LBB24_32:
	v_add3_u32 v1, s14, s0, v2
	s_and_saveexec_b32 s0, s2
	s_cbranch_execnz .LBB24_36
.LBB24_33:
	s_or_b32 exec_lo, exec_lo, s0
	s_delay_alu instid0(SALU_CYCLE_1)
	s_and_b32 exec_lo, exec_lo, s3
	s_cbranch_execz .LBB24_24
	s_branch .LBB24_37
.LBB24_34:
	v_ashrrev_i32_e32 v10, 31, v9
	v_mov_b32_e32 v11, v3
	v_mov_b32_e32 v12, v7
	s_delay_alu instid0(VALU_DEP_3) | instskip(NEXT) | instid1(VALU_DEP_1)
	v_lshlrev_b64 v[9:10], 3, v[9:10]
	v_add_co_u32 v9, vcc_lo, s30, v9
	s_delay_alu instid0(VALU_DEP_2)
	v_add_co_ci_u32_e32 v10, vcc_lo, s31, v10, vcc_lo
	global_store_b64 v[9:10], v[11:12], off
	s_or_b32 exec_lo, exec_lo, s4
	v_mov_b32_e32 v3, 1.0
	s_and_not1_b32 vcc_lo, exec_lo, s1
	s_cbranch_vccnz .LBB24_32
.LBB24_35:
	v_div_scale_f32 v1, null, v6, v6, 1.0
	s_delay_alu instid0(VALU_DEP_1) | instskip(SKIP_2) | instid1(VALU_DEP_1)
	v_rcp_f32_e32 v3, v1
	s_waitcnt_depctr 0xfff
	v_fma_f32 v5, -v1, v3, 1.0
	v_fmac_f32_e32 v3, v5, v3
	v_div_scale_f32 v5, vcc_lo, 1.0, v6, 1.0
	s_delay_alu instid0(VALU_DEP_1) | instskip(NEXT) | instid1(VALU_DEP_1)
	v_mul_f32_e32 v7, v5, v3
	v_fma_f32 v9, -v1, v7, v5
	s_delay_alu instid0(VALU_DEP_1) | instskip(NEXT) | instid1(VALU_DEP_1)
	v_fmac_f32_e32 v7, v9, v3
	v_fma_f32 v1, -v1, v7, v5
	s_delay_alu instid0(VALU_DEP_1) | instskip(NEXT) | instid1(VALU_DEP_1)
	v_div_fmas_f32 v1, v1, v3, v7
	v_div_fixup_f32 v3, v1, v6, 1.0
	v_add3_u32 v1, s14, s0, v2
	s_and_saveexec_b32 s0, s2
	s_cbranch_execz .LBB24_33
.LBB24_36:
	s_delay_alu instid0(VALU_DEP_1) | instskip(SKIP_2) | instid1(VALU_DEP_2)
	v_mad_u64_u32 v[5:6], null, v1, 40, v[0:1]
	v_lshrrev_b32_e32 v0, 16, v15
	v_cvt_f32_f16_e32 v2, v15
	v_cvt_f32_f16_e32 v0, v0
	v_mov_b32_e32 v6, 0
	s_delay_alu instid0(VALU_DEP_3) | instskip(NEXT) | instid1(VALU_DEP_3)
	v_mul_f32_e32 v2, v3, v2
	v_mul_f32_e32 v3, v3, v0
	s_delay_alu instid0(VALU_DEP_3) | instskip(NEXT) | instid1(VALU_DEP_1)
	v_lshlrev_b64 v[5:6], 2, v[5:6]
	v_add_co_u32 v5, vcc_lo, s28, v5
	s_delay_alu instid0(VALU_DEP_2) | instskip(SKIP_2) | instid1(SALU_CYCLE_1)
	v_add_co_ci_u32_e32 v6, vcc_lo, s29, v6, vcc_lo
	global_store_b64 v[5:6], v[2:3], off
	s_or_b32 exec_lo, exec_lo, s0
	s_and_b32 exec_lo, exec_lo, s3
	s_cbranch_execz .LBB24_24
.LBB24_37:
	v_ashrrev_i32_e32 v2, 31, v1
	v_mov_b32_e32 v7, v4
	s_delay_alu instid0(VALU_DEP_2) | instskip(NEXT) | instid1(VALU_DEP_1)
	v_lshlrev_b64 v[0:1], 3, v[1:2]
	v_add_co_u32 v0, vcc_lo, s30, v0
	s_delay_alu instid0(VALU_DEP_2)
	v_add_co_ci_u32_e32 v1, vcc_lo, s31, v1, vcc_lo
	global_store_b64 v[0:1], v[7:8], off
	s_nop 0
	s_sendmsg sendmsg(MSG_DEALLOC_VGPRS)
	s_endpgm
	.section	.rodata,"a",@progbits
	.p2align	6, 0x0
	.amdhsa_kernel _ZL15flash_attn_tileILi40ELi40ELi4ELi4ELb0EEvPKcS1_S1_S1_S1_PKiPfP15HIP_vector_typeIfLj2EEffffjfiS5_IjLj3EEiiiiiiiiiiiliiliiiiil
		.amdhsa_group_segment_fixed_size 5472
		.amdhsa_private_segment_fixed_size 0
		.amdhsa_kernarg_size 464
		.amdhsa_user_sgpr_count 13
		.amdhsa_user_sgpr_dispatch_ptr 0
		.amdhsa_user_sgpr_queue_ptr 0
		.amdhsa_user_sgpr_kernarg_segment_ptr 1
		.amdhsa_user_sgpr_dispatch_id 0
		.amdhsa_user_sgpr_private_segment_size 0
		.amdhsa_wavefront_size32 1
		.amdhsa_uses_dynamic_stack 0
		.amdhsa_enable_private_segment 0
		.amdhsa_system_sgpr_workgroup_id_x 1
		.amdhsa_system_sgpr_workgroup_id_y 1
		.amdhsa_system_sgpr_workgroup_id_z 1
		.amdhsa_system_sgpr_workgroup_info 0
		.amdhsa_system_vgpr_workitem_id 1
		.amdhsa_next_free_vgpr 57
		.amdhsa_next_free_sgpr 41
		.amdhsa_reserve_vcc 1
		.amdhsa_float_round_mode_32 0
		.amdhsa_float_round_mode_16_64 0
		.amdhsa_float_denorm_mode_32 3
		.amdhsa_float_denorm_mode_16_64 3
		.amdhsa_dx10_clamp 1
		.amdhsa_ieee_mode 1
		.amdhsa_fp16_overflow 0
		.amdhsa_workgroup_processor_mode 1
		.amdhsa_memory_ordered 1
		.amdhsa_forward_progress 0
		.amdhsa_shared_vgpr_count 0
		.amdhsa_exception_fp_ieee_invalid_op 0
		.amdhsa_exception_fp_denorm_src 0
		.amdhsa_exception_fp_ieee_div_zero 0
		.amdhsa_exception_fp_ieee_overflow 0
		.amdhsa_exception_fp_ieee_underflow 0
		.amdhsa_exception_fp_ieee_inexact 0
		.amdhsa_exception_int_div_zero 0
	.end_amdhsa_kernel
	.section	.text._ZL15flash_attn_tileILi40ELi40ELi4ELi4ELb0EEvPKcS1_S1_S1_S1_PKiPfP15HIP_vector_typeIfLj2EEffffjfiS5_IjLj3EEiiiiiiiiiiiliiliiiiil,"axG",@progbits,_ZL15flash_attn_tileILi40ELi40ELi4ELi4ELb0EEvPKcS1_S1_S1_S1_PKiPfP15HIP_vector_typeIfLj2EEffffjfiS5_IjLj3EEiiiiiiiiiiiliiliiiiil,comdat
.Lfunc_end24:
	.size	_ZL15flash_attn_tileILi40ELi40ELi4ELi4ELb0EEvPKcS1_S1_S1_S1_PKiPfP15HIP_vector_typeIfLj2EEffffjfiS5_IjLj3EEiiiiiiiiiiiliiliiiiil, .Lfunc_end24-_ZL15flash_attn_tileILi40ELi40ELi4ELi4ELb0EEvPKcS1_S1_S1_S1_PKiPfP15HIP_vector_typeIfLj2EEffffjfiS5_IjLj3EEiiiiiiiiiiiliiliiiiil
                                        ; -- End function
	.section	.AMDGPU.csdata,"",@progbits
; Kernel info:
; codeLenInByte = 6412
; NumSgprs: 43
; NumVgprs: 57
; ScratchSize: 0
; MemoryBound: 0
; FloatMode: 240
; IeeeMode: 1
; LDSByteSize: 5472 bytes/workgroup (compile time only)
; SGPRBlocks: 5
; VGPRBlocks: 7
; NumSGPRsForWavesPerEU: 43
; NumVGPRsForWavesPerEU: 57
; Occupancy: 16
; WaveLimiterHint : 1
; COMPUTE_PGM_RSRC2:SCRATCH_EN: 0
; COMPUTE_PGM_RSRC2:USER_SGPR: 13
; COMPUTE_PGM_RSRC2:TRAP_HANDLER: 0
; COMPUTE_PGM_RSRC2:TGID_X_EN: 1
; COMPUTE_PGM_RSRC2:TGID_Y_EN: 1
; COMPUTE_PGM_RSRC2:TGID_Z_EN: 1
; COMPUTE_PGM_RSRC2:TIDIG_COMP_CNT: 1
	.section	.text._ZL33flash_attn_stream_k_fixup_uniformILi40ELi4ELi4EEvPfPK15HIP_vector_typeIfLj2EEiiiiiiS1_IjLj3EES5_S5_,"axG",@progbits,_ZL33flash_attn_stream_k_fixup_uniformILi40ELi4ELi4EEvPfPK15HIP_vector_typeIfLj2EEiiiiiiS1_IjLj3EES5_S5_,comdat
	.globl	_ZL33flash_attn_stream_k_fixup_uniformILi40ELi4ELi4EEvPfPK15HIP_vector_typeIfLj2EEiiiiiiS1_IjLj3EES5_S5_ ; -- Begin function _ZL33flash_attn_stream_k_fixup_uniformILi40ELi4ELi4EEvPfPK15HIP_vector_typeIfLj2EEiiiiiiS1_IjLj3EES5_S5_
	.p2align	8
	.type	_ZL33flash_attn_stream_k_fixup_uniformILi40ELi4ELi4EEvPfPK15HIP_vector_typeIfLj2EEiiiiiiS1_IjLj3EES5_S5_,@function
_ZL33flash_attn_stream_k_fixup_uniformILi40ELi4ELi4EEvPfPK15HIP_vector_typeIfLj2EEiiiiiiS1_IjLj3EES5_S5_: ; @_ZL33flash_attn_stream_k_fixup_uniformILi40ELi4ELi4EEvPfPK15HIP_vector_typeIfLj2EEiiiiiiS1_IjLj3EES5_S5_
; %bb.0:
	s_clause 0x1
	s_load_b256 s[4:11], s[0:1], 0x1c
	s_load_b128 s[16:19], s[0:1], 0x3c
	s_waitcnt lgkmcnt(0)
	s_mul_hi_u32 s2, s7, s13
	s_delay_alu instid0(SALU_CYCLE_1) | instskip(NEXT) | instid1(SALU_CYCLE_1)
	s_add_i32 s2, s13, s2
	s_lshr_b32 s2, s2, s8
	s_delay_alu instid0(SALU_CYCLE_1) | instskip(SKIP_2) | instid1(SALU_CYCLE_1)
	s_mul_i32 s3, s2, s9
	s_load_b64 s[8:9], s[0:1], 0x10
	s_sub_i32 s3, s13, s3
	s_mul_hi_u32 s7, s3, s10
	s_delay_alu instid0(SALU_CYCLE_1) | instskip(NEXT) | instid1(SALU_CYCLE_1)
	s_add_i32 s7, s3, s7
	s_lshr_b32 s7, s7, s11
	s_delay_alu instid0(SALU_CYCLE_1) | instskip(NEXT) | instid1(SALU_CYCLE_1)
	s_mul_i32 s10, s7, s16
	s_sub_i32 s3, s3, s10
	s_delay_alu instid0(SALU_CYCLE_1) | instskip(NEXT) | instid1(SALU_CYCLE_1)
	s_mul_hi_u32 s10, s3, s17
	s_add_i32 s10, s3, s10
	s_delay_alu instid0(SALU_CYCLE_1) | instskip(NEXT) | instid1(SALU_CYCLE_1)
	s_lshr_b32 s11, s10, s18
	s_mul_i32 s10, s11, s19
	s_lshl_b32 s11, s11, 2
	s_sub_i32 s10, s3, s10
	s_delay_alu instid0(SALU_CYCLE_1) | instskip(NEXT) | instid1(SALU_CYCLE_1)
	s_lshl_b32 s3, s10, 2
	s_add_i32 s3, s3, s14
	s_waitcnt lgkmcnt(0)
	s_cmp_lt_i32 s3, s8
	s_cselect_b32 s3, -1, 0
	s_add_i32 s11, s11, s15
	s_delay_alu instid0(SALU_CYCLE_1) | instskip(SKIP_1) | instid1(SALU_CYCLE_1)
	s_cmp_lt_i32 s11, s5
	s_cselect_b32 s12, -1, 0
	s_and_b32 s3, s3, s12
	s_delay_alu instid0(SALU_CYCLE_1)
	s_and_not1_b32 vcc_lo, exec_lo, s3
	s_cbranch_vccnz .LBB25_6
; %bb.1:
	s_mul_i32 s8, s2, s8
	s_mul_i32 s7, s7, s5
	s_add_i32 s8, s8, s14
	s_add_i32 s5, s11, s7
	s_mul_i32 s8, s8, s9
	s_load_b128 s[0:3], s[0:1], 0x0
	s_mul_i32 s7, s9, s10
	s_add_i32 s5, s5, s8
	s_mulk_i32 s7, 0xa0
	s_mul_i32 s5, s5, 40
	s_lshl_b32 s9, s14, 2
	v_add3_u32 v1, s5, s7, v0
	s_mul_i32 s5, s13, s6
	s_delay_alu instid0(SALU_CYCLE_1) | instskip(NEXT) | instid1(VALU_DEP_1)
	s_add_i32 s10, s5, s6
	v_ashrrev_i32_e32 v2, 31, v1
	s_delay_alu instid0(VALU_DEP_1) | instskip(SKIP_1) | instid1(VALU_DEP_1)
	v_lshlrev_b64 v[1:2], 2, v[1:2]
	s_waitcnt lgkmcnt(0)
	v_add_co_u32 v1, vcc_lo, s0, v1
	s_delay_alu instid0(VALU_DEP_2) | instskip(SKIP_4) | instid1(SALU_CYCLE_1)
	v_add_co_ci_u32_e32 v2, vcc_lo, s1, v2, vcc_lo
	s_add_i32 s0, s9, s15
	s_lshl_b32 s1, s10, 4
	global_load_b32 v5, v[1:2], off
	s_add_i32 s0, s0, s1
	s_add_i32 s0, s0, -16
	s_delay_alu instid0(SALU_CYCLE_1) | instskip(NEXT) | instid1(SALU_CYCLE_1)
	s_ashr_i32 s1, s0, 31
	s_lshl_b64 s[0:1], s[0:1], 3
	s_delay_alu instid0(SALU_CYCLE_1)
	s_add_u32 s0, s2, s0
	s_addc_u32 s1, s3, s1
	s_add_i32 s7, s10, -2
	s_load_b32 s11, s[0:1], 0x4
	s_cmp_lt_i32 s7, s5
	s_cbranch_scc1 .LBB25_4
; %bb.2:
	s_load_b32 s12, s[0:1], 0x0
	s_lshl_b32 s16, s4, 6
	s_mulk_i32 s14, 0xa0
	s_ashr_i32 s17, s16, 31
	s_waitcnt lgkmcnt(0)
	v_mov_b32_e32 v6, s11
	s_lshl_b64 s[0:1], s[16:17], 2
	s_delay_alu instid0(SALU_CYCLE_1)
	s_add_u32 s7, s2, s0
	s_addc_u32 s8, s3, s1
	s_add_i32 s13, s13, 1
	s_lshl_b32 s4, s4, 4
	s_mul_i32 s0, s6, s13
	s_mul_i32 s6, s15, 40
	s_lshl_b32 s1, s0, 4
	s_mulk_i32 s0, 0x280
	s_add_i32 s6, s6, s14
	s_add_i32 s1, s15, s1
	;; [unrolled: 1-line block ×4, first 2 shown]
	v_add3_u32 v3, s6, v0, 0xfffffb00
	v_mov_b32_e32 v0, s12
	s_add_i32 s0, s0, s9
	s_add_i32 s4, s10, -1
	s_sub_i32 s0, s0, 32
.LBB25_3:                               ; =>This Inner Loop Header: Depth=1
	s_delay_alu instid0(VALU_DEP_2) | instskip(SKIP_1) | instid1(SALU_CYCLE_1)
	v_ashrrev_i32_e32 v4, 31, v3
	s_ashr_i32 s1, s0, 31
	s_lshl_b64 s[10:11], s[0:1], 3
	s_delay_alu instid0(SALU_CYCLE_1) | instskip(NEXT) | instid1(VALU_DEP_1)
	s_add_u32 s10, s2, s10
	v_lshlrev_b64 v[7:8], 2, v[3:4]
	s_addc_u32 s11, s3, s11
	s_add_i32 s4, s4, -1
	s_add_i32 s0, s0, -16
	s_cmp_le_i32 s4, s5
	s_load_b64 s[10:11], s[10:11], 0x0
	v_add_co_u32 v7, vcc_lo, s7, v7
	v_add_co_ci_u32_e32 v8, vcc_lo, s8, v8, vcc_lo
	global_load_b32 v4, v[7:8], off
	v_max_f32_e32 v7, v0, v0
	s_waitcnt lgkmcnt(0)
	v_max_f32_e64 v8, s10, s10
	s_delay_alu instid0(VALU_DEP_1) | instskip(NEXT) | instid1(VALU_DEP_1)
	v_max_f32_e32 v7, v7, v8
	v_sub_f32_e32 v8, s10, v7
	s_delay_alu instid0(VALU_DEP_1) | instskip(NEXT) | instid1(VALU_DEP_1)
	v_dual_sub_f32 v0, v0, v7 :: v_dual_mul_f32 v9, 0x3fb8aa3b, v8
	v_fma_f32 v10, 0x3fb8aa3b, v8, -v9
	v_rndne_f32_e32 v11, v9
	s_delay_alu instid0(VALU_DEP_3) | instskip(NEXT) | instid1(VALU_DEP_2)
	v_mul_f32_e32 v12, 0x3fb8aa3b, v0
	v_dual_fmac_f32 v10, 0x32a5705f, v8 :: v_dual_sub_f32 v9, v9, v11
	v_cvt_i32_f32_e32 v11, v11
	s_delay_alu instid0(VALU_DEP_3) | instskip(SKIP_1) | instid1(VALU_DEP_4)
	v_fma_f32 v13, 0x3fb8aa3b, v0, -v12
	v_rndne_f32_e32 v14, v12
	v_add_f32_e32 v9, v9, v10
	v_cmp_ngt_f32_e32 vcc_lo, 0xc2ce8ed0, v8
	s_delay_alu instid0(VALU_DEP_3) | instskip(NEXT) | instid1(VALU_DEP_3)
	v_sub_f32_e32 v10, v12, v14
	v_exp_f32_e32 v9, v9
	s_waitcnt_depctr 0xfff
	v_ldexp_f32 v9, v9, v11
	v_cvt_i32_f32_e32 v11, v14
	s_delay_alu instid0(VALU_DEP_2) | instskip(SKIP_1) | instid1(VALU_DEP_2)
	v_cndmask_b32_e32 v9, 0, v9, vcc_lo
	v_cmp_nlt_f32_e32 vcc_lo, 0x42b17218, v8
	v_cndmask_b32_e32 v9, 0x7f800000, v9, vcc_lo
	v_cmp_ngt_f32_e32 vcc_lo, 0xc2ce8ed0, v0
	v_fmac_f32_e32 v13, 0x32a5705f, v0
	s_delay_alu instid0(VALU_DEP_1) | instskip(NEXT) | instid1(VALU_DEP_1)
	v_add_f32_e32 v10, v10, v13
	v_exp_f32_e32 v10, v10
	s_waitcnt_depctr 0xfff
	v_ldexp_f32 v10, v10, v11
	s_delay_alu instid0(VALU_DEP_1)
	v_dual_mov_b32 v11, v6 :: v_dual_cndmask_b32 v10, 0, v10
	v_cmp_le_f32_e32 vcc_lo, 0xc1a00000, v8
	s_waitcnt vmcnt(1)
	v_dual_cndmask_b32 v8, 0, v9 :: v_dual_mov_b32 v9, v5
	v_cmp_nlt_f32_e32 vcc_lo, 0x42b17218, v0
	v_cndmask_b32_e32 v5, 0x7f800000, v10, vcc_lo
	s_delay_alu instid0(VALU_DEP_3) | instskip(SKIP_2) | instid1(VALU_DEP_3)
	v_mul_f32_e32 v10, s11, v8
	v_cmp_le_f32_e32 vcc_lo, 0xc1a00000, v0
	v_mov_b32_e32 v0, v7
	v_mov_b32_e32 v6, v10
	s_waitcnt vmcnt(0)
	v_dual_cndmask_b32 v12, 0, v5 :: v_dual_mul_f32 v5, v4, v8
	s_delay_alu instid0(VALU_DEP_1) | instskip(NEXT) | instid1(VALU_DEP_2)
	v_dual_fmac_f32 v6, v11, v12 :: v_dual_add_nc_u32 v3, 0xfffffd80, v3
	v_fmac_f32_e32 v5, v9, v12
	s_cbranch_scc0 .LBB25_3
	s_branch .LBB25_5
.LBB25_4:
	s_waitcnt lgkmcnt(0)
	v_mov_b32_e32 v6, s11
.LBB25_5:
	s_waitcnt vmcnt(0)
	s_delay_alu instid0(VALU_DEP_1) | instskip(NEXT) | instid1(VALU_DEP_1)
	v_div_scale_f32 v0, null, v6, v6, v5
	v_rcp_f32_e32 v3, v0
	s_waitcnt_depctr 0xfff
	v_fma_f32 v4, -v0, v3, 1.0
	s_delay_alu instid0(VALU_DEP_1) | instskip(SKIP_1) | instid1(VALU_DEP_1)
	v_fmac_f32_e32 v3, v4, v3
	v_div_scale_f32 v4, vcc_lo, v5, v6, v5
	v_mul_f32_e32 v7, v4, v3
	s_delay_alu instid0(VALU_DEP_1) | instskip(NEXT) | instid1(VALU_DEP_1)
	v_fma_f32 v8, -v0, v7, v4
	v_fmac_f32_e32 v7, v8, v3
	s_delay_alu instid0(VALU_DEP_1) | instskip(NEXT) | instid1(VALU_DEP_1)
	v_fma_f32 v0, -v0, v7, v4
	v_div_fmas_f32 v0, v0, v3, v7
	s_delay_alu instid0(VALU_DEP_1)
	v_div_fixup_f32 v0, v0, v6, v5
	global_store_b32 v[1:2], v0, off
.LBB25_6:
	s_nop 0
	s_sendmsg sendmsg(MSG_DEALLOC_VGPRS)
	s_endpgm
	.section	.rodata,"a",@progbits
	.p2align	6, 0x0
	.amdhsa_kernel _ZL33flash_attn_stream_k_fixup_uniformILi40ELi4ELi4EEvPfPK15HIP_vector_typeIfLj2EEiiiiiiS1_IjLj3EES5_S5_
		.amdhsa_group_segment_fixed_size 0
		.amdhsa_private_segment_fixed_size 0
		.amdhsa_kernarg_size 76
		.amdhsa_user_sgpr_count 13
		.amdhsa_user_sgpr_dispatch_ptr 0
		.amdhsa_user_sgpr_queue_ptr 0
		.amdhsa_user_sgpr_kernarg_segment_ptr 1
		.amdhsa_user_sgpr_dispatch_id 0
		.amdhsa_user_sgpr_private_segment_size 0
		.amdhsa_wavefront_size32 1
		.amdhsa_uses_dynamic_stack 0
		.amdhsa_enable_private_segment 0
		.amdhsa_system_sgpr_workgroup_id_x 1
		.amdhsa_system_sgpr_workgroup_id_y 1
		.amdhsa_system_sgpr_workgroup_id_z 1
		.amdhsa_system_sgpr_workgroup_info 0
		.amdhsa_system_vgpr_workitem_id 0
		.amdhsa_next_free_vgpr 15
		.amdhsa_next_free_sgpr 20
		.amdhsa_reserve_vcc 1
		.amdhsa_float_round_mode_32 0
		.amdhsa_float_round_mode_16_64 0
		.amdhsa_float_denorm_mode_32 3
		.amdhsa_float_denorm_mode_16_64 3
		.amdhsa_dx10_clamp 1
		.amdhsa_ieee_mode 1
		.amdhsa_fp16_overflow 0
		.amdhsa_workgroup_processor_mode 1
		.amdhsa_memory_ordered 1
		.amdhsa_forward_progress 0
		.amdhsa_shared_vgpr_count 0
		.amdhsa_exception_fp_ieee_invalid_op 0
		.amdhsa_exception_fp_denorm_src 0
		.amdhsa_exception_fp_ieee_div_zero 0
		.amdhsa_exception_fp_ieee_overflow 0
		.amdhsa_exception_fp_ieee_underflow 0
		.amdhsa_exception_fp_ieee_inexact 0
		.amdhsa_exception_int_div_zero 0
	.end_amdhsa_kernel
	.section	.text._ZL33flash_attn_stream_k_fixup_uniformILi40ELi4ELi4EEvPfPK15HIP_vector_typeIfLj2EEiiiiiiS1_IjLj3EES5_S5_,"axG",@progbits,_ZL33flash_attn_stream_k_fixup_uniformILi40ELi4ELi4EEvPfPK15HIP_vector_typeIfLj2EEiiiiiiS1_IjLj3EES5_S5_,comdat
.Lfunc_end25:
	.size	_ZL33flash_attn_stream_k_fixup_uniformILi40ELi4ELi4EEvPfPK15HIP_vector_typeIfLj2EEiiiiiiS1_IjLj3EES5_S5_, .Lfunc_end25-_ZL33flash_attn_stream_k_fixup_uniformILi40ELi4ELi4EEvPfPK15HIP_vector_typeIfLj2EEiiiiiiS1_IjLj3EES5_S5_
                                        ; -- End function
	.section	.AMDGPU.csdata,"",@progbits
; Kernel info:
; codeLenInByte = 988
; NumSgprs: 22
; NumVgprs: 15
; ScratchSize: 0
; MemoryBound: 0
; FloatMode: 240
; IeeeMode: 1
; LDSByteSize: 0 bytes/workgroup (compile time only)
; SGPRBlocks: 2
; VGPRBlocks: 1
; NumSGPRsForWavesPerEU: 22
; NumVGPRsForWavesPerEU: 15
; Occupancy: 16
; WaveLimiterHint : 0
; COMPUTE_PGM_RSRC2:SCRATCH_EN: 0
; COMPUTE_PGM_RSRC2:USER_SGPR: 13
; COMPUTE_PGM_RSRC2:TRAP_HANDLER: 0
; COMPUTE_PGM_RSRC2:TGID_X_EN: 1
; COMPUTE_PGM_RSRC2:TGID_Y_EN: 1
; COMPUTE_PGM_RSRC2:TGID_Z_EN: 1
; COMPUTE_PGM_RSRC2:TIDIG_COMP_CNT: 0
	.section	.text._ZL33flash_attn_stream_k_fixup_generalILi40ELi4ELi4EEvPfPK15HIP_vector_typeIfLj2EEiiiiS1_IjLj3EES5_S5_S5_,"axG",@progbits,_ZL33flash_attn_stream_k_fixup_generalILi40ELi4ELi4EEvPfPK15HIP_vector_typeIfLj2EEiiiiS1_IjLj3EES5_S5_S5_,comdat
	.globl	_ZL33flash_attn_stream_k_fixup_generalILi40ELi4ELi4EEvPfPK15HIP_vector_typeIfLj2EEiiiiS1_IjLj3EES5_S5_S5_ ; -- Begin function _ZL33flash_attn_stream_k_fixup_generalILi40ELi4ELi4EEvPfPK15HIP_vector_typeIfLj2EEiiiiS1_IjLj3EES5_S5_S5_
	.p2align	8
	.type	_ZL33flash_attn_stream_k_fixup_generalILi40ELi4ELi4EEvPfPK15HIP_vector_typeIfLj2EEiiiiS1_IjLj3EES5_S5_S5_,@function
_ZL33flash_attn_stream_k_fixup_generalILi40ELi4ELi4EEvPfPK15HIP_vector_typeIfLj2EEiiiiS1_IjLj3EES5_S5_S5_: ; @_ZL33flash_attn_stream_k_fixup_generalILi40ELi4ELi4EEvPfPK15HIP_vector_typeIfLj2EEiiiiS1_IjLj3EES5_S5_S5_
; %bb.0:
	s_clause 0x1
	s_load_b128 s[4:7], s[0:1], 0x10
	s_load_b32 s20, s[0:1], 0x50
	s_mov_b32 s2, 0
	s_waitcnt lgkmcnt(0)
	s_mul_hi_i32 s3, s7, s13
	s_mul_i32 s12, s7, s13
	s_cmp_lg_u64 s[2:3], 0
	s_cbranch_scc0 .LBB26_21
; %bb.1:
	v_cvt_f32_ubyte0_e32 v1, 0
	v_cvt_f32_u32_e32 v2, s20
	s_sub_u32 s10, 0, s20
	s_subb_u32 s11, 0, 0
	s_delay_alu instid0(VALU_DEP_1) | instskip(NEXT) | instid1(VALU_DEP_1)
	v_fmamk_f32 v1, v1, 0x4f800000, v2
	v_rcp_f32_e32 v1, v1
	s_waitcnt_depctr 0xfff
	v_mul_f32_e32 v1, 0x5f7ffffc, v1
	s_delay_alu instid0(VALU_DEP_1) | instskip(NEXT) | instid1(VALU_DEP_1)
	v_mul_f32_e32 v2, 0x2f800000, v1
	v_trunc_f32_e32 v2, v2
	s_delay_alu instid0(VALU_DEP_1) | instskip(SKIP_1) | instid1(VALU_DEP_2)
	v_fmamk_f32 v1, v2, 0xcf800000, v1
	v_cvt_u32_f32_e32 v2, v2
	v_cvt_u32_f32_e32 v1, v1
	s_delay_alu instid0(VALU_DEP_2) | instskip(NEXT) | instid1(VALU_DEP_2)
	v_readfirstlane_b32 s8, v2
	v_readfirstlane_b32 s9, v1
	s_delay_alu instid0(VALU_DEP_2) | instskip(NEXT) | instid1(VALU_DEP_1)
	s_mul_i32 s16, s10, s8
	s_mul_hi_u32 s18, s10, s9
	s_mul_i32 s17, s11, s9
	s_add_i32 s16, s18, s16
	s_mul_i32 s19, s10, s9
	s_add_i32 s16, s16, s17
	s_mul_hi_u32 s18, s9, s19
	s_mul_hi_u32 s21, s8, s19
	s_mul_i32 s17, s8, s19
	s_mul_hi_u32 s19, s9, s16
	s_mul_i32 s9, s9, s16
	s_mul_hi_u32 s22, s8, s16
	s_add_u32 s9, s18, s9
	s_addc_u32 s18, 0, s19
	s_add_u32 s9, s9, s17
	s_mul_i32 s16, s8, s16
	s_addc_u32 s9, s18, s21
	s_addc_u32 s17, s22, 0
	s_add_u32 s9, s9, s16
	s_addc_u32 s16, 0, s17
	v_add_co_u32 v1, s9, v1, s9
	s_delay_alu instid0(VALU_DEP_1) | instskip(SKIP_1) | instid1(VALU_DEP_1)
	s_cmp_lg_u32 s9, 0
	s_addc_u32 s8, s8, s16
	v_readfirstlane_b32 s9, v1
	s_mul_i32 s16, s10, s8
	s_delay_alu instid0(VALU_DEP_1)
	s_mul_hi_u32 s17, s10, s9
	s_mul_i32 s11, s11, s9
	s_add_i32 s16, s17, s16
	s_mul_i32 s10, s10, s9
	s_add_i32 s16, s16, s11
	s_mul_hi_u32 s17, s8, s10
	s_mul_i32 s18, s8, s10
	s_mul_hi_u32 s10, s9, s10
	s_mul_hi_u32 s19, s9, s16
	s_mul_i32 s9, s9, s16
	s_mul_hi_u32 s11, s8, s16
	s_add_u32 s9, s10, s9
	s_addc_u32 s10, 0, s19
	s_add_u32 s9, s9, s18
	s_mul_i32 s16, s8, s16
	s_addc_u32 s9, s10, s17
	s_addc_u32 s10, s11, 0
	s_add_u32 s9, s9, s16
	s_addc_u32 s10, 0, s10
	v_add_co_u32 v1, s9, v1, s9
	s_delay_alu instid0(VALU_DEP_1) | instskip(SKIP_2) | instid1(SALU_CYCLE_1)
	s_cmp_lg_u32 s9, 0
	s_addc_u32 s16, s8, s10
	s_ashr_i32 s8, s3, 31
	s_add_u32 s10, s12, s8
	s_addc_u32 s11, s3, s8
	v_readfirstlane_b32 s3, v1
	s_mov_b32 s9, s8
	s_delay_alu instid0(SALU_CYCLE_1) | instskip(NEXT) | instid1(SALU_CYCLE_1)
	s_xor_b64 s[10:11], s[10:11], s[8:9]
	s_mul_i32 s18, s10, s16
	s_delay_alu instid0(VALU_DEP_1)
	s_mul_hi_u32 s19, s10, s3
	s_mul_hi_u32 s17, s10, s16
	;; [unrolled: 1-line block ×3, first 2 shown]
	s_mul_i32 s3, s11, s3
	s_add_u32 s18, s19, s18
	s_addc_u32 s17, 0, s17
	s_mul_hi_u32 s21, s11, s16
	s_add_u32 s3, s18, s3
	s_mul_i32 s16, s11, s16
	s_addc_u32 s3, s17, s22
	s_addc_u32 s17, s21, 0
	s_add_u32 s3, s3, s16
	s_addc_u32 s16, 0, s17
	s_mul_i32 s18, s20, s3
	s_add_u32 s17, s3, 1
	v_sub_co_u32 v1, s10, s10, s18
	s_mul_hi_u32 s18, s20, s3
	s_addc_u32 s19, s16, 0
	s_mul_i32 s21, s20, s16
	s_delay_alu instid0(VALU_DEP_1)
	v_sub_co_u32 v2, s22, v1, s20
	s_add_u32 s23, s3, 2
	s_addc_u32 s24, s16, 0
	s_add_i32 s18, s18, s21
	s_cmp_lg_u32 s10, 0
	v_readfirstlane_b32 s10, v2
	s_subb_u32 s11, s11, s18
	s_cmp_lg_u32 s22, 0
	s_subb_u32 s18, s11, 0
	s_delay_alu instid0(VALU_DEP_1) | instskip(SKIP_4) | instid1(SALU_CYCLE_1)
	s_cmp_ge_u32 s10, s20
	s_cselect_b32 s10, -1, 0
	s_cmp_eq_u32 s18, 0
	v_readfirstlane_b32 s18, v1
	s_cselect_b32 s10, s10, -1
	s_cmp_lg_u32 s10, 0
	s_cselect_b32 s10, s23, s17
	s_cselect_b32 s17, s24, s19
	s_cmp_ge_u32 s18, s20
	s_cselect_b32 s18, -1, 0
	s_cmp_eq_u32 s11, 0
	s_cselect_b32 s11, s18, -1
	s_delay_alu instid0(SALU_CYCLE_1) | instskip(SKIP_2) | instid1(SALU_CYCLE_1)
	s_cmp_lg_u32 s11, 0
	s_cselect_b32 s11, s17, s16
	s_cselect_b32 s10, s10, s3
	s_xor_b64 s[10:11], s[10:11], s[8:9]
	s_delay_alu instid0(SALU_CYCLE_1)
	s_sub_u32 s16, s10, s8
	s_load_b128 s[8:11], s[0:1], 0x44
	s_and_not1_b32 vcc_lo, exec_lo, s2
	s_cbranch_vccnz .LBB26_3
.LBB26_2:
	v_cvt_f32_u32_e32 v1, s20
	s_sub_i32 s3, 0, s20
	s_delay_alu instid0(VALU_DEP_1) | instskip(SKIP_2) | instid1(VALU_DEP_1)
	v_rcp_iflag_f32_e32 v1, v1
	s_waitcnt_depctr 0xfff
	v_mul_f32_e32 v1, 0x4f7ffffe, v1
	v_cvt_u32_f32_e32 v1, v1
	s_delay_alu instid0(VALU_DEP_1) | instskip(NEXT) | instid1(VALU_DEP_1)
	v_readfirstlane_b32 s2, v1
	s_mul_i32 s3, s3, s2
	s_delay_alu instid0(SALU_CYCLE_1) | instskip(NEXT) | instid1(SALU_CYCLE_1)
	s_mul_hi_u32 s3, s2, s3
	s_add_i32 s2, s2, s3
	s_delay_alu instid0(SALU_CYCLE_1) | instskip(NEXT) | instid1(SALU_CYCLE_1)
	s_mul_hi_u32 s2, s12, s2
	s_mul_i32 s3, s2, s20
	s_waitcnt lgkmcnt(0)
	s_add_i32 s11, s2, 1
	s_sub_i32 s3, s12, s3
	s_delay_alu instid0(SALU_CYCLE_1)
	s_sub_i32 s12, s3, s20
	s_cmp_ge_u32 s3, s20
	s_cselect_b32 s2, s11, s2
	s_cselect_b32 s3, s12, s3
	s_add_i32 s11, s2, 1
	s_cmp_ge_u32 s3, s20
	s_cselect_b32 s16, s11, s2
.LBB26_3:
	s_waitcnt lgkmcnt(0)
	s_add_i32 s11, s13, 1
	s_mov_b32 s2, 0
	s_mul_hi_i32 s3, s7, s11
	s_mul_i32 s11, s7, s11
	s_cmp_lg_u64 s[2:3], 0
	s_cbranch_scc0 .LBB26_22
; %bb.4:
	v_cvt_f32_ubyte0_e32 v1, 0
	v_cvt_f32_u32_e32 v2, s20
	s_sub_u32 s18, 0, s20
	s_subb_u32 s19, 0, 0
	s_delay_alu instid0(VALU_DEP_1) | instskip(NEXT) | instid1(VALU_DEP_1)
	v_fmamk_f32 v1, v1, 0x4f800000, v2
	v_rcp_f32_e32 v1, v1
	s_waitcnt_depctr 0xfff
	v_mul_f32_e32 v1, 0x5f7ffffc, v1
	s_delay_alu instid0(VALU_DEP_1) | instskip(NEXT) | instid1(VALU_DEP_1)
	v_mul_f32_e32 v2, 0x2f800000, v1
	v_trunc_f32_e32 v2, v2
	s_delay_alu instid0(VALU_DEP_1) | instskip(SKIP_1) | instid1(VALU_DEP_2)
	v_fmamk_f32 v1, v2, 0xcf800000, v1
	v_cvt_u32_f32_e32 v2, v2
	v_cvt_u32_f32_e32 v1, v1
	s_delay_alu instid0(VALU_DEP_2) | instskip(NEXT) | instid1(VALU_DEP_2)
	v_readfirstlane_b32 s12, v2
	v_readfirstlane_b32 s17, v1
	s_delay_alu instid0(VALU_DEP_2) | instskip(NEXT) | instid1(VALU_DEP_1)
	s_mul_i32 s21, s18, s12
	s_mul_hi_u32 s23, s18, s17
	s_mul_i32 s22, s19, s17
	s_add_i32 s21, s23, s21
	s_mul_i32 s24, s18, s17
	s_add_i32 s21, s21, s22
	s_mul_hi_u32 s23, s17, s24
	s_mul_hi_u32 s25, s12, s24
	s_mul_i32 s22, s12, s24
	s_mul_hi_u32 s24, s17, s21
	s_mul_i32 s17, s17, s21
	s_mul_hi_u32 s26, s12, s21
	s_add_u32 s17, s23, s17
	s_addc_u32 s23, 0, s24
	s_add_u32 s17, s17, s22
	s_mul_i32 s21, s12, s21
	s_addc_u32 s17, s23, s25
	s_addc_u32 s22, s26, 0
	s_add_u32 s17, s17, s21
	s_addc_u32 s21, 0, s22
	v_add_co_u32 v1, s17, v1, s17
	s_delay_alu instid0(VALU_DEP_1) | instskip(SKIP_1) | instid1(VALU_DEP_1)
	s_cmp_lg_u32 s17, 0
	s_addc_u32 s12, s12, s21
	v_readfirstlane_b32 s17, v1
	s_mul_i32 s21, s18, s12
	s_delay_alu instid0(VALU_DEP_1)
	s_mul_hi_u32 s22, s18, s17
	s_mul_i32 s19, s19, s17
	s_add_i32 s21, s22, s21
	s_mul_i32 s18, s18, s17
	s_add_i32 s21, s21, s19
	s_mul_hi_u32 s22, s12, s18
	s_mul_i32 s23, s12, s18
	s_mul_hi_u32 s18, s17, s18
	s_mul_hi_u32 s24, s17, s21
	s_mul_i32 s17, s17, s21
	s_mul_hi_u32 s19, s12, s21
	s_add_u32 s17, s18, s17
	s_addc_u32 s18, 0, s24
	s_add_u32 s17, s17, s23
	s_mul_i32 s21, s12, s21
	s_addc_u32 s17, s18, s22
	s_addc_u32 s18, s19, 0
	s_add_u32 s17, s17, s21
	s_addc_u32 s18, 0, s18
	v_add_co_u32 v1, s17, v1, s17
	s_delay_alu instid0(VALU_DEP_1) | instskip(SKIP_2) | instid1(SALU_CYCLE_1)
	s_cmp_lg_u32 s17, 0
	s_addc_u32 s12, s12, s18
	s_ashr_i32 s18, s3, 31
	s_add_u32 s22, s11, s18
	s_addc_u32 s23, s3, s18
	v_readfirstlane_b32 s3, v1
	s_mov_b32 s19, s18
	s_delay_alu instid0(SALU_CYCLE_1) | instskip(NEXT) | instid1(SALU_CYCLE_1)
	s_xor_b64 s[22:23], s[22:23], s[18:19]
	s_mul_i32 s21, s22, s12
	s_delay_alu instid0(VALU_DEP_1)
	s_mul_hi_u32 s24, s22, s3
	s_mul_hi_u32 s17, s22, s12
	;; [unrolled: 1-line block ×3, first 2 shown]
	s_mul_i32 s3, s23, s3
	s_add_u32 s21, s24, s21
	s_addc_u32 s17, 0, s17
	s_mul_hi_u32 s25, s23, s12
	s_add_u32 s3, s21, s3
	s_mul_i32 s12, s23, s12
	s_addc_u32 s3, s17, s26
	s_addc_u32 s17, s25, 0
	s_add_u32 s3, s3, s12
	s_addc_u32 s12, 0, s17
	s_mul_i32 s21, s20, s3
	s_add_u32 s17, s3, 1
	v_sub_co_u32 v1, s21, s22, s21
	s_mul_hi_u32 s22, s20, s3
	s_addc_u32 s24, s12, 0
	s_mul_i32 s25, s20, s12
	s_delay_alu instid0(VALU_DEP_1)
	v_sub_co_u32 v2, s26, v1, s20
	s_add_u32 s27, s3, 2
	s_addc_u32 s28, s12, 0
	s_add_i32 s22, s22, s25
	s_cmp_lg_u32 s21, 0
	v_readfirstlane_b32 s21, v2
	s_subb_u32 s22, s23, s22
	s_cmp_lg_u32 s26, 0
	s_subb_u32 s23, s22, 0
	s_delay_alu instid0(VALU_DEP_1) | instskip(SKIP_4) | instid1(SALU_CYCLE_1)
	s_cmp_ge_u32 s21, s20
	s_cselect_b32 s21, -1, 0
	s_cmp_eq_u32 s23, 0
	v_readfirstlane_b32 s23, v1
	s_cselect_b32 s21, s21, -1
	s_cmp_lg_u32 s21, 0
	s_cselect_b32 s17, s27, s17
	s_cselect_b32 s21, s28, s24
	s_cmp_ge_u32 s23, s20
	s_cselect_b32 s23, -1, 0
	s_cmp_eq_u32 s22, 0
	s_cselect_b32 s22, s23, -1
	s_delay_alu instid0(SALU_CYCLE_1) | instskip(SKIP_2) | instid1(SALU_CYCLE_1)
	s_cmp_lg_u32 s22, 0
	s_cselect_b32 s23, s21, s12
	s_cselect_b32 s22, s17, s3
	s_xor_b64 s[22:23], s[22:23], s[18:19]
	s_delay_alu instid0(SALU_CYCLE_1)
	s_sub_u32 s18, s22, s18
	s_and_not1_b32 vcc_lo, exec_lo, s2
	s_cbranch_vccnz .LBB26_6
.LBB26_5:
	v_cvt_f32_u32_e32 v1, s20
	s_sub_i32 s3, 0, s20
	s_delay_alu instid0(VALU_DEP_1) | instskip(SKIP_2) | instid1(VALU_DEP_1)
	v_rcp_iflag_f32_e32 v1, v1
	s_waitcnt_depctr 0xfff
	v_mul_f32_e32 v1, 0x4f7ffffe, v1
	v_cvt_u32_f32_e32 v1, v1
	s_delay_alu instid0(VALU_DEP_1) | instskip(NEXT) | instid1(VALU_DEP_1)
	v_readfirstlane_b32 s2, v1
	s_mul_i32 s3, s3, s2
	s_delay_alu instid0(SALU_CYCLE_1) | instskip(NEXT) | instid1(SALU_CYCLE_1)
	s_mul_hi_u32 s3, s2, s3
	s_add_i32 s2, s2, s3
	s_delay_alu instid0(SALU_CYCLE_1) | instskip(NEXT) | instid1(SALU_CYCLE_1)
	s_mul_hi_u32 s2, s11, s2
	s_mul_i32 s3, s2, s20
	s_delay_alu instid0(SALU_CYCLE_1)
	s_sub_i32 s3, s11, s3
	s_add_i32 s11, s2, 1
	s_sub_i32 s12, s3, s20
	s_cmp_ge_u32 s3, s20
	s_cselect_b32 s2, s11, s2
	s_cselect_b32 s3, s12, s3
	s_add_i32 s11, s2, 1
	s_cmp_ge_u32 s3, s20
	s_cselect_b32 s18, s11, s2
.LBB26_6:
	s_delay_alu instid0(SALU_CYCLE_1) | instskip(SKIP_3) | instid1(SALU_CYCLE_1)
	s_cmp_eq_u32 s16, s18
	s_mul_hi_u32 s2, s16, s8
	s_cselect_b32 s3, -1, 0
	s_add_i32 s2, s2, s16
	s_lshr_b32 s11, s2, s9
	s_delay_alu instid0(SALU_CYCLE_1) | instskip(NEXT) | instid1(SALU_CYCLE_1)
	s_mul_i32 s2, s11, s10
	s_cmp_eq_u32 s2, s16
	s_mul_hi_u32 s2, s18, s8
	s_cselect_b32 s12, -1, 0
	s_add_i32 s2, s2, s18
	s_delay_alu instid0(SALU_CYCLE_1) | instskip(NEXT) | instid1(SALU_CYCLE_1)
	s_lshr_b32 s2, s2, s9
	s_cmp_eq_u32 s11, s2
	s_mul_i32 s2, s2, s10
	s_cselect_b32 s17, -1, 0
	s_cmp_lg_u32 s2, s18
	s_cselect_b32 s2, -1, 0
	s_or_b32 s3, s3, s12
	s_and_b32 s2, s17, s2
	s_delay_alu instid0(SALU_CYCLE_1) | instskip(NEXT) | instid1(SALU_CYCLE_1)
	s_or_b32 s2, s3, s2
	s_and_b32 vcc_lo, exec_lo, s2
	s_cbranch_vccnz .LBB26_24
; %bb.7:
	s_load_b256 s[24:31], s[0:1], 0x20
	s_waitcnt lgkmcnt(0)
	s_mul_hi_u32 s2, s16, s24
	s_delay_alu instid0(SALU_CYCLE_1) | instskip(NEXT) | instid1(SALU_CYCLE_1)
	s_add_i32 s2, s2, s16
	s_lshr_b32 s17, s2, s25
	s_load_b32 s2, s[0:1], 0x40
	s_mul_i32 s3, s17, s26
	s_delay_alu instid0(SALU_CYCLE_1) | instskip(NEXT) | instid1(SALU_CYCLE_1)
	s_sub_i32 s3, s16, s3
	s_mul_hi_u32 s12, s3, s27
	s_delay_alu instid0(SALU_CYCLE_1) | instskip(NEXT) | instid1(SALU_CYCLE_1)
	s_add_i32 s12, s3, s12
	s_lshr_b32 s19, s12, s28
	s_delay_alu instid0(SALU_CYCLE_1) | instskip(NEXT) | instid1(SALU_CYCLE_1)
	s_mul_i32 s12, s19, s29
	s_sub_i32 s3, s3, s12
	s_delay_alu instid0(SALU_CYCLE_1) | instskip(NEXT) | instid1(SALU_CYCLE_1)
	s_mul_hi_u32 s12, s3, s30
	s_add_i32 s12, s3, s12
	s_delay_alu instid0(SALU_CYCLE_1)
	s_lshr_b32 s12, s12, s31
	s_waitcnt lgkmcnt(0)
	s_mul_i32 s2, s12, s2
	s_lshl_b32 s21, s12, 2
	s_sub_i32 s2, s3, s2
	s_mov_b32 s12, 0
	s_mul_hi_u32 s3, s2, s8
	s_delay_alu instid0(SALU_CYCLE_1) | instskip(NEXT) | instid1(SALU_CYCLE_1)
	s_add_i32 s2, s2, s3
	s_lshr_b32 s18, s2, s9
	s_delay_alu instid0(SALU_CYCLE_1) | instskip(NEXT) | instid1(SALU_CYCLE_1)
	s_lshl_b32 s2, s18, 2
	s_add_i32 s2, s2, s14
	s_delay_alu instid0(SALU_CYCLE_1) | instskip(SKIP_2) | instid1(SALU_CYCLE_1)
	s_cmp_lt_i32 s2, s4
	s_cselect_b32 s2, -1, 0
	s_add_i32 s21, s21, s15
	s_cmp_lt_i32 s21, s6
	s_cselect_b32 s3, -1, 0
	s_delay_alu instid0(SALU_CYCLE_1) | instskip(NEXT) | instid1(SALU_CYCLE_1)
	s_and_b32 s2, s2, s3
	s_and_not1_b32 vcc_lo, exec_lo, s2
	s_cbranch_vccnz .LBB26_24
; %bb.8:
	s_load_b128 s[0:3], s[0:1], 0x0
	s_lshl_b32 s22, s20, 6
	s_mov_b32 s23, s12
	s_lshl_b32 s24, s14, 2
	s_lshl_b64 s[22:23], s[22:23], 2
	s_mul_i32 s19, s19, s6
	s_mul_i32 s4, s17, s4
	s_add_i32 s6, s24, s15
	v_cvt_f32_ubyte0_e32 v3, 0
	v_cvt_f32_u32_e32 v4, s20
	s_waitcnt lgkmcnt(0)
	s_add_u32 s15, s2, s22
	s_addc_u32 s17, s3, s23
	s_add_i32 s4, s4, s14
	s_add_i32 s14, s21, s19
	s_mul_i32 s4, s4, s5
	s_mul_i32 s5, s5, s18
	s_add_i32 s4, s14, s4
	s_mulk_i32 s5, 0xa0
	s_mul_i32 s4, s4, 40
	s_delay_alu instid0(SALU_CYCLE_1) | instskip(NEXT) | instid1(VALU_DEP_1)
	v_add3_u32 v1, s5, s4, v0
	v_ashrrev_i32_e32 v2, 31, v1
	s_delay_alu instid0(VALU_DEP_1) | instskip(NEXT) | instid1(VALU_DEP_1)
	v_lshlrev_b64 v[1:2], 2, v[1:2]
	v_add_co_u32 v1, vcc_lo, s0, v1
	s_delay_alu instid0(VALU_DEP_2) | instskip(SKIP_1) | instid1(SALU_CYCLE_1)
	v_add_co_ci_u32_e32 v2, vcc_lo, s1, v2, vcc_lo
	s_lshl_b32 s0, s13, 4
	s_add_i32 s0, s6, s0
	global_load_b32 v5, v[1:2], off
	s_ashr_i32 s1, s0, 31
	s_delay_alu instid0(SALU_CYCLE_1) | instskip(NEXT) | instid1(SALU_CYCLE_1)
	s_lshl_b64 s[0:1], s[0:1], 3
	s_add_u32 s0, s2, s0
	s_addc_u32 s1, s3, s1
	s_add_i32 s18, s13, -1
	s_load_b64 s[0:1], s[0:1], 0x0
	v_fmac_f32_e32 v4, 0x4f800000, v3
	s_sub_i32 s14, 0, s20
	s_delay_alu instid0(VALU_DEP_1)
	v_rcp_f32_e32 v3, v4
	s_waitcnt_depctr 0xfff
	v_mul_f32_e32 v6, 0x5f7ffffc, v3
	v_cvt_f32_u32_e32 v3, s20
	s_waitcnt lgkmcnt(0)
	v_mov_b32_e32 v8, s0
	s_delay_alu instid0(VALU_DEP_3) | instskip(NEXT) | instid1(VALU_DEP_3)
	v_mul_f32_e32 v4, 0x2f800000, v6
	v_rcp_iflag_f32_e32 v7, v3
	s_delay_alu instid0(VALU_DEP_1) | instskip(SKIP_1) | instid1(VALU_DEP_2)
	v_trunc_f32_e32 v9, v4
	v_mad_u64_u32 v[3:4], null, s6, 40, v[0:1]
	v_fmac_f32_e32 v6, 0xcf800000, v9
	s_waitcnt_depctr 0xfff
	v_dual_mul_f32 v10, 0x4f7ffffe, v7 :: v_dual_mov_b32 v7, s1
	v_cvt_u32_f32_e32 v4, v9
	v_cvt_u32_f32_e32 v0, v6
	s_delay_alu instid0(VALU_DEP_3)
	v_cvt_u32_f32_e32 v6, v10
.LBB26_9:                               ; =>This Inner Loop Header: Depth=1
	s_mul_hi_i32 s13, s18, s7
	s_mul_i32 s4, s18, s7
	s_cmp_lg_u64 s[12:13], 0
	s_mov_b32 s5, -1
                                        ; implicit-def: $sgpr0_sgpr1
	s_cbranch_scc0 .LBB26_11
; %bb.10:                               ;   in Loop: Header=BB26_9 Depth=1
	v_readfirstlane_b32 s0, v0
	v_readfirstlane_b32 s1, v4
	s_sub_u32 s5, 0, s20
	s_subb_u32 s19, 0, 0
	s_delay_alu instid0(VALU_DEP_2) | instskip(NEXT) | instid1(VALU_DEP_1)
	s_mul_hi_u32 s21, s5, s0
	s_mul_i32 s22, s5, s1
	s_mul_i32 s23, s19, s0
	s_add_i32 s21, s21, s22
	s_mul_i32 s22, s5, s0
	s_add_i32 s21, s21, s23
	s_mul_hi_u32 s23, s0, s22
	s_mul_i32 s24, s0, s21
	s_mul_hi_u32 s0, s0, s21
	s_add_u32 s23, s23, s24
	s_mul_i32 s25, s1, s22
	s_addc_u32 s0, 0, s0
	s_mul_hi_u32 s22, s1, s22
	s_mul_hi_u32 s24, s1, s21
	s_add_u32 s23, s23, s25
	s_addc_u32 s0, s0, s22
	s_mul_i32 s21, s1, s21
	s_addc_u32 s22, s24, 0
	s_add_u32 s0, s0, s21
	s_addc_u32 s21, 0, s22
	v_add_co_u32 v9, s0, v0, s0
	s_delay_alu instid0(VALU_DEP_1) | instskip(SKIP_1) | instid1(VALU_DEP_1)
	s_cmp_lg_u32 s0, 0
	s_addc_u32 s1, s1, s21
	v_readfirstlane_b32 s0, v9
	s_mul_i32 s21, s5, s1
	s_delay_alu instid0(VALU_DEP_1)
	s_mul_hi_u32 s22, s5, s0
	s_mul_i32 s19, s19, s0
	s_add_i32 s21, s22, s21
	s_mul_i32 s5, s5, s0
	s_add_i32 s21, s21, s19
	s_mul_hi_u32 s19, s1, s5
	s_mul_i32 s23, s1, s5
	s_mul_i32 s24, s0, s21
	s_mul_hi_u32 s5, s0, s5
	s_mul_hi_u32 s0, s0, s21
	s_add_u32 s5, s5, s24
	s_addc_u32 s0, 0, s0
	s_mul_hi_u32 s22, s1, s21
	s_add_u32 s5, s5, s23
	s_addc_u32 s0, s0, s19
	s_mul_i32 s5, s1, s21
	s_addc_u32 s19, s22, 0
	s_add_u32 s0, s0, s5
	s_addc_u32 s5, 0, s19
	v_add_co_u32 v9, s0, v9, s0
	s_delay_alu instid0(VALU_DEP_1) | instskip(SKIP_2) | instid1(SALU_CYCLE_1)
	s_cmp_lg_u32 s0, 0
	s_addc_u32 s5, s1, s5
	s_ashr_i32 s0, s13, 31
	s_add_u32 s22, s4, s0
	s_addc_u32 s23, s13, s0
	v_readfirstlane_b32 s13, v9
	s_mov_b32 s1, s0
	s_delay_alu instid0(SALU_CYCLE_1) | instskip(NEXT) | instid1(SALU_CYCLE_1)
	s_xor_b64 s[22:23], s[22:23], s[0:1]
	s_mul_i32 s19, s22, s5
	s_delay_alu instid0(VALU_DEP_1)
	s_mul_hi_u32 s21, s22, s13
	s_mul_hi_u32 s24, s22, s5
	s_add_u32 s19, s21, s19
	s_mul_i32 s25, s23, s13
	s_addc_u32 s21, 0, s24
	s_mul_hi_u32 s13, s23, s13
	s_mul_hi_u32 s24, s23, s5
	s_add_u32 s19, s19, s25
	s_addc_u32 s13, s21, s13
	s_mul_i32 s5, s23, s5
	s_addc_u32 s19, s24, 0
	s_add_u32 s5, s13, s5
	s_addc_u32 s13, 0, s19
	s_mul_i32 s21, s20, s5
	s_add_u32 s19, s5, 1
	v_sub_co_u32 v9, s21, s22, s21
	s_addc_u32 s22, s13, 0
	s_mul_i32 s25, s20, s13
	s_mul_hi_u32 s27, s20, s5
	s_delay_alu instid0(VALU_DEP_1)
	v_sub_co_u32 v10, s26, v9, s20
	s_add_u32 s24, s5, 2
	s_addc_u32 s28, s13, 0
	s_add_i32 s27, s27, s25
	s_cmp_lg_u32 s21, 0
	v_readfirstlane_b32 s21, v10
	s_subb_u32 s23, s23, s27
	s_cmp_lg_u32 s26, 0
	s_subb_u32 s25, s23, 0
	s_delay_alu instid0(VALU_DEP_1) | instskip(SKIP_4) | instid1(SALU_CYCLE_1)
	s_cmp_ge_u32 s21, s20
	s_cselect_b32 s21, -1, 0
	s_cmp_eq_u32 s25, 0
	v_readfirstlane_b32 s25, v9
	s_cselect_b32 s21, s21, -1
	s_cmp_lg_u32 s21, 0
	s_cselect_b32 s19, s24, s19
	s_cselect_b32 s21, s28, s22
	s_cmp_ge_u32 s25, s20
	s_cselect_b32 s22, -1, 0
	s_cmp_eq_u32 s23, 0
	s_cselect_b32 s22, s22, -1
	s_delay_alu instid0(SALU_CYCLE_1) | instskip(SKIP_4) | instid1(SALU_CYCLE_1)
	s_cmp_lg_u32 s22, 0
	s_cselect_b32 s23, s21, s13
	s_cselect_b32 s22, s19, s5
	s_mov_b32 s5, 0
	s_xor_b64 s[22:23], s[22:23], s[0:1]
	s_sub_u32 s0, s22, s0
.LBB26_11:                              ;   in Loop: Header=BB26_9 Depth=1
	s_and_not1_b32 vcc_lo, exec_lo, s5
	s_cbranch_vccnz .LBB26_13
; %bb.12:                               ;   in Loop: Header=BB26_9 Depth=1
	v_readfirstlane_b32 s0, v6
	s_delay_alu instid0(VALU_DEP_1) | instskip(NEXT) | instid1(SALU_CYCLE_1)
	s_mul_i32 s1, s14, s0
	s_mul_hi_u32 s1, s0, s1
	s_delay_alu instid0(SALU_CYCLE_1) | instskip(NEXT) | instid1(SALU_CYCLE_1)
	s_add_i32 s0, s0, s1
	s_mul_hi_u32 s0, s4, s0
	s_delay_alu instid0(SALU_CYCLE_1) | instskip(NEXT) | instid1(SALU_CYCLE_1)
	s_mul_i32 s1, s0, s20
	s_sub_i32 s1, s4, s1
	s_add_i32 s4, s0, 1
	s_sub_i32 s5, s1, s20
	s_cmp_ge_u32 s1, s20
	s_cselect_b32 s0, s4, s0
	s_cselect_b32 s1, s5, s1
	s_add_i32 s4, s0, 1
	s_cmp_ge_u32 s1, s20
	s_cselect_b32 s0, s4, s0
.LBB26_13:                              ;   in Loop: Header=BB26_9 Depth=1
	s_delay_alu instid0(SALU_CYCLE_1)
	s_cmp_lg_u32 s16, s0
	s_cbranch_scc0 .LBB26_17
; %bb.14:                               ;   in Loop: Header=BB26_9 Depth=1
	s_add_i32 s1, s18, s20
	s_mov_b32 s5, s12
	s_lshl_b32 s1, s1, 4
	s_mov_b32 s19, s16
	s_add_i32 s4, s1, s6
	s_mul_hi_u32 s1, s0, s8
	s_lshl_b64 s[4:5], s[4:5], 3
	s_delay_alu instid0(SALU_CYCLE_1) | instskip(SKIP_2) | instid1(SALU_CYCLE_1)
	s_add_u32 s4, s2, s4
	s_addc_u32 s5, s3, s5
	s_add_i32 s1, s1, s0
	s_lshr_b32 s1, s1, s9
	s_delay_alu instid0(SALU_CYCLE_1) | instskip(NEXT) | instid1(SALU_CYCLE_1)
	s_mul_i32 s13, s1, s10
	s_cmp_eq_u32 s13, s0
	s_cselect_b32 s13, -1, 0
	s_cmp_lt_u32 s1, s11
	s_cselect_b32 s1, -1, 0
	s_delay_alu instid0(SALU_CYCLE_1)
	s_or_b32 s1, s1, s13
	s_mov_b32 s13, -1
	s_and_b32 vcc_lo, exec_lo, s1
	s_mov_b32 s1, s18
	s_cbranch_vccnz .LBB26_16
; %bb.15:                               ;   in Loop: Header=BB26_9 Depth=1
	s_add_i32 s1, s18, -1
	s_mov_b32 s13, 0
	s_mov_b32 s19, s0
.LBB26_16:                              ;   in Loop: Header=BB26_9 Depth=1
	v_mad_u64_u32 v[9:10], null, 0x280, s18, v[3:4]
	s_load_b64 s[4:5], s[4:5], 0x0
	s_delay_alu instid0(VALU_DEP_1) | instskip(NEXT) | instid1(VALU_DEP_1)
	v_ashrrev_i32_e32 v10, 31, v9
	v_lshlrev_b64 v[9:10], 2, v[9:10]
	s_delay_alu instid0(VALU_DEP_1) | instskip(NEXT) | instid1(VALU_DEP_2)
	v_add_co_u32 v9, vcc_lo, s15, v9
	v_add_co_ci_u32_e32 v10, vcc_lo, s17, v10, vcc_lo
	s_waitcnt lgkmcnt(0)
	v_max_f32_e64 v11, s4, s4
	global_load_b32 v10, v[9:10], off
	v_max_f32_e32 v9, v8, v8
	s_delay_alu instid0(VALU_DEP_1) | instskip(NEXT) | instid1(VALU_DEP_1)
	v_max_f32_e32 v9, v9, v11
	v_sub_f32_e32 v12, v8, v9
	s_delay_alu instid0(VALU_DEP_1) | instskip(NEXT) | instid1(VALU_DEP_1)
	v_dual_mul_f32 v14, 0x3fb8aa3b, v12 :: v_dual_sub_f32 v11, s4, v9
	v_rndne_f32_e32 v18, v14
	s_delay_alu instid0(VALU_DEP_2) | instskip(SKIP_2) | instid1(VALU_DEP_4)
	v_mul_f32_e32 v13, 0x3fb8aa3b, v11
	v_fma_f32 v17, 0x3fb8aa3b, v12, -v14
	v_cmp_ngt_f32_e32 vcc_lo, 0xc2ce8ed0, v11
	v_sub_f32_e32 v14, v14, v18
	s_delay_alu instid0(VALU_DEP_4) | instskip(SKIP_2) | instid1(VALU_DEP_3)
	v_fma_f32 v15, 0x3fb8aa3b, v11, -v13
	v_rndne_f32_e32 v16, v13
	v_fmac_f32_e32 v17, 0x32a5705f, v12
	v_fmac_f32_e32 v15, 0x32a5705f, v11
	s_delay_alu instid0(VALU_DEP_2) | instskip(NEXT) | instid1(VALU_DEP_1)
	v_dual_sub_f32 v13, v13, v16 :: v_dual_add_f32 v14, v14, v17
	v_add_f32_e32 v13, v13, v15
	s_delay_alu instid0(VALU_DEP_2) | instskip(SKIP_2) | instid1(VALU_DEP_3)
	v_exp_f32_e32 v14, v14
	v_cvt_i32_f32_e32 v15, v16
	v_cvt_i32_f32_e32 v16, v18
	v_exp_f32_e32 v13, v13
	s_waitcnt_depctr 0xfff
	v_ldexp_f32 v14, v14, v16
	v_ldexp_f32 v13, v13, v15
	s_delay_alu instid0(VALU_DEP_1) | instskip(SKIP_1) | instid1(VALU_DEP_4)
	v_cndmask_b32_e32 v13, 0, v13, vcc_lo
	v_cmp_ngt_f32_e32 vcc_lo, 0xc2ce8ed0, v12
	v_cndmask_b32_e32 v14, 0, v14, vcc_lo
	v_cmp_nlt_f32_e32 vcc_lo, 0x42b17218, v11
	s_delay_alu instid0(VALU_DEP_4) | instskip(SKIP_1) | instid1(VALU_DEP_4)
	v_cndmask_b32_e32 v13, 0x7f800000, v13, vcc_lo
	v_cmp_nlt_f32_e32 vcc_lo, 0x42b17218, v12
	v_cndmask_b32_e32 v14, 0x7f800000, v14, vcc_lo
	v_cmp_le_f32_e32 vcc_lo, 0xc1a00000, v11
	s_delay_alu instid0(VALU_DEP_4) | instskip(SKIP_1) | instid1(VALU_DEP_4)
	v_cndmask_b32_e32 v11, 0, v13, vcc_lo
	v_cmp_le_f32_e32 vcc_lo, 0xc1a00000, v12
	v_cndmask_b32_e32 v12, 0, v14, vcc_lo
	s_waitcnt vmcnt(0)
	s_delay_alu instid0(VALU_DEP_3) | instskip(NEXT) | instid1(VALU_DEP_1)
	v_mul_f32_e32 v10, v10, v11
	v_dual_mul_f32 v11, s5, v11 :: v_dual_fmac_f32 v10, v5, v12
	s_delay_alu instid0(VALU_DEP_1)
	v_fmac_f32_e32 v11, v7, v12
	s_cbranch_execz .LBB26_18
	s_branch .LBB26_19
.LBB26_17:                              ;   in Loop: Header=BB26_9 Depth=1
                                        ; implicit-def: $sgpr13
                                        ; implicit-def: $vgpr10
                                        ; implicit-def: $vgpr9
                                        ; implicit-def: $vgpr11
                                        ; implicit-def: $sgpr1
                                        ; implicit-def: $sgpr19
.LBB26_18:                              ;   in Loop: Header=BB26_9 Depth=1
	s_waitcnt vmcnt(0)
	v_dual_mov_b32 v11, v7 :: v_dual_mov_b32 v10, v5
	v_mov_b32_e32 v9, v8
	s_add_i32 s1, s18, -1
	s_mov_b32 s13, 0
	s_mov_b32 s19, s16
.LBB26_19:                              ;   in Loop: Header=BB26_9 Depth=1
	s_and_not1_b32 vcc_lo, exec_lo, s13
	s_cbranch_vccz .LBB26_23
; %bb.20:                               ;   in Loop: Header=BB26_9 Depth=1
	v_dual_mov_b32 v7, v11 :: v_dual_mov_b32 v8, v9
	s_waitcnt vmcnt(0)
	v_mov_b32_e32 v5, v10
	s_mov_b32 s16, s19
	s_mov_b32 s18, s1
	s_branch .LBB26_9
.LBB26_21:
                                        ; implicit-def: $sgpr16_sgpr17
	s_load_b128 s[8:11], s[0:1], 0x44
	s_branch .LBB26_2
.LBB26_22:
                                        ; implicit-def: $sgpr18_sgpr19
	s_branch .LBB26_5
.LBB26_23:
	v_div_scale_f32 v0, null, v11, v11, v10
	s_delay_alu instid0(VALU_DEP_1) | instskip(SKIP_2) | instid1(VALU_DEP_1)
	v_rcp_f32_e32 v3, v0
	s_waitcnt_depctr 0xfff
	v_fma_f32 v4, -v0, v3, 1.0
	v_fmac_f32_e32 v3, v4, v3
	v_div_scale_f32 v4, vcc_lo, v10, v11, v10
	s_waitcnt vmcnt(0)
	s_delay_alu instid0(VALU_DEP_1) | instskip(NEXT) | instid1(VALU_DEP_1)
	v_mul_f32_e32 v5, v4, v3
	v_fma_f32 v6, -v0, v5, v4
	s_delay_alu instid0(VALU_DEP_1) | instskip(NEXT) | instid1(VALU_DEP_1)
	v_fmac_f32_e32 v5, v6, v3
	v_fma_f32 v0, -v0, v5, v4
	s_delay_alu instid0(VALU_DEP_1) | instskip(NEXT) | instid1(VALU_DEP_1)
	v_div_fmas_f32 v0, v0, v3, v5
	v_div_fixup_f32 v0, v0, v11, v10
	global_store_b32 v[1:2], v0, off
.LBB26_24:
	s_nop 0
	s_sendmsg sendmsg(MSG_DEALLOC_VGPRS)
	s_endpgm
	.section	.rodata,"a",@progbits
	.p2align	6, 0x0
	.amdhsa_kernel _ZL33flash_attn_stream_k_fixup_generalILi40ELi4ELi4EEvPfPK15HIP_vector_typeIfLj2EEiiiiS1_IjLj3EES5_S5_S5_
		.amdhsa_group_segment_fixed_size 0
		.amdhsa_private_segment_fixed_size 0
		.amdhsa_kernarg_size 336
		.amdhsa_user_sgpr_count 13
		.amdhsa_user_sgpr_dispatch_ptr 0
		.amdhsa_user_sgpr_queue_ptr 0
		.amdhsa_user_sgpr_kernarg_segment_ptr 1
		.amdhsa_user_sgpr_dispatch_id 0
		.amdhsa_user_sgpr_private_segment_size 0
		.amdhsa_wavefront_size32 1
		.amdhsa_uses_dynamic_stack 0
		.amdhsa_enable_private_segment 0
		.amdhsa_system_sgpr_workgroup_id_x 1
		.amdhsa_system_sgpr_workgroup_id_y 1
		.amdhsa_system_sgpr_workgroup_id_z 1
		.amdhsa_system_sgpr_workgroup_info 0
		.amdhsa_system_vgpr_workitem_id 0
		.amdhsa_next_free_vgpr 19
		.amdhsa_next_free_sgpr 32
		.amdhsa_reserve_vcc 1
		.amdhsa_float_round_mode_32 0
		.amdhsa_float_round_mode_16_64 0
		.amdhsa_float_denorm_mode_32 3
		.amdhsa_float_denorm_mode_16_64 3
		.amdhsa_dx10_clamp 1
		.amdhsa_ieee_mode 1
		.amdhsa_fp16_overflow 0
		.amdhsa_workgroup_processor_mode 1
		.amdhsa_memory_ordered 1
		.amdhsa_forward_progress 0
		.amdhsa_shared_vgpr_count 0
		.amdhsa_exception_fp_ieee_invalid_op 0
		.amdhsa_exception_fp_denorm_src 0
		.amdhsa_exception_fp_ieee_div_zero 0
		.amdhsa_exception_fp_ieee_overflow 0
		.amdhsa_exception_fp_ieee_underflow 0
		.amdhsa_exception_fp_ieee_inexact 0
		.amdhsa_exception_int_div_zero 0
	.end_amdhsa_kernel
	.section	.text._ZL33flash_attn_stream_k_fixup_generalILi40ELi4ELi4EEvPfPK15HIP_vector_typeIfLj2EEiiiiS1_IjLj3EES5_S5_S5_,"axG",@progbits,_ZL33flash_attn_stream_k_fixup_generalILi40ELi4ELi4EEvPfPK15HIP_vector_typeIfLj2EEiiiiS1_IjLj3EES5_S5_S5_,comdat
.Lfunc_end26:
	.size	_ZL33flash_attn_stream_k_fixup_generalILi40ELi4ELi4EEvPfPK15HIP_vector_typeIfLj2EEiiiiS1_IjLj3EES5_S5_S5_, .Lfunc_end26-_ZL33flash_attn_stream_k_fixup_generalILi40ELi4ELi4EEvPfPK15HIP_vector_typeIfLj2EEiiiiS1_IjLj3EES5_S5_S5_
                                        ; -- End function
	.section	.AMDGPU.csdata,"",@progbits
; Kernel info:
; codeLenInByte = 3220
; NumSgprs: 34
; NumVgprs: 19
; ScratchSize: 0
; MemoryBound: 0
; FloatMode: 240
; IeeeMode: 1
; LDSByteSize: 0 bytes/workgroup (compile time only)
; SGPRBlocks: 4
; VGPRBlocks: 2
; NumSGPRsForWavesPerEU: 34
; NumVGPRsForWavesPerEU: 19
; Occupancy: 16
; WaveLimiterHint : 0
; COMPUTE_PGM_RSRC2:SCRATCH_EN: 0
; COMPUTE_PGM_RSRC2:USER_SGPR: 13
; COMPUTE_PGM_RSRC2:TRAP_HANDLER: 0
; COMPUTE_PGM_RSRC2:TGID_X_EN: 1
; COMPUTE_PGM_RSRC2:TGID_Y_EN: 1
; COMPUTE_PGM_RSRC2:TGID_Z_EN: 1
; COMPUTE_PGM_RSRC2:TIDIG_COMP_CNT: 0
	.section	.text._ZL15flash_attn_tileILi40ELi40ELi2ELi4ELb0EEvPKcS1_S1_S1_S1_PKiPfP15HIP_vector_typeIfLj2EEffffjfiS5_IjLj3EEiiiiiiiiiiiliiliiiiil,"axG",@progbits,_ZL15flash_attn_tileILi40ELi40ELi2ELi4ELb0EEvPKcS1_S1_S1_S1_PKiPfP15HIP_vector_typeIfLj2EEffffjfiS5_IjLj3EEiiiiiiiiiiiliiliiiiil,comdat
	.globl	_ZL15flash_attn_tileILi40ELi40ELi2ELi4ELb0EEvPKcS1_S1_S1_S1_PKiPfP15HIP_vector_typeIfLj2EEffffjfiS5_IjLj3EEiiiiiiiiiiiliiliiiiil ; -- Begin function _ZL15flash_attn_tileILi40ELi40ELi2ELi4ELb0EEvPKcS1_S1_S1_S1_PKiPfP15HIP_vector_typeIfLj2EEffffjfiS5_IjLj3EEiiiiiiiiiiiliiliiiiil
	.p2align	8
	.type	_ZL15flash_attn_tileILi40ELi40ELi2ELi4ELb0EEvPKcS1_S1_S1_S1_PKiPfP15HIP_vector_typeIfLj2EEffffjfiS5_IjLj3EEiiiiiiiiiiiliiliiiiil,@function
_ZL15flash_attn_tileILi40ELi40ELi2ELi4ELb0EEvPKcS1_S1_S1_S1_PKiPfP15HIP_vector_typeIfLj2EEffffjfiS5_IjLj3EEiiiiiiiiiiiliiliiiiil: ; @_ZL15flash_attn_tileILi40ELi40ELi2ELi4ELb0EEvPKcS1_S1_S1_S1_PKiPfP15HIP_vector_typeIfLj2EEffffjfiS5_IjLj3EEiiiiiiiiiiiliiliiiiil
; %bb.0:
	s_clause 0x1
	s_load_b128 s[4:7], s[0:1], 0x5c
	s_load_b64 s[34:35], s[0:1], 0x80
	s_mov_b64 s[36:37], 0
	s_waitcnt lgkmcnt(0)
	s_ashr_i32 s2, s7, 31
	s_delay_alu instid0(SALU_CYCLE_1) | instskip(NEXT) | instid1(SALU_CYCLE_1)
	s_lshr_b32 s2, s2, 30
	s_add_i32 s2, s7, s2
	s_delay_alu instid0(SALU_CYCLE_1) | instskip(NEXT) | instid1(SALU_CYCLE_1)
	s_ashr_i32 s2, s2, 2
	v_cvt_f32_u32_e32 v1, s2
	s_sub_i32 s8, 0, s2
	s_delay_alu instid0(VALU_DEP_1) | instskip(SKIP_2) | instid1(VALU_DEP_1)
	v_rcp_iflag_f32_e32 v1, v1
	s_waitcnt_depctr 0xfff
	v_mul_f32_e32 v1, 0x4f7ffffe, v1
	v_cvt_u32_f32_e32 v1, v1
	s_delay_alu instid0(VALU_DEP_1) | instskip(NEXT) | instid1(VALU_DEP_1)
	v_readfirstlane_b32 s3, v1
	s_mul_i32 s8, s8, s3
	s_delay_alu instid0(SALU_CYCLE_1) | instskip(NEXT) | instid1(SALU_CYCLE_1)
	s_mul_hi_u32 s8, s3, s8
	s_add_i32 s3, s3, s8
	s_delay_alu instid0(SALU_CYCLE_1) | instskip(NEXT) | instid1(SALU_CYCLE_1)
	s_mul_hi_u32 s3, s15, s3
	s_mul_i32 s8, s3, s2
	s_add_i32 s9, s3, 1
	s_sub_i32 s8, s15, s8
	s_delay_alu instid0(SALU_CYCLE_1)
	s_sub_i32 s10, s8, s2
	s_cmp_ge_u32 s8, s2
	s_cselect_b32 s3, s9, s3
	s_cselect_b32 s8, s10, s8
	s_add_i32 s9, s3, 1
	s_cmp_ge_u32 s8, s2
	s_cselect_b32 s12, s9, s3
	s_abs_i32 s2, s35
	s_abs_i32 s9, s7
	v_cvt_f32_u32_e32 v1, s2
	s_sub_i32 s8, 0, s2
	s_xor_b32 s10, s7, s35
	s_delay_alu instid0(SALU_CYCLE_1) | instskip(NEXT) | instid1(VALU_DEP_1)
	s_ashr_i32 s10, s10, 31
	v_rcp_iflag_f32_e32 v1, v1
	s_waitcnt_depctr 0xfff
	v_mul_f32_e32 v1, 0x4f7ffffe, v1
	s_delay_alu instid0(VALU_DEP_1) | instskip(NEXT) | instid1(VALU_DEP_1)
	v_cvt_u32_f32_e32 v1, v1
	v_readfirstlane_b32 s3, v1
	s_delay_alu instid0(VALU_DEP_1) | instskip(NEXT) | instid1(SALU_CYCLE_1)
	s_mul_i32 s8, s8, s3
	s_mul_hi_u32 s8, s3, s8
	s_delay_alu instid0(SALU_CYCLE_1) | instskip(SKIP_2) | instid1(SALU_CYCLE_1)
	s_add_i32 s3, s3, s8
	s_lshl_b32 s8, s15, 2
	s_mul_hi_u32 s3, s9, s3
	s_mul_i32 s11, s3, s2
	s_delay_alu instid0(SALU_CYCLE_1)
	s_sub_i32 s9, s9, s11
	s_add_i32 s11, s3, 1
	s_sub_i32 s15, s9, s2
	s_cmp_ge_u32 s9, s2
	s_cselect_b32 s3, s11, s3
	s_cselect_b32 s9, s15, s9
	s_add_i32 s11, s3, 1
	s_cmp_ge_u32 s9, s2
	s_mul_i32 s9, s12, s7
	s_cselect_b32 s2, s11, s3
	s_delay_alu instid0(SALU_CYCLE_1) | instskip(NEXT) | instid1(SALU_CYCLE_1)
	s_xor_b32 s2, s2, s10
	s_sub_i32 s35, s2, s10
	s_clause 0x1
	s_load_b512 s[16:31], s[0:1], 0x0
	s_load_b64 s[2:3], s[0:1], 0xb8
	s_abs_i32 s33, s35
	s_delay_alu instid0(SALU_CYCLE_1) | instskip(NEXT) | instid1(VALU_DEP_1)
	v_cvt_f32_u32_e32 v1, s33
	v_rcp_iflag_f32_e32 v1, v1
	s_waitcnt_depctr 0xfff
	v_mul_f32_e32 v1, 0x4f7ffffe, v1
	s_waitcnt lgkmcnt(0)
	s_cmp_eq_u64 s[22:23], 0
	s_delay_alu instid0(VALU_DEP_1) | instskip(NEXT) | instid1(VALU_DEP_1)
	v_cvt_u32_f32_e32 v1, v1
	v_readfirstlane_b32 s38, v1
	s_cbranch_scc1 .LBB27_2
; %bb.1:
	s_abs_i32 s2, s2
	s_abs_i32 s15, s12
	v_cvt_f32_u32_e32 v1, s2
	s_sub_i32 s11, 0, s2
	s_delay_alu instid0(VALU_DEP_1) | instskip(SKIP_2) | instid1(VALU_DEP_1)
	v_rcp_iflag_f32_e32 v1, v1
	s_waitcnt_depctr 0xfff
	v_mul_f32_e32 v1, 0x4f7ffffe, v1
	v_cvt_u32_f32_e32 v1, v1
	s_delay_alu instid0(VALU_DEP_1) | instskip(NEXT) | instid1(VALU_DEP_1)
	v_readfirstlane_b32 s10, v1
	s_mul_i32 s11, s11, s10
	s_delay_alu instid0(SALU_CYCLE_1) | instskip(NEXT) | instid1(SALU_CYCLE_1)
	s_mul_hi_u32 s11, s10, s11
	s_add_i32 s36, s10, s11
	s_load_b64 s[10:11], s[0:1], 0xc8
	s_mul_hi_u32 s36, s15, s36
	s_delay_alu instid0(SALU_CYCLE_1) | instskip(NEXT) | instid1(SALU_CYCLE_1)
	s_mul_i32 s36, s36, s2
	s_sub_i32 s15, s15, s36
	s_ashr_i32 s36, s12, 31
	s_sub_i32 s37, s15, s2
	s_cmp_ge_u32 s15, s2
	s_cselect_b32 s15, s37, s15
	s_delay_alu instid0(SALU_CYCLE_1) | instskip(SKIP_2) | instid1(SALU_CYCLE_1)
	s_sub_i32 s37, s15, s2
	s_cmp_ge_u32 s15, s2
	s_cselect_b32 s2, s37, s15
	s_xor_b32 s2, s2, s36
	s_delay_alu instid0(SALU_CYCLE_1)
	s_sub_i32 s2, s2, s36
	s_waitcnt lgkmcnt(0)
	s_mul_i32 s11, s2, s11
	s_mul_hi_u32 s15, s2, s10
	s_ashr_i32 s36, s2, 31
	s_add_i32 s11, s15, s11
	s_mul_i32 s36, s36, s10
	s_mul_i32 s2, s2, s10
	s_add_i32 s11, s11, s36
	s_add_u32 s36, s22, s2
	s_addc_u32 s37, s23, s11
.LBB27_2:
	v_bfe_u32 v3, v0, 10, 10
	s_lshl_b32 s2, s13, 1
	v_and_b32_e32 v0, 0x3ff, v0
	s_sub_i32 s15, s8, s9
	s_delay_alu instid0(VALU_DEP_2) | instskip(SKIP_1) | instid1(VALU_DEP_2)
	v_lshrrev_b32_e32 v1, 2, v3
	v_and_b32_e32 v12, 3, v3
	v_add_nc_u32_e32 v1, s2, v1
	v_cmp_gt_u32_e64 s2, 20, v0
	s_delay_alu instid0(VALU_DEP_2) | instskip(NEXT) | instid1(VALU_DEP_2)
	v_mul_hi_u32 v4, s4, v1
	s_and_saveexec_b32 s4, s2
	s_cbranch_execz .LBB27_4
; %bb.3:
	s_load_b128 s[8:11], s[0:1], 0x70
	s_delay_alu instid0(VALU_DEP_1) | instskip(NEXT) | instid1(VALU_DEP_1)
	v_add_nc_u32_e32 v2, v1, v4
	v_lshrrev_b32_e32 v2, s5, v2
	s_delay_alu instid0(VALU_DEP_1) | instskip(NEXT) | instid1(VALU_DEP_1)
	v_mul_lo_u32 v2, v2, s6
	v_sub_nc_u32_e32 v11, v1, v2
	s_waitcnt lgkmcnt(0)
	s_mul_i32 s10, s12, s10
	s_mul_i32 s11, s15, s9
	s_ashr_i32 s22, s10, 31
	s_add_u32 s10, s16, s10
	s_addc_u32 s16, s17, s22
	s_ashr_i32 s17, s11, 31
	s_add_u32 s10, s10, s11
	s_addc_u32 s11, s16, s17
	s_ashr_i32 s16, s9, 31
	s_delay_alu instid0(SALU_CYCLE_1) | instskip(SKIP_1) | instid1(SALU_CYCLE_1)
	v_alignbit_b32 v7, s16, s9, 2
	s_ashr_i32 s9, s8, 31
	v_alignbit_b32 v2, s9, s8, 2
	s_lshr_b32 s8, s16, 2
	s_delay_alu instid0(VALU_DEP_2) | instskip(NEXT) | instid1(VALU_DEP_2)
	v_mad_u64_u32 v[5:6], null, v7, v12, 0
	v_mad_u64_u32 v[7:8], null, v2, v11, 0
	s_delay_alu instid0(VALU_DEP_2) | instskip(NEXT) | instid1(VALU_DEP_2)
	v_mov_b32_e32 v2, v6
	v_mov_b32_e32 v6, v8
	s_delay_alu instid0(VALU_DEP_2)
	v_mad_u64_u32 v[8:9], null, s8, v12, v[2:3]
	s_lshr_b32 s8, s9, 2
	s_delay_alu instid0(VALU_DEP_2) | instid1(SALU_CYCLE_1)
	v_mad_u64_u32 v[9:10], null, s8, v11, v[6:7]
	s_load_b32 s8, s[0:1], 0x40
	s_delay_alu instid0(VALU_DEP_2) | instskip(NEXT) | instid1(VALU_DEP_2)
	v_mov_b32_e32 v6, v8
	v_mov_b32_e32 v8, v9
	s_delay_alu instid0(VALU_DEP_2) | instskip(NEXT) | instid1(VALU_DEP_2)
	v_lshlrev_b64 v[5:6], 2, v[5:6]
	v_lshlrev_b64 v[7:8], 2, v[7:8]
	s_delay_alu instid0(VALU_DEP_2) | instskip(NEXT) | instid1(VALU_DEP_3)
	v_add_co_u32 v2, vcc_lo, s10, v5
	v_add_co_ci_u32_e32 v5, vcc_lo, s11, v6, vcc_lo
	v_lshlrev_b32_e32 v6, 3, v0
	s_delay_alu instid0(VALU_DEP_3) | instskip(NEXT) | instid1(VALU_DEP_3)
	v_add_co_u32 v2, vcc_lo, v2, v7
	v_add_co_ci_u32_e32 v7, vcc_lo, v5, v8, vcc_lo
	s_delay_alu instid0(VALU_DEP_2) | instskip(NEXT) | instid1(VALU_DEP_2)
	v_add_co_u32 v5, vcc_lo, v2, v6
	v_add_co_ci_u32_e32 v6, vcc_lo, 0, v7, vcc_lo
	global_load_b64 v[5:6], v[5:6], off
	s_waitcnt vmcnt(0) lgkmcnt(0)
	v_fma_mixlo_f16 v2, v5, s8, 0
	v_mul_u32_u24_e32 v5, 20, v3
	s_delay_alu instid0(VALU_DEP_2) | instskip(NEXT) | instid1(VALU_DEP_2)
	v_fma_mixhi_f16 v2, v6, s8, 0
	v_add_lshl_u32 v5, v5, v0, 2
	ds_store_b32 v5, v2 offset:3168
.LBB27_4:
	s_or_b32 exec_lo, exec_lo, s4
	s_cmp_eq_u64 s[26:27], 0
	s_waitcnt lgkmcnt(0)
	s_barrier
	buffer_gl0_inv
	s_cbranch_scc1 .LBB27_6
; %bb.5:
	s_load_b32 s4, s[0:1], 0xd0
	s_mov_b32 s9, 0
	s_waitcnt lgkmcnt(0)
	s_mul_i32 s4, s4, s12
	s_delay_alu instid0(SALU_CYCLE_1) | instskip(NEXT) | instid1(SALU_CYCLE_1)
	s_add_i32 s8, s4, s13
	s_lshl_b64 s[8:9], s[8:9], 2
	s_delay_alu instid0(SALU_CYCLE_1)
	s_add_u32 s8, s26, s8
	s_addc_u32 s9, s27, s9
	s_load_b32 s34, s[8:9], 0x0
.LBB27_6:
	v_mbcnt_lo_u32_b32 v13, -1, 0
	s_lshl_b32 s13, s14, 5
	s_waitcnt lgkmcnt(0)
	s_cmp_lt_i32 s13, s34
	s_cbranch_scc1 .LBB27_8
; %bb.7:
	v_mbcnt_lo_u32_b32 v5, -1, 0
	v_mov_b32_e32 v15, 32
	s_mov_b32 s4, 0
	s_mov_b32 s8, 0xfeffffff
	s_delay_alu instid0(VALU_DEP_2)
	v_xor_b32_e32 v20, 16, v5
	v_xor_b32_e32 v19, 8, v5
	;; [unrolled: 1-line block ×5, first 2 shown]
	s_branch .LBB27_9
.LBB27_8:
	s_mov_b32 s4, -1
                                        ; implicit-def: $sgpr8
                                        ; implicit-def: $vgpr5
                                        ; implicit-def: $vgpr15
                                        ; implicit-def: $vgpr20
                                        ; implicit-def: $vgpr19
                                        ; implicit-def: $vgpr18
                                        ; implicit-def: $vgpr17
                                        ; implicit-def: $vgpr16
.LBB27_9:
	s_delay_alu instid0(SALU_CYCLE_1) | instskip(SKIP_1) | instid1(VALU_DEP_2)
	v_cndmask_b32_e64 v2, 0, 1, s4
	v_dual_mov_b32 v14, s4 :: v_dual_mov_b32 v33, s4
	v_cmp_ne_u32_e32 vcc_lo, 1, v2
	v_mov_b32_e32 v2, s8
	s_cbranch_vccnz .LBB27_22
; %bb.10:
	s_clause 0x1
	s_load_b64 s[16:17], s[0:1], 0x8c
	s_load_b128 s[8:11], s[0:1], 0x98
	s_sub_i32 s4, 0, s33
	v_dual_mov_b32 v14, 0 :: v_dual_lshlrev_b32 v21, 2, v0
	s_mul_i32 s4, s4, s38
	v_lshrrev_b32_e32 v2, 2, v0
	s_mul_hi_u32 s4, s38, s4
	s_delay_alu instid0(VALU_DEP_2)
	v_dual_mov_b32 v32, 0xfeffffff :: v_dual_and_b32 v33, 12, v21
	s_abs_i32 s26, s15
	s_add_i32 s38, s38, s4
	s_ashr_i32 s4, s3, 1
	s_mul_hi_u32 s3, s26, s38
	s_ashr_i32 s38, s12, 31
	v_add_nc_u32_e32 v4, v1, v4
	v_lshl_add_u32 v2, v3, 3, v2
	v_lshlrev_b32_e32 v15, 2, v33
	s_ashr_i32 s27, s15, 31
	s_ashr_i32 s35, s35, 31
	s_load_b64 s[22:23], s[0:1], 0xa8
	s_waitcnt lgkmcnt(0)
	s_mul_i32 s9, s12, s9
	s_mul_hi_u32 s40, s12, s8
	s_mul_i32 s41, s38, s8
	s_add_i32 s9, s40, s9
	s_mul_i32 s8, s12, s8
	s_mul_i32 s39, s3, s33
	s_ashr_i32 s16, s16, 2
	s_ashr_i32 s10, s10, 2
	s_add_i32 s9, s9, s41
	s_add_u32 s8, s18, s8
	s_addc_u32 s9, s19, s9
	s_sub_i32 s19, s26, s39
	v_mad_u32_u24 v24, 0x60, v2, v15
	v_mad_u32_u24 v29, 0x50, v2, v15
	v_mov_b32_e32 v15, 32
	v_lshrrev_b32_e32 v4, s5, v4
	s_xor_b32 s18, s27, s35
	s_add_i32 s26, s3, 1
	s_sub_i32 s27, s19, s33
	s_cmp_ge_u32 s19, s33
	v_lshl_add_u32 v5, v3, 5, v0
	s_cselect_b32 s3, s26, s3
	s_cselect_b32 s19, s27, s19
	v_mul_lo_u32 v4, v4, s6
	s_add_i32 s26, s3, 1
	s_cmp_ge_u32 s19, s33
	v_mul_lo_u32 v6, s16, v2
	s_cselect_b32 s3, s26, s3
	v_mul_lo_u32 v8, s16, v5
	v_mul_lo_u32 v10, s10, v5
	;; [unrolled: 1-line block ×3, first 2 shown]
	s_xor_b32 s3, s3, s18
	v_sub_nc_u32_e32 v11, v1, v4
	s_sub_i32 s3, s3, s18
	s_mul_i32 s19, s12, s23
	s_mul_i32 s17, s3, s17
	s_mul_hi_u32 s23, s12, s22
	s_ashr_i32 s18, s17, 31
	s_add_u32 s17, s8, s17
	v_cmp_gt_u32_e32 vcc_lo, 32, v5
	v_mul_u32_u24_e32 v23, 0x50, v3
	v_ashrrev_i32_e32 v7, 31, v6
	v_mad_u32_u24 v25, 0x60, v5, 64
	v_lshl_add_u32 v26, v3, 6, 0xee0
	v_lshlrev_b32_e32 v5, 4, v5
	v_ashrrev_i32_e32 v9, 31, v8
	v_mad_u64_u32 v[3:4], null, v11, s4, v[0:1]
	v_ashrrev_i32_e32 v11, 31, v10
	v_ashrrev_i32_e32 v31, 31, v30
	s_mul_i32 s38, s38, s22
	s_addc_u32 s18, s9, s18
	s_add_i32 s8, s23, s19
	s_mul_i32 s22, s12, s22
	s_mul_i32 s3, s3, s11
	s_add_i32 s8, s8, s38
	s_add_u32 s9, s20, s22
	s_addc_u32 s8, s21, s8
	s_ashr_i32 s19, s3, 31
	v_sub_nc_u32_e32 v28, v25, v5
	v_lshlrev_b64 v[4:5], 2, v[8:9]
	v_lshlrev_b64 v[6:7], 2, v[6:7]
	;; [unrolled: 1-line block ×4, first 2 shown]
	s_add_u32 s11, s9, s3
	v_cmp_gt_u32_e64 s3, 32, v2
	v_mul_u32_u24_e32 v22, 0x60, v0
	v_lshl_add_u32 v27, v0, 1, v26
	v_xor_b32_e32 v20, 16, v13
	v_xor_b32_e32 v19, 8, v13
	;; [unrolled: 1-line block ×5, first 2 shown]
	v_dual_mov_b32 v31, 0 :: v_dual_lshlrev_b32 v30, 2, v33
	s_addc_u32 s5, s8, s19
	s_add_u32 s8, s0, 0xd0
	s_addc_u32 s9, s1, 0
.LBB27_11:                              ; =>This Inner Loop Header: Depth=1
	s_mul_hi_i32 s21, s13, s16
	s_mul_i32 s20, s13, s16
	s_delay_alu instid0(SALU_CYCLE_1) | instskip(NEXT) | instid1(SALU_CYCLE_1)
	s_lshl_b64 s[20:21], s[20:21], 2
	s_add_u32 s19, s17, s20
	s_addc_u32 s20, s18, s21
	s_and_saveexec_b32 s21, vcc_lo
	s_cbranch_execz .LBB27_13
; %bb.12:                               ;   in Loop: Header=BB27_11 Depth=1
	v_add_co_u32 v33, s4, s19, v4
	s_delay_alu instid0(VALU_DEP_1)
	v_add_co_ci_u32_e64 v34, s4, s20, v5, s4
	global_load_b128 v[33:36], v[33:34], off offset:64
	s_waitcnt vmcnt(0)
	ds_store_b128 v25, v[33:36]
.LBB27_13:                              ;   in Loop: Header=BB27_11 Depth=1
	s_or_b32 exec_lo, exec_lo, s21
	s_and_saveexec_b32 s21, s3
	s_cbranch_execz .LBB27_15
; %bb.14:                               ;   in Loop: Header=BB27_11 Depth=1
	v_add_co_u32 v2, s4, s19, v6
	s_delay_alu instid0(VALU_DEP_1) | instskip(NEXT) | instid1(VALU_DEP_2)
	v_add_co_ci_u32_e64 v34, s4, s20, v7, s4
	v_add_co_u32 v33, s4, v2, v30
	s_delay_alu instid0(VALU_DEP_1)
	v_add_co_ci_u32_e64 v34, s4, 0, v34, s4
	global_load_b128 v[33:36], v[33:34], off
	s_waitcnt vmcnt(0)
	ds_store_b128 v24, v[33:36]
.LBB27_15:                              ;   in Loop: Header=BB27_11 Depth=1
	s_or_b32 exec_lo, exec_lo, s21
	s_waitcnt lgkmcnt(0)
	s_barrier
	buffer_gl0_inv
	ds_load_b128 v[33:36], v22
	ds_load_b128 v[37:40], v23 offset:3168
	v_dual_mov_b32 v2, 0 :: v_dual_add_nc_u32 v41, s13, v3
	s_mul_hi_i32 s21, s13, s10
	s_mul_i32 s20, s13, s10
	s_waitcnt lgkmcnt(0)
	;;#ASMSTART
	v_dot2_f32_f16 v2, v33, v37, v2
	;;#ASMEND
	;;#ASMSTART
	v_dot2_f32_f16 v2, v34, v38, v2
	;;#ASMEND
	;; [unrolled: 3-line block ×4, first 2 shown]
	ds_load_b128 v[33:36], v22 offset:16
	ds_load_b128 v[37:40], v23 offset:3184
	v_ashrrev_i32_e32 v42, 31, v41
	s_lshl_b64 s[20:21], s[20:21], 2
	s_waitcnt lgkmcnt(0)
	;;#ASMSTART
	v_dot2_f32_f16 v2, v33, v37, v2
	;;#ASMEND
	;;#ASMSTART
	v_dot2_f32_f16 v2, v34, v38, v2
	;;#ASMEND
	;; [unrolled: 3-line block ×4, first 2 shown]
	ds_load_b128 v[33:36], v22 offset:32
	ds_load_b128 v[37:40], v23 offset:3200
	v_lshlrev_b64 v[41:42], 1, v[41:42]
	s_add_u32 s19, s11, s20
	s_addc_u32 s20, s5, s21
	s_waitcnt lgkmcnt(0)
	;;#ASMSTART
	v_dot2_f32_f16 v2, v33, v37, v2
	;;#ASMEND
	;;#ASMSTART
	v_dot2_f32_f16 v2, v34, v38, v2
	;;#ASMEND
	;; [unrolled: 3-line block ×4, first 2 shown]
	ds_load_b128 v[33:36], v22 offset:48
	ds_load_b128 v[37:40], v23 offset:3216
	v_add_co_u32 v41, s4, s36, v41
	s_delay_alu instid0(VALU_DEP_1)
	v_add_co_ci_u32_e64 v42, s4, s37, v42, s4
	v_cmp_gt_i32_e64 s4, 32, v20
	s_waitcnt lgkmcnt(0)
	;;#ASMSTART
	v_dot2_f32_f16 v2, v33, v37, v2
	;;#ASMEND
	;;#ASMSTART
	v_dot2_f32_f16 v2, v34, v38, v2
	;;#ASMEND
	;; [unrolled: 3-line block ×4, first 2 shown]
	ds_load_b128 v[33:36], v22 offset:64
	ds_load_b128 v[37:40], v23 offset:3232
	s_waitcnt lgkmcnt(0)
	;;#ASMSTART
	v_dot2_f32_f16 v2, v33, v37, v2
	;;#ASMEND
	;;#ASMSTART
	v_dot2_f32_f16 v2, v34, v38, v2
	;;#ASMEND
	;;#ASMSTART
	v_dot2_f32_f16 v2, v35, v39, v2
	;;#ASMEND
	;;#ASMSTART
	v_dot2_f32_f16 v2, v36, v40, v2
	;;#ASMEND
	flat_load_u16 v33, v[41:42]
	v_cndmask_b32_e64 v34, v13, v20, s4
	v_cmp_gt_i32_e64 s4, 32, v19
	s_waitcnt vmcnt(0) lgkmcnt(0)
	s_barrier
	buffer_gl0_inv
	v_lshlrev_b32_e32 v34, 2, v34
	v_cvt_f32_f16_e32 v33, v33
	s_delay_alu instid0(VALU_DEP_1) | instskip(NEXT) | instid1(VALU_DEP_1)
	v_dual_add_f32 v33, v2, v33 :: v_dual_max_f32 v2, v32, v32
	v_add_f32_e32 v35, 0x40051340, v33
	s_delay_alu instid0(VALU_DEP_1)
	v_max_f32_e32 v2, v2, v35
	v_cndmask_b32_e64 v35, v13, v19, s4
	v_cmp_gt_i32_e64 s4, 32, v18
	ds_bpermute_b32 v34, v34, v2
	s_waitcnt lgkmcnt(0)
	v_dual_max_f32 v34, v34, v34 :: v_dual_lshlrev_b32 v35, 2, v35
	s_delay_alu instid0(VALU_DEP_1) | instskip(SKIP_4) | instid1(VALU_DEP_2)
	v_max_f32_e32 v2, v2, v34
	ds_bpermute_b32 v34, v35, v2
	v_cndmask_b32_e64 v35, v13, v18, s4
	v_cmp_gt_i32_e64 s4, 32, v17
	s_waitcnt lgkmcnt(0)
	v_dual_max_f32 v34, v34, v34 :: v_dual_lshlrev_b32 v35, 2, v35
	s_delay_alu instid0(VALU_DEP_1) | instskip(SKIP_4) | instid1(VALU_DEP_2)
	v_max_f32_e32 v2, v2, v34
	ds_bpermute_b32 v34, v35, v2
	v_cndmask_b32_e64 v35, v13, v17, s4
	v_cmp_gt_i32_e64 s4, 32, v16
	s_waitcnt lgkmcnt(0)
	v_dual_max_f32 v34, v34, v34 :: v_dual_lshlrev_b32 v35, 2, v35
	s_delay_alu instid0(VALU_DEP_1) | instskip(SKIP_3) | instid1(VALU_DEP_1)
	v_max_f32_e32 v2, v2, v34
	ds_bpermute_b32 v34, v35, v2
	v_cndmask_b32_e64 v35, v13, v16, s4
	s_waitcnt lgkmcnt(0)
	v_dual_max_f32 v34, v34, v34 :: v_dual_lshlrev_b32 v35, 2, v35
	s_delay_alu instid0(VALU_DEP_1) | instskip(SKIP_3) | instid1(VALU_DEP_1)
	v_max_f32_e32 v2, v2, v34
	ds_bpermute_b32 v34, v35, v2
	s_waitcnt lgkmcnt(0)
	v_max_f32_e32 v34, v34, v34
	v_max_f32_e32 v2, v2, v34
	s_delay_alu instid0(VALU_DEP_1) | instskip(NEXT) | instid1(VALU_DEP_1)
	v_sub_f32_e32 v33, v33, v2
	v_mul_f32_e32 v34, 0x3fb8aa3b, v33
	s_delay_alu instid0(VALU_DEP_1) | instskip(SKIP_1) | instid1(VALU_DEP_1)
	v_fma_f32 v35, 0x3fb8aa3b, v33, -v34
	v_rndne_f32_e32 v36, v34
	v_dual_sub_f32 v34, v34, v36 :: v_dual_fmac_f32 v35, 0x32a5705f, v33
	v_cmp_ngt_f32_e64 s4, 0xc2ce8ed0, v33
	s_delay_alu instid0(VALU_DEP_2) | instskip(SKIP_1) | instid1(VALU_DEP_2)
	v_add_f32_e32 v34, v34, v35
	v_cvt_i32_f32_e32 v35, v36
	v_exp_f32_e32 v34, v34
	s_waitcnt_depctr 0xfff
	v_ldexp_f32 v34, v34, v35
	s_delay_alu instid0(VALU_DEP_1) | instskip(SKIP_1) | instid1(VALU_DEP_1)
	v_cndmask_b32_e64 v34, 0, v34, s4
	v_cmp_nlt_f32_e64 s4, 0x42b17218, v33
	v_cndmask_b32_e64 v33, 0x7f800000, v34, s4
	s_delay_alu instid0(VALU_DEP_1)
	v_cvt_f16_f32_e32 v34, v33
	ds_store_b16 v27, v34
	s_and_saveexec_b32 s21, vcc_lo
	s_cbranch_execz .LBB27_17
; %bb.16:                               ;   in Loop: Header=BB27_11 Depth=1
	v_add_co_u32 v34, s4, s19, v8
	s_delay_alu instid0(VALU_DEP_1)
	v_add_co_ci_u32_e64 v35, s4, s20, v9, s4
	global_load_b128 v[34:37], v[34:35], off offset:64
	s_waitcnt vmcnt(0)
	ds_store_b128 v28, v[34:37]
.LBB27_17:                              ;   in Loop: Header=BB27_11 Depth=1
	s_or_b32 exec_lo, exec_lo, s21
	s_and_saveexec_b32 s21, s3
	s_cbranch_execz .LBB27_19
; %bb.18:                               ;   in Loop: Header=BB27_11 Depth=1
	v_add_co_u32 v34, s4, s19, v10
	s_delay_alu instid0(VALU_DEP_1) | instskip(NEXT) | instid1(VALU_DEP_2)
	v_add_co_ci_u32_e64 v35, s4, s20, v11, s4
	v_add_co_u32 v34, s4, v34, v30
	s_delay_alu instid0(VALU_DEP_1)
	v_add_co_ci_u32_e64 v35, s4, 0, v35, s4
	global_load_b128 v[34:37], v[34:35], off
	s_waitcnt vmcnt(0)
	ds_store_b128 v29, v[34:37]
.LBB27_19:                              ;   in Loop: Header=BB27_11 Depth=1
	s_or_b32 exec_lo, exec_lo, s21
	v_sub_f32_e32 v32, v32, v2
	s_waitcnt lgkmcnt(0)
	s_barrier
	buffer_gl0_inv
	v_mul_f32_e32 v34, 0x3fb8aa3b, v32
	v_cmp_ngt_f32_e64 s4, 0xc2ce8ed0, v32
	s_delay_alu instid0(VALU_DEP_2) | instskip(SKIP_1) | instid1(VALU_DEP_1)
	v_fma_f32 v35, 0x3fb8aa3b, v32, -v34
	v_rndne_f32_e32 v38, v34
	v_dual_fmac_f32 v35, 0x32a5705f, v32 :: v_dual_sub_f32 v34, v34, v38
	v_cvt_i32_f32_e32 v38, v38
	s_delay_alu instid0(VALU_DEP_2) | instskip(NEXT) | instid1(VALU_DEP_1)
	v_add_f32_e32 v34, v34, v35
	v_exp_f32_e32 v39, v34
	ds_load_2addr_b32 v[42:43], v21 offset1:20
	ds_load_b128 v[34:37], v26
	ds_load_2addr_b32 v[44:45], v21 offset0:40 offset1:60
	ds_load_2addr_b32 v[46:47], v21 offset0:80 offset1:100
	v_ldexp_f32 v38, v39, v38
	s_delay_alu instid0(VALU_DEP_1) | instskip(SKIP_1) | instid1(VALU_DEP_1)
	v_cndmask_b32_e64 v38, 0, v38, s4
	v_cmp_nlt_f32_e64 s4, 0x42b17218, v32
	v_cndmask_b32_e64 v32, 0x7f800000, v38, s4
	s_waitcnt lgkmcnt(2)
	v_pk_mul_f16 v42, v42, v34 op_sel_hi:[1,0]
	ds_load_b128 v[38:41], v26 offset:16
	v_fmac_f32_e32 v33, v31, v32
	v_cvt_f16_f32_e32 v48, v32
	s_delay_alu instid0(VALU_DEP_1) | instskip(SKIP_1) | instid1(VALU_DEP_2)
	v_pk_fma_f16 v14, v14, v48, v42 op_sel_hi:[1,0,1]
	v_add_nc_u32_e32 v48, 0x400, v21
	v_pk_fma_f16 v14, v43, v34, v14 op_sel:[0,1,0]
	ds_load_2addr_b32 v[42:43], v21 offset0:120 offset1:140
	s_waitcnt lgkmcnt(3)
	v_pk_fma_f16 v14, v44, v35, v14 op_sel_hi:[1,0,1]
	s_delay_alu instid0(VALU_DEP_1) | instskip(SKIP_4) | instid1(VALU_DEP_1)
	v_pk_fma_f16 v14, v45, v35, v14 op_sel:[0,1,0]
	ds_load_2addr_b32 v[34:35], v21 offset0:160 offset1:180
	ds_load_2addr_b32 v[44:45], v21 offset0:200 offset1:220
	s_waitcnt lgkmcnt(4)
	v_pk_fma_f16 v14, v46, v36, v14 op_sel_hi:[1,0,1]
	v_pk_fma_f16 v14, v47, v36, v14 op_sel:[0,1,0]
	v_add_nc_u32_e32 v36, 0x200, v21
	ds_load_2addr_b32 v[46:47], v48 offset0:24 offset1:44
	s_waitcnt lgkmcnt(3)
	v_pk_fma_f16 v14, v42, v37, v14 op_sel_hi:[1,0,1]
	s_delay_alu instid0(VALU_DEP_1) | instskip(SKIP_3) | instid1(VALU_DEP_1)
	v_pk_fma_f16 v14, v43, v37, v14 op_sel:[0,1,0]
	ds_load_2addr_b32 v[42:43], v36 offset0:112 offset1:132
	s_waitcnt lgkmcnt(3)
	v_pk_fma_f16 v14, v34, v38, v14 op_sel_hi:[1,0,1]
	v_pk_fma_f16 v14, v35, v38, v14 op_sel:[0,1,0]
	ds_load_b128 v[34:37], v26 offset:32
	s_waitcnt lgkmcnt(3)
	v_pk_fma_f16 v14, v44, v39, v14 op_sel_hi:[1,0,1]
	s_delay_alu instid0(VALU_DEP_1) | instskip(SKIP_3) | instid1(VALU_DEP_1)
	v_pk_fma_f16 v14, v45, v39, v14 op_sel:[0,1,0]
	ds_load_2addr_b32 v[44:45], v48 offset0:64 offset1:84
	s_waitcnt lgkmcnt(2)
	v_pk_fma_f16 v14, v42, v40, v14 op_sel_hi:[1,0,1]
	v_pk_fma_f16 v14, v43, v40, v14 op_sel:[0,1,0]
	ds_load_2addr_b32 v[42:43], v48 offset0:104 offset1:124
	v_pk_fma_f16 v14, v46, v41, v14 op_sel_hi:[1,0,1]
	s_delay_alu instid0(VALU_DEP_1) | instskip(SKIP_4) | instid1(VALU_DEP_1)
	v_pk_fma_f16 v14, v47, v41, v14 op_sel:[0,1,0]
	ds_load_b128 v[38:41], v26 offset:48
	ds_load_2addr_b32 v[46:47], v48 offset0:144 offset1:164
	s_waitcnt lgkmcnt(3)
	v_pk_fma_f16 v14, v44, v34, v14 op_sel_hi:[1,0,1]
	v_pk_fma_f16 v14, v45, v34, v14 op_sel:[0,1,0]
	ds_load_2addr_b32 v[44:45], v48 offset0:184 offset1:204
	s_waitcnt lgkmcnt(3)
	v_pk_fma_f16 v14, v42, v35, v14 op_sel_hi:[1,0,1]
	s_delay_alu instid0(VALU_DEP_1) | instskip(SKIP_4) | instid1(VALU_DEP_2)
	v_pk_fma_f16 v14, v43, v35, v14 op_sel:[0,1,0]
	ds_load_2addr_b32 v[34:35], v48 offset0:224 offset1:244
	s_waitcnt lgkmcnt(2)
	v_pk_fma_f16 v14, v46, v36, v14 op_sel_hi:[1,0,1]
	v_add_nc_u32_e32 v46, 0x800, v21
	v_pk_fma_f16 v14, v47, v36, v14 op_sel:[0,1,0]
	ds_load_2addr_b32 v[42:43], v46 offset0:8 offset1:28
	s_waitcnt lgkmcnt(2)
	v_pk_fma_f16 v14, v44, v37, v14 op_sel_hi:[1,0,1]
	s_delay_alu instid0(VALU_DEP_1) | instskip(SKIP_3) | instid1(VALU_DEP_1)
	v_pk_fma_f16 v14, v45, v37, v14 op_sel:[0,1,0]
	ds_load_2addr_b32 v[36:37], v46 offset0:48 offset1:68
	s_waitcnt lgkmcnt(2)
	v_pk_fma_f16 v14, v34, v38, v14 op_sel_hi:[1,0,1]
	v_pk_fma_f16 v14, v35, v38, v14 op_sel:[0,1,0]
	ds_load_2addr_b32 v[34:35], v46 offset0:88 offset1:108
	s_waitcnt lgkmcnt(0)
	s_barrier
	buffer_gl0_inv
	v_pk_fma_f16 v14, v42, v39, v14 op_sel_hi:[1,0,1]
	s_load_b32 s4, s[8:9], 0x4
	s_delay_alu instid0(VALU_DEP_1) | instskip(NEXT) | instid1(VALU_DEP_1)
	v_pk_fma_f16 v14, v43, v39, v14 op_sel:[0,1,0]
	v_pk_fma_f16 v14, v36, v40, v14 op_sel_hi:[1,0,1]
	s_delay_alu instid0(VALU_DEP_1) | instskip(NEXT) | instid1(VALU_DEP_1)
	v_pk_fma_f16 v14, v37, v40, v14 op_sel:[0,1,0]
	v_pk_fma_f16 v14, v34, v41, v14 op_sel_hi:[1,0,1]
	s_waitcnt lgkmcnt(0)
	s_lshl_b32 s4, s4, 5
	s_delay_alu instid0(SALU_CYCLE_1) | instskip(NEXT) | instid1(VALU_DEP_1)
	s_add_i32 s13, s4, s13
	v_pk_fma_f16 v14, v35, v41, v14 op_sel:[0,1,0]
	s_cmp_lt_i32 s13, s34
	s_cbranch_scc0 .LBB27_21
; %bb.20:                               ;   in Loop: Header=BB27_11 Depth=1
	v_dual_mov_b32 v32, v2 :: v_dual_mov_b32 v31, v33
	s_branch .LBB27_11
.LBB27_21:
	v_mov_b32_e32 v5, v13
.LBB27_22:
	v_cmp_lt_i32_e32 vcc_lo, v20, v15
	s_cmp_eq_u64 s[24:25], 0
	s_cselect_b32 s3, -1, 0
	s_cmp_lg_u32 s14, 0
	v_cndmask_b32_e32 v3, v5, v20, vcc_lo
	v_cmp_lt_i32_e32 vcc_lo, v19, v15
	s_cselect_b32 s4, -1, 0
	s_delay_alu instid0(SALU_CYCLE_1) | instskip(SKIP_4) | instid1(VALU_DEP_2)
	s_or_b32 s3, s4, s3
	v_cndmask_b32_e32 v4, v5, v19, vcc_lo
	v_cmp_lt_i32_e32 vcc_lo, v18, v15
	v_cndmask_b32_e32 v6, v5, v18, vcc_lo
	v_cmp_lt_i32_e32 vcc_lo, v17, v15
	v_lshlrev_b32_e32 v6, 2, v6
	v_lshlrev_b32_e32 v3, 2, v3
	ds_bpermute_b32 v3, v3, v33
	s_waitcnt lgkmcnt(0)
	v_dual_add_f32 v3, v33, v3 :: v_dual_lshlrev_b32 v4, 2, v4
	ds_bpermute_b32 v4, v4, v3
	s_waitcnt lgkmcnt(0)
	v_add_f32_e32 v3, v3, v4
	ds_bpermute_b32 v4, v6, v3
	v_cndmask_b32_e32 v6, v5, v17, vcc_lo
	v_cmp_lt_i32_e32 vcc_lo, v16, v15
	s_delay_alu instid0(VALU_DEP_2) | instskip(SKIP_1) | instid1(VALU_DEP_1)
	v_dual_cndmask_b32 v5, v5, v16 :: v_dual_lshlrev_b32 v6, 2, v6
	s_and_b32 vcc_lo, exec_lo, s3
	v_lshlrev_b32_e32 v5, 2, v5
	s_waitcnt lgkmcnt(0)
	v_add_f32_e32 v3, v3, v4
	ds_bpermute_b32 v4, v6, v3
	s_waitcnt lgkmcnt(0)
	v_add_f32_e32 v3, v3, v4
	ds_bpermute_b32 v4, v5, v3
	s_waitcnt lgkmcnt(0)
	v_add_f32_e32 v3, v3, v4
	s_cbranch_vccnz .LBB27_24
; %bb.23:
	v_add_nc_u32_e32 v4, s15, v12
	s_delay_alu instid0(VALU_DEP_1) | instskip(NEXT) | instid1(VALU_DEP_1)
	v_ashrrev_i32_e32 v5, 31, v4
	v_lshlrev_b64 v[4:5], 2, v[4:5]
	s_delay_alu instid0(VALU_DEP_1) | instskip(NEXT) | instid1(VALU_DEP_2)
	v_add_co_u32 v4, vcc_lo, s24, v4
	v_add_co_ci_u32_e32 v5, vcc_lo, s25, v5, vcc_lo
	global_load_b32 v4, v[4:5], off
	s_waitcnt vmcnt(0)
	v_dual_max_f32 v5, v2, v2 :: v_dual_max_f32 v6, v4, v4
	s_delay_alu instid0(VALU_DEP_1) | instskip(NEXT) | instid1(VALU_DEP_1)
	v_max_f32_e32 v5, v5, v6
	v_sub_f32_e32 v2, v2, v5
	s_delay_alu instid0(VALU_DEP_1) | instskip(NEXT) | instid1(VALU_DEP_1)
	v_mul_f32_e32 v6, 0x3fb8aa3b, v2
	v_rndne_f32_e32 v9, v6
	v_fma_f32 v8, 0x3fb8aa3b, v2, -v6
	s_delay_alu instid0(VALU_DEP_2) | instskip(SKIP_1) | instid1(VALU_DEP_1)
	v_sub_f32_e32 v6, v6, v9
	v_sub_f32_e32 v4, v4, v5
	v_mul_f32_e32 v7, 0x3fb8aa3b, v4
	s_delay_alu instid0(VALU_DEP_4) | instskip(SKIP_1) | instid1(VALU_DEP_3)
	v_fmac_f32_e32 v8, 0x32a5705f, v2
	v_cmp_ngt_f32_e32 vcc_lo, 0xc2ce8ed0, v2
	v_fma_f32 v10, 0x3fb8aa3b, v4, -v7
	v_rndne_f32_e32 v11, v7
	s_delay_alu instid0(VALU_DEP_4) | instskip(SKIP_1) | instid1(VALU_DEP_3)
	v_add_f32_e32 v6, v6, v8
	v_cvt_i32_f32_e32 v8, v9
	v_dual_fmac_f32 v10, 0x32a5705f, v4 :: v_dual_sub_f32 v7, v7, v11
	s_delay_alu instid0(VALU_DEP_3) | instskip(SKIP_1) | instid1(VALU_DEP_2)
	v_exp_f32_e32 v6, v6
	v_cvt_i32_f32_e32 v9, v11
	v_add_f32_e32 v7, v7, v10
	s_delay_alu instid0(VALU_DEP_1) | instskip(SKIP_2) | instid1(VALU_DEP_1)
	v_exp_f32_e32 v7, v7
	s_waitcnt_depctr 0xfff
	v_ldexp_f32 v6, v6, v8
	v_cndmask_b32_e32 v6, 0, v6, vcc_lo
	v_cmp_ngt_f32_e32 vcc_lo, 0xc2ce8ed0, v4
	v_ldexp_f32 v7, v7, v9
	s_delay_alu instid0(VALU_DEP_1) | instskip(SKIP_3) | instid1(VALU_DEP_2)
	v_cndmask_b32_e32 v7, 0, v7, vcc_lo
	v_cmp_nlt_f32_e32 vcc_lo, 0x42b17218, v2
	v_cndmask_b32_e32 v2, 0x7f800000, v6, vcc_lo
	v_cmp_nlt_f32_e32 vcc_lo, 0x42b17218, v4
	v_cvt_f16_f32_e32 v6, v2
	v_cndmask_b32_e32 v4, 0x7f800000, v7, vcc_lo
	s_delay_alu instid0(VALU_DEP_2) | instskip(NEXT) | instid1(VALU_DEP_2)
	v_pk_mul_f16 v14, v14, v6 op_sel_hi:[1,0]
	v_fmac_f32_e32 v4, v3, v2
	s_delay_alu instid0(VALU_DEP_1)
	v_dual_mov_b32 v2, v5 :: v_dual_mov_b32 v3, v4
.LBB27_24:
	s_mov_b32 s3, exec_lo
	v_cmpx_gt_i32_e64 s6, v1
	s_cbranch_execz .LBB27_29
; %bb.25:
	s_delay_alu instid0(VALU_DEP_2) | instskip(SKIP_1) | instid1(VALU_DEP_1)
	v_mad_u64_u32 v[4:5], null, s12, s6, v[1:2]
	s_load_b32 s0, s[0:1], 0xd4
	v_mul_lo_u32 v1, v4, s7
	s_delay_alu instid0(VALU_DEP_1) | instskip(SKIP_2) | instid1(VALU_DEP_1)
	v_add3_u32 v1, s15, v12, v1
	s_waitcnt lgkmcnt(0)
	s_cmp_lg_u32 s0, 1
	v_mad_u64_u32 v[4:5], null, s0, v1, s[14:15]
	s_cselect_b32 s0, -1, 0
	s_and_saveexec_b32 s1, s2
	s_cbranch_execz .LBB27_27
; %bb.26:
	v_div_scale_f32 v1, null, v3, v3, 1.0
	v_div_scale_f32 v7, vcc_lo, 1.0, v3, 1.0
	v_cvt_f32_f16_e32 v9, v14
	s_delay_alu instid0(VALU_DEP_3) | instskip(SKIP_2) | instid1(VALU_DEP_1)
	v_rcp_f32_e32 v5, v1
	s_waitcnt_depctr 0xfff
	v_fma_f32 v6, -v1, v5, 1.0
	v_fmac_f32_e32 v5, v6, v5
	s_delay_alu instid0(VALU_DEP_1) | instskip(NEXT) | instid1(VALU_DEP_1)
	v_mul_f32_e32 v6, v7, v5
	v_fma_f32 v8, -v1, v6, v7
	s_delay_alu instid0(VALU_DEP_1) | instskip(SKIP_1) | instid1(VALU_DEP_2)
	v_fmac_f32_e32 v6, v8, v5
	v_lshrrev_b32_e32 v8, 16, v14
	v_fma_f32 v1, -v1, v6, v7
	v_mul_lo_u32 v7, v4, 40
	s_delay_alu instid0(VALU_DEP_2) | instskip(SKIP_1) | instid1(VALU_DEP_3)
	v_div_fmas_f32 v1, v1, v5, v6
	v_mov_b32_e32 v6, 0
	v_lshl_add_u32 v5, v0, 1, v7
	s_delay_alu instid0(VALU_DEP_3) | instskip(SKIP_1) | instid1(VALU_DEP_3)
	v_div_fixup_f32 v1, v1, v3, 1.0
	v_cvt_f32_f16_e32 v7, v8
	v_lshlrev_b64 v[5:6], 2, v[5:6]
	s_delay_alu instid0(VALU_DEP_3) | instskip(NEXT) | instid1(VALU_DEP_2)
	v_cndmask_b32_e64 v1, v1, 1.0, s0
	v_add_co_u32 v5, vcc_lo, s28, v5
	s_delay_alu instid0(VALU_DEP_2)
	v_mul_f32_e32 v8, v1, v7
	v_mul_f32_e32 v7, v1, v9
	v_add_co_ci_u32_e32 v6, vcc_lo, s29, v6, vcc_lo
	global_store_b64 v[5:6], v[7:8], off
.LBB27_27:
	s_or_b32 exec_lo, exec_lo, s1
	v_cmp_eq_u32_e32 vcc_lo, 0, v0
	s_and_b32 s0, vcc_lo, s0
	s_delay_alu instid0(SALU_CYCLE_1)
	s_and_b32 exec_lo, exec_lo, s0
	s_cbranch_execz .LBB27_29
; %bb.28:
	v_ashrrev_i32_e32 v5, 31, v4
	s_delay_alu instid0(VALU_DEP_1) | instskip(NEXT) | instid1(VALU_DEP_1)
	v_lshlrev_b64 v[0:1], 3, v[4:5]
	v_add_co_u32 v0, vcc_lo, s30, v0
	s_delay_alu instid0(VALU_DEP_2)
	v_add_co_ci_u32_e32 v1, vcc_lo, s31, v1, vcc_lo
	global_store_b64 v[0:1], v[2:3], off
.LBB27_29:
	s_nop 0
	s_sendmsg sendmsg(MSG_DEALLOC_VGPRS)
	s_endpgm
	.section	.rodata,"a",@progbits
	.p2align	6, 0x0
	.amdhsa_kernel _ZL15flash_attn_tileILi40ELi40ELi2ELi4ELb0EEvPKcS1_S1_S1_S1_PKiPfP15HIP_vector_typeIfLj2EEffffjfiS5_IjLj3EEiiiiiiiiiiiliiliiiiil
		.amdhsa_group_segment_fixed_size 4320
		.amdhsa_private_segment_fixed_size 0
		.amdhsa_kernarg_size 464
		.amdhsa_user_sgpr_count 13
		.amdhsa_user_sgpr_dispatch_ptr 0
		.amdhsa_user_sgpr_queue_ptr 0
		.amdhsa_user_sgpr_kernarg_segment_ptr 1
		.amdhsa_user_sgpr_dispatch_id 0
		.amdhsa_user_sgpr_private_segment_size 0
		.amdhsa_wavefront_size32 1
		.amdhsa_uses_dynamic_stack 0
		.amdhsa_enable_private_segment 0
		.amdhsa_system_sgpr_workgroup_id_x 1
		.amdhsa_system_sgpr_workgroup_id_y 1
		.amdhsa_system_sgpr_workgroup_id_z 1
		.amdhsa_system_sgpr_workgroup_info 0
		.amdhsa_system_vgpr_workitem_id 1
		.amdhsa_next_free_vgpr 49
		.amdhsa_next_free_sgpr 42
		.amdhsa_reserve_vcc 1
		.amdhsa_float_round_mode_32 0
		.amdhsa_float_round_mode_16_64 0
		.amdhsa_float_denorm_mode_32 3
		.amdhsa_float_denorm_mode_16_64 3
		.amdhsa_dx10_clamp 1
		.amdhsa_ieee_mode 1
		.amdhsa_fp16_overflow 0
		.amdhsa_workgroup_processor_mode 1
		.amdhsa_memory_ordered 1
		.amdhsa_forward_progress 0
		.amdhsa_shared_vgpr_count 0
		.amdhsa_exception_fp_ieee_invalid_op 0
		.amdhsa_exception_fp_denorm_src 0
		.amdhsa_exception_fp_ieee_div_zero 0
		.amdhsa_exception_fp_ieee_overflow 0
		.amdhsa_exception_fp_ieee_underflow 0
		.amdhsa_exception_fp_ieee_inexact 0
		.amdhsa_exception_int_div_zero 0
	.end_amdhsa_kernel
	.section	.text._ZL15flash_attn_tileILi40ELi40ELi2ELi4ELb0EEvPKcS1_S1_S1_S1_PKiPfP15HIP_vector_typeIfLj2EEffffjfiS5_IjLj3EEiiiiiiiiiiiliiliiiiil,"axG",@progbits,_ZL15flash_attn_tileILi40ELi40ELi2ELi4ELb0EEvPKcS1_S1_S1_S1_PKiPfP15HIP_vector_typeIfLj2EEffffjfiS5_IjLj3EEiiiiiiiiiiiliiliiiiil,comdat
.Lfunc_end27:
	.size	_ZL15flash_attn_tileILi40ELi40ELi2ELi4ELb0EEvPKcS1_S1_S1_S1_PKiPfP15HIP_vector_typeIfLj2EEffffjfiS5_IjLj3EEiiiiiiiiiiiliiliiiiil, .Lfunc_end27-_ZL15flash_attn_tileILi40ELi40ELi2ELi4ELb0EEvPKcS1_S1_S1_S1_PKiPfP15HIP_vector_typeIfLj2EEffffjfiS5_IjLj3EEiiiiiiiiiiiliiliiiiil
                                        ; -- End function
	.section	.AMDGPU.csdata,"",@progbits
; Kernel info:
; codeLenInByte = 4452
; NumSgprs: 44
; NumVgprs: 49
; ScratchSize: 0
; MemoryBound: 0
; FloatMode: 240
; IeeeMode: 1
; LDSByteSize: 4320 bytes/workgroup (compile time only)
; SGPRBlocks: 5
; VGPRBlocks: 6
; NumSGPRsForWavesPerEU: 44
; NumVGPRsForWavesPerEU: 49
; Occupancy: 16
; WaveLimiterHint : 1
; COMPUTE_PGM_RSRC2:SCRATCH_EN: 0
; COMPUTE_PGM_RSRC2:USER_SGPR: 13
; COMPUTE_PGM_RSRC2:TRAP_HANDLER: 0
; COMPUTE_PGM_RSRC2:TGID_X_EN: 1
; COMPUTE_PGM_RSRC2:TGID_Y_EN: 1
; COMPUTE_PGM_RSRC2:TGID_Z_EN: 1
; COMPUTE_PGM_RSRC2:TIDIG_COMP_CNT: 1
	.section	.text._ZL33flash_attn_stream_k_fixup_uniformILi40ELi2ELi4EEvPfPK15HIP_vector_typeIfLj2EEiiiiiiS1_IjLj3EES5_S5_,"axG",@progbits,_ZL33flash_attn_stream_k_fixup_uniformILi40ELi2ELi4EEvPfPK15HIP_vector_typeIfLj2EEiiiiiiS1_IjLj3EES5_S5_,comdat
	.globl	_ZL33flash_attn_stream_k_fixup_uniformILi40ELi2ELi4EEvPfPK15HIP_vector_typeIfLj2EEiiiiiiS1_IjLj3EES5_S5_ ; -- Begin function _ZL33flash_attn_stream_k_fixup_uniformILi40ELi2ELi4EEvPfPK15HIP_vector_typeIfLj2EEiiiiiiS1_IjLj3EES5_S5_
	.p2align	8
	.type	_ZL33flash_attn_stream_k_fixup_uniformILi40ELi2ELi4EEvPfPK15HIP_vector_typeIfLj2EEiiiiiiS1_IjLj3EES5_S5_,@function
_ZL33flash_attn_stream_k_fixup_uniformILi40ELi2ELi4EEvPfPK15HIP_vector_typeIfLj2EEiiiiiiS1_IjLj3EES5_S5_: ; @_ZL33flash_attn_stream_k_fixup_uniformILi40ELi2ELi4EEvPfPK15HIP_vector_typeIfLj2EEiiiiiiS1_IjLj3EES5_S5_
; %bb.0:
	s_clause 0x1
	s_load_b256 s[4:11], s[0:1], 0x1c
	s_load_b128 s[16:19], s[0:1], 0x3c
	s_waitcnt lgkmcnt(0)
	s_mul_hi_u32 s2, s7, s13
	s_delay_alu instid0(SALU_CYCLE_1) | instskip(NEXT) | instid1(SALU_CYCLE_1)
	s_add_i32 s2, s13, s2
	s_lshr_b32 s2, s2, s8
	s_delay_alu instid0(SALU_CYCLE_1) | instskip(SKIP_2) | instid1(SALU_CYCLE_1)
	s_mul_i32 s3, s2, s9
	s_load_b64 s[8:9], s[0:1], 0x10
	s_sub_i32 s3, s13, s3
	s_mul_hi_u32 s7, s3, s10
	s_delay_alu instid0(SALU_CYCLE_1) | instskip(NEXT) | instid1(SALU_CYCLE_1)
	s_add_i32 s7, s3, s7
	s_lshr_b32 s7, s7, s11
	s_delay_alu instid0(SALU_CYCLE_1) | instskip(NEXT) | instid1(SALU_CYCLE_1)
	s_mul_i32 s10, s7, s16
	s_sub_i32 s3, s3, s10
	s_delay_alu instid0(SALU_CYCLE_1) | instskip(NEXT) | instid1(SALU_CYCLE_1)
	s_mul_hi_u32 s10, s3, s17
	s_add_i32 s10, s3, s10
	s_delay_alu instid0(SALU_CYCLE_1) | instskip(NEXT) | instid1(SALU_CYCLE_1)
	s_lshr_b32 s11, s10, s18
	s_mul_i32 s10, s11, s19
	s_lshl_b32 s11, s11, 2
	s_sub_i32 s10, s3, s10
	s_delay_alu instid0(SALU_CYCLE_1) | instskip(NEXT) | instid1(SALU_CYCLE_1)
	s_lshl_b32 s3, s10, 1
	s_add_i32 s3, s3, s14
	s_waitcnt lgkmcnt(0)
	s_cmp_lt_i32 s3, s8
	s_cselect_b32 s3, -1, 0
	s_add_i32 s11, s11, s15
	s_delay_alu instid0(SALU_CYCLE_1) | instskip(SKIP_1) | instid1(SALU_CYCLE_1)
	s_cmp_lt_i32 s11, s5
	s_cselect_b32 s12, -1, 0
	s_and_b32 s3, s3, s12
	s_delay_alu instid0(SALU_CYCLE_1)
	s_and_not1_b32 vcc_lo, exec_lo, s3
	s_cbranch_vccnz .LBB28_6
; %bb.1:
	s_mul_i32 s8, s2, s8
	s_mul_i32 s7, s7, s5
	s_add_i32 s8, s8, s14
	s_add_i32 s5, s11, s7
	s_mul_i32 s8, s8, s9
	s_load_b128 s[0:3], s[0:1], 0x0
	s_mul_i32 s7, s9, s10
	s_add_i32 s5, s5, s8
	s_mulk_i32 s7, 0x50
	s_mul_i32 s5, s5, 40
	s_lshl_b32 s9, s14, 2
	v_add3_u32 v1, s5, s7, v0
	s_mul_i32 s5, s13, s6
	s_delay_alu instid0(SALU_CYCLE_1) | instskip(NEXT) | instid1(VALU_DEP_1)
	s_add_i32 s10, s5, s6
	v_ashrrev_i32_e32 v2, 31, v1
	s_delay_alu instid0(VALU_DEP_1) | instskip(SKIP_1) | instid1(VALU_DEP_1)
	v_lshlrev_b64 v[1:2], 2, v[1:2]
	s_waitcnt lgkmcnt(0)
	v_add_co_u32 v1, vcc_lo, s0, v1
	s_delay_alu instid0(VALU_DEP_2) | instskip(SKIP_4) | instid1(SALU_CYCLE_1)
	v_add_co_ci_u32_e32 v2, vcc_lo, s1, v2, vcc_lo
	s_add_i32 s0, s9, s15
	s_lshl_b32 s1, s10, 3
	global_load_b32 v5, v[1:2], off
	s_add_i32 s0, s0, s1
	s_add_i32 s0, s0, -8
	s_delay_alu instid0(SALU_CYCLE_1) | instskip(NEXT) | instid1(SALU_CYCLE_1)
	s_ashr_i32 s1, s0, 31
	s_lshl_b64 s[0:1], s[0:1], 3
	s_delay_alu instid0(SALU_CYCLE_1)
	s_add_u32 s0, s2, s0
	s_addc_u32 s1, s3, s1
	s_add_i32 s7, s10, -2
	s_load_b32 s11, s[0:1], 0x4
	s_cmp_lt_i32 s7, s5
	s_cbranch_scc1 .LBB28_4
; %bb.2:
	s_load_b32 s12, s[0:1], 0x0
	s_lshl_b32 s16, s4, 5
	s_mulk_i32 s14, 0xa0
	s_ashr_i32 s17, s16, 31
	s_waitcnt lgkmcnt(0)
	v_mov_b32_e32 v6, s11
	s_lshl_b64 s[0:1], s[16:17], 2
	s_delay_alu instid0(SALU_CYCLE_1)
	s_add_u32 s7, s2, s0
	s_addc_u32 s8, s3, s1
	s_add_i32 s13, s13, 1
	s_lshl_b32 s4, s4, 3
	s_mul_i32 s0, s6, s13
	s_mul_i32 s6, s15, 40
	s_lshl_b32 s1, s0, 3
	s_mulk_i32 s0, 0x140
	s_add_i32 s6, s6, s14
	s_add_i32 s1, s15, s1
	;; [unrolled: 1-line block ×4, first 2 shown]
	v_add3_u32 v3, s6, v0, 0xfffffd80
	v_mov_b32_e32 v0, s12
	s_add_i32 s0, s0, s9
	s_add_i32 s4, s10, -1
	s_add_i32 s0, s0, -16
.LBB28_3:                               ; =>This Inner Loop Header: Depth=1
	s_delay_alu instid0(VALU_DEP_2) | instskip(SKIP_1) | instid1(SALU_CYCLE_1)
	v_ashrrev_i32_e32 v4, 31, v3
	s_ashr_i32 s1, s0, 31
	s_lshl_b64 s[10:11], s[0:1], 3
	s_delay_alu instid0(SALU_CYCLE_1) | instskip(NEXT) | instid1(VALU_DEP_1)
	s_add_u32 s10, s2, s10
	v_lshlrev_b64 v[7:8], 2, v[3:4]
	s_addc_u32 s11, s3, s11
	s_add_i32 s4, s4, -1
	s_add_i32 s0, s0, -8
	s_cmp_le_i32 s4, s5
	s_load_b64 s[10:11], s[10:11], 0x0
	v_add_co_u32 v7, vcc_lo, s7, v7
	v_add_co_ci_u32_e32 v8, vcc_lo, s8, v8, vcc_lo
	global_load_b32 v4, v[7:8], off
	v_max_f32_e32 v7, v0, v0
	s_waitcnt lgkmcnt(0)
	v_max_f32_e64 v8, s10, s10
	s_delay_alu instid0(VALU_DEP_1) | instskip(NEXT) | instid1(VALU_DEP_1)
	v_max_f32_e32 v7, v7, v8
	v_sub_f32_e32 v8, s10, v7
	s_delay_alu instid0(VALU_DEP_1) | instskip(NEXT) | instid1(VALU_DEP_1)
	v_dual_sub_f32 v0, v0, v7 :: v_dual_mul_f32 v9, 0x3fb8aa3b, v8
	v_fma_f32 v10, 0x3fb8aa3b, v8, -v9
	v_rndne_f32_e32 v11, v9
	s_delay_alu instid0(VALU_DEP_3) | instskip(NEXT) | instid1(VALU_DEP_2)
	v_mul_f32_e32 v12, 0x3fb8aa3b, v0
	v_dual_fmac_f32 v10, 0x32a5705f, v8 :: v_dual_sub_f32 v9, v9, v11
	v_cvt_i32_f32_e32 v11, v11
	s_delay_alu instid0(VALU_DEP_3) | instskip(SKIP_1) | instid1(VALU_DEP_4)
	v_fma_f32 v13, 0x3fb8aa3b, v0, -v12
	v_rndne_f32_e32 v14, v12
	v_add_f32_e32 v9, v9, v10
	v_cmp_ngt_f32_e32 vcc_lo, 0xc2ce8ed0, v8
	s_delay_alu instid0(VALU_DEP_3) | instskip(NEXT) | instid1(VALU_DEP_3)
	v_sub_f32_e32 v10, v12, v14
	v_exp_f32_e32 v9, v9
	s_waitcnt_depctr 0xfff
	v_ldexp_f32 v9, v9, v11
	v_cvt_i32_f32_e32 v11, v14
	s_delay_alu instid0(VALU_DEP_2) | instskip(SKIP_1) | instid1(VALU_DEP_2)
	v_cndmask_b32_e32 v9, 0, v9, vcc_lo
	v_cmp_nlt_f32_e32 vcc_lo, 0x42b17218, v8
	v_cndmask_b32_e32 v9, 0x7f800000, v9, vcc_lo
	v_cmp_ngt_f32_e32 vcc_lo, 0xc2ce8ed0, v0
	v_fmac_f32_e32 v13, 0x32a5705f, v0
	s_delay_alu instid0(VALU_DEP_1) | instskip(NEXT) | instid1(VALU_DEP_1)
	v_add_f32_e32 v10, v10, v13
	v_exp_f32_e32 v10, v10
	s_waitcnt_depctr 0xfff
	v_ldexp_f32 v10, v10, v11
	s_delay_alu instid0(VALU_DEP_1)
	v_dual_mov_b32 v11, v6 :: v_dual_cndmask_b32 v10, 0, v10
	v_cmp_le_f32_e32 vcc_lo, 0xc1a00000, v8
	s_waitcnt vmcnt(1)
	v_dual_cndmask_b32 v8, 0, v9 :: v_dual_mov_b32 v9, v5
	v_cmp_nlt_f32_e32 vcc_lo, 0x42b17218, v0
	v_cndmask_b32_e32 v5, 0x7f800000, v10, vcc_lo
	s_delay_alu instid0(VALU_DEP_3) | instskip(SKIP_2) | instid1(VALU_DEP_3)
	v_mul_f32_e32 v10, s11, v8
	v_cmp_le_f32_e32 vcc_lo, 0xc1a00000, v0
	v_mov_b32_e32 v0, v7
	v_mov_b32_e32 v6, v10
	s_waitcnt vmcnt(0)
	v_dual_cndmask_b32 v12, 0, v5 :: v_dual_mul_f32 v5, v4, v8
	s_delay_alu instid0(VALU_DEP_1) | instskip(NEXT) | instid1(VALU_DEP_2)
	v_dual_fmac_f32 v6, v11, v12 :: v_dual_add_nc_u32 v3, 0xfffffec0, v3
	v_fmac_f32_e32 v5, v9, v12
	s_cbranch_scc0 .LBB28_3
	s_branch .LBB28_5
.LBB28_4:
	s_waitcnt lgkmcnt(0)
	v_mov_b32_e32 v6, s11
.LBB28_5:
	s_waitcnt vmcnt(0)
	s_delay_alu instid0(VALU_DEP_1) | instskip(NEXT) | instid1(VALU_DEP_1)
	v_div_scale_f32 v0, null, v6, v6, v5
	v_rcp_f32_e32 v3, v0
	s_waitcnt_depctr 0xfff
	v_fma_f32 v4, -v0, v3, 1.0
	s_delay_alu instid0(VALU_DEP_1) | instskip(SKIP_1) | instid1(VALU_DEP_1)
	v_fmac_f32_e32 v3, v4, v3
	v_div_scale_f32 v4, vcc_lo, v5, v6, v5
	v_mul_f32_e32 v7, v4, v3
	s_delay_alu instid0(VALU_DEP_1) | instskip(NEXT) | instid1(VALU_DEP_1)
	v_fma_f32 v8, -v0, v7, v4
	v_fmac_f32_e32 v7, v8, v3
	s_delay_alu instid0(VALU_DEP_1) | instskip(NEXT) | instid1(VALU_DEP_1)
	v_fma_f32 v0, -v0, v7, v4
	v_div_fmas_f32 v0, v0, v3, v7
	s_delay_alu instid0(VALU_DEP_1)
	v_div_fixup_f32 v0, v0, v6, v5
	global_store_b32 v[1:2], v0, off
.LBB28_6:
	s_nop 0
	s_sendmsg sendmsg(MSG_DEALLOC_VGPRS)
	s_endpgm
	.section	.rodata,"a",@progbits
	.p2align	6, 0x0
	.amdhsa_kernel _ZL33flash_attn_stream_k_fixup_uniformILi40ELi2ELi4EEvPfPK15HIP_vector_typeIfLj2EEiiiiiiS1_IjLj3EES5_S5_
		.amdhsa_group_segment_fixed_size 0
		.amdhsa_private_segment_fixed_size 0
		.amdhsa_kernarg_size 76
		.amdhsa_user_sgpr_count 13
		.amdhsa_user_sgpr_dispatch_ptr 0
		.amdhsa_user_sgpr_queue_ptr 0
		.amdhsa_user_sgpr_kernarg_segment_ptr 1
		.amdhsa_user_sgpr_dispatch_id 0
		.amdhsa_user_sgpr_private_segment_size 0
		.amdhsa_wavefront_size32 1
		.amdhsa_uses_dynamic_stack 0
		.amdhsa_enable_private_segment 0
		.amdhsa_system_sgpr_workgroup_id_x 1
		.amdhsa_system_sgpr_workgroup_id_y 1
		.amdhsa_system_sgpr_workgroup_id_z 1
		.amdhsa_system_sgpr_workgroup_info 0
		.amdhsa_system_vgpr_workitem_id 0
		.amdhsa_next_free_vgpr 15
		.amdhsa_next_free_sgpr 20
		.amdhsa_reserve_vcc 1
		.amdhsa_float_round_mode_32 0
		.amdhsa_float_round_mode_16_64 0
		.amdhsa_float_denorm_mode_32 3
		.amdhsa_float_denorm_mode_16_64 3
		.amdhsa_dx10_clamp 1
		.amdhsa_ieee_mode 1
		.amdhsa_fp16_overflow 0
		.amdhsa_workgroup_processor_mode 1
		.amdhsa_memory_ordered 1
		.amdhsa_forward_progress 0
		.amdhsa_shared_vgpr_count 0
		.amdhsa_exception_fp_ieee_invalid_op 0
		.amdhsa_exception_fp_denorm_src 0
		.amdhsa_exception_fp_ieee_div_zero 0
		.amdhsa_exception_fp_ieee_overflow 0
		.amdhsa_exception_fp_ieee_underflow 0
		.amdhsa_exception_fp_ieee_inexact 0
		.amdhsa_exception_int_div_zero 0
	.end_amdhsa_kernel
	.section	.text._ZL33flash_attn_stream_k_fixup_uniformILi40ELi2ELi4EEvPfPK15HIP_vector_typeIfLj2EEiiiiiiS1_IjLj3EES5_S5_,"axG",@progbits,_ZL33flash_attn_stream_k_fixup_uniformILi40ELi2ELi4EEvPfPK15HIP_vector_typeIfLj2EEiiiiiiS1_IjLj3EES5_S5_,comdat
.Lfunc_end28:
	.size	_ZL33flash_attn_stream_k_fixup_uniformILi40ELi2ELi4EEvPfPK15HIP_vector_typeIfLj2EEiiiiiiS1_IjLj3EES5_S5_, .Lfunc_end28-_ZL33flash_attn_stream_k_fixup_uniformILi40ELi2ELi4EEvPfPK15HIP_vector_typeIfLj2EEiiiiiiS1_IjLj3EES5_S5_
                                        ; -- End function
	.section	.AMDGPU.csdata,"",@progbits
; Kernel info:
; codeLenInByte = 988
; NumSgprs: 22
; NumVgprs: 15
; ScratchSize: 0
; MemoryBound: 0
; FloatMode: 240
; IeeeMode: 1
; LDSByteSize: 0 bytes/workgroup (compile time only)
; SGPRBlocks: 2
; VGPRBlocks: 1
; NumSGPRsForWavesPerEU: 22
; NumVGPRsForWavesPerEU: 15
; Occupancy: 16
; WaveLimiterHint : 0
; COMPUTE_PGM_RSRC2:SCRATCH_EN: 0
; COMPUTE_PGM_RSRC2:USER_SGPR: 13
; COMPUTE_PGM_RSRC2:TRAP_HANDLER: 0
; COMPUTE_PGM_RSRC2:TGID_X_EN: 1
; COMPUTE_PGM_RSRC2:TGID_Y_EN: 1
; COMPUTE_PGM_RSRC2:TGID_Z_EN: 1
; COMPUTE_PGM_RSRC2:TIDIG_COMP_CNT: 0
	.section	.text._ZL33flash_attn_stream_k_fixup_generalILi40ELi2ELi4EEvPfPK15HIP_vector_typeIfLj2EEiiiiS1_IjLj3EES5_S5_S5_,"axG",@progbits,_ZL33flash_attn_stream_k_fixup_generalILi40ELi2ELi4EEvPfPK15HIP_vector_typeIfLj2EEiiiiS1_IjLj3EES5_S5_S5_,comdat
	.globl	_ZL33flash_attn_stream_k_fixup_generalILi40ELi2ELi4EEvPfPK15HIP_vector_typeIfLj2EEiiiiS1_IjLj3EES5_S5_S5_ ; -- Begin function _ZL33flash_attn_stream_k_fixup_generalILi40ELi2ELi4EEvPfPK15HIP_vector_typeIfLj2EEiiiiS1_IjLj3EES5_S5_S5_
	.p2align	8
	.type	_ZL33flash_attn_stream_k_fixup_generalILi40ELi2ELi4EEvPfPK15HIP_vector_typeIfLj2EEiiiiS1_IjLj3EES5_S5_S5_,@function
_ZL33flash_attn_stream_k_fixup_generalILi40ELi2ELi4EEvPfPK15HIP_vector_typeIfLj2EEiiiiS1_IjLj3EES5_S5_S5_: ; @_ZL33flash_attn_stream_k_fixup_generalILi40ELi2ELi4EEvPfPK15HIP_vector_typeIfLj2EEiiiiS1_IjLj3EES5_S5_S5_
; %bb.0:
	s_clause 0x1
	s_load_b128 s[4:7], s[0:1], 0x10
	s_load_b32 s20, s[0:1], 0x50
	s_mov_b32 s2, 0
	s_waitcnt lgkmcnt(0)
	s_mul_hi_i32 s3, s7, s13
	s_mul_i32 s12, s7, s13
	s_cmp_lg_u64 s[2:3], 0
	s_cbranch_scc0 .LBB29_21
; %bb.1:
	v_cvt_f32_ubyte0_e32 v1, 0
	v_cvt_f32_u32_e32 v2, s20
	s_sub_u32 s10, 0, s20
	s_subb_u32 s11, 0, 0
	s_delay_alu instid0(VALU_DEP_1) | instskip(NEXT) | instid1(VALU_DEP_1)
	v_fmamk_f32 v1, v1, 0x4f800000, v2
	v_rcp_f32_e32 v1, v1
	s_waitcnt_depctr 0xfff
	v_mul_f32_e32 v1, 0x5f7ffffc, v1
	s_delay_alu instid0(VALU_DEP_1) | instskip(NEXT) | instid1(VALU_DEP_1)
	v_mul_f32_e32 v2, 0x2f800000, v1
	v_trunc_f32_e32 v2, v2
	s_delay_alu instid0(VALU_DEP_1) | instskip(SKIP_1) | instid1(VALU_DEP_2)
	v_fmamk_f32 v1, v2, 0xcf800000, v1
	v_cvt_u32_f32_e32 v2, v2
	v_cvt_u32_f32_e32 v1, v1
	s_delay_alu instid0(VALU_DEP_2) | instskip(NEXT) | instid1(VALU_DEP_2)
	v_readfirstlane_b32 s8, v2
	v_readfirstlane_b32 s9, v1
	s_delay_alu instid0(VALU_DEP_2) | instskip(NEXT) | instid1(VALU_DEP_1)
	s_mul_i32 s16, s10, s8
	s_mul_hi_u32 s18, s10, s9
	s_mul_i32 s17, s11, s9
	s_add_i32 s16, s18, s16
	s_mul_i32 s19, s10, s9
	s_add_i32 s16, s16, s17
	s_mul_hi_u32 s18, s9, s19
	s_mul_hi_u32 s21, s8, s19
	s_mul_i32 s17, s8, s19
	s_mul_hi_u32 s19, s9, s16
	s_mul_i32 s9, s9, s16
	s_mul_hi_u32 s22, s8, s16
	s_add_u32 s9, s18, s9
	s_addc_u32 s18, 0, s19
	s_add_u32 s9, s9, s17
	s_mul_i32 s16, s8, s16
	s_addc_u32 s9, s18, s21
	s_addc_u32 s17, s22, 0
	s_add_u32 s9, s9, s16
	s_addc_u32 s16, 0, s17
	v_add_co_u32 v1, s9, v1, s9
	s_delay_alu instid0(VALU_DEP_1) | instskip(SKIP_1) | instid1(VALU_DEP_1)
	s_cmp_lg_u32 s9, 0
	s_addc_u32 s8, s8, s16
	v_readfirstlane_b32 s9, v1
	s_mul_i32 s16, s10, s8
	s_delay_alu instid0(VALU_DEP_1)
	s_mul_hi_u32 s17, s10, s9
	s_mul_i32 s11, s11, s9
	s_add_i32 s16, s17, s16
	s_mul_i32 s10, s10, s9
	s_add_i32 s16, s16, s11
	s_mul_hi_u32 s17, s8, s10
	s_mul_i32 s18, s8, s10
	s_mul_hi_u32 s10, s9, s10
	s_mul_hi_u32 s19, s9, s16
	s_mul_i32 s9, s9, s16
	s_mul_hi_u32 s11, s8, s16
	s_add_u32 s9, s10, s9
	s_addc_u32 s10, 0, s19
	s_add_u32 s9, s9, s18
	s_mul_i32 s16, s8, s16
	s_addc_u32 s9, s10, s17
	s_addc_u32 s10, s11, 0
	s_add_u32 s9, s9, s16
	s_addc_u32 s10, 0, s10
	v_add_co_u32 v1, s9, v1, s9
	s_delay_alu instid0(VALU_DEP_1) | instskip(SKIP_2) | instid1(SALU_CYCLE_1)
	s_cmp_lg_u32 s9, 0
	s_addc_u32 s16, s8, s10
	s_ashr_i32 s8, s3, 31
	s_add_u32 s10, s12, s8
	s_addc_u32 s11, s3, s8
	v_readfirstlane_b32 s3, v1
	s_mov_b32 s9, s8
	s_delay_alu instid0(SALU_CYCLE_1) | instskip(NEXT) | instid1(SALU_CYCLE_1)
	s_xor_b64 s[10:11], s[10:11], s[8:9]
	s_mul_i32 s18, s10, s16
	s_delay_alu instid0(VALU_DEP_1)
	s_mul_hi_u32 s19, s10, s3
	s_mul_hi_u32 s17, s10, s16
	;; [unrolled: 1-line block ×3, first 2 shown]
	s_mul_i32 s3, s11, s3
	s_add_u32 s18, s19, s18
	s_addc_u32 s17, 0, s17
	s_mul_hi_u32 s21, s11, s16
	s_add_u32 s3, s18, s3
	s_mul_i32 s16, s11, s16
	s_addc_u32 s3, s17, s22
	s_addc_u32 s17, s21, 0
	s_add_u32 s3, s3, s16
	s_addc_u32 s16, 0, s17
	s_mul_i32 s18, s20, s3
	s_add_u32 s17, s3, 1
	v_sub_co_u32 v1, s10, s10, s18
	s_mul_hi_u32 s18, s20, s3
	s_addc_u32 s19, s16, 0
	s_mul_i32 s21, s20, s16
	s_delay_alu instid0(VALU_DEP_1)
	v_sub_co_u32 v2, s22, v1, s20
	s_add_u32 s23, s3, 2
	s_addc_u32 s24, s16, 0
	s_add_i32 s18, s18, s21
	s_cmp_lg_u32 s10, 0
	v_readfirstlane_b32 s10, v2
	s_subb_u32 s11, s11, s18
	s_cmp_lg_u32 s22, 0
	s_subb_u32 s18, s11, 0
	s_delay_alu instid0(VALU_DEP_1) | instskip(SKIP_4) | instid1(SALU_CYCLE_1)
	s_cmp_ge_u32 s10, s20
	s_cselect_b32 s10, -1, 0
	s_cmp_eq_u32 s18, 0
	v_readfirstlane_b32 s18, v1
	s_cselect_b32 s10, s10, -1
	s_cmp_lg_u32 s10, 0
	s_cselect_b32 s10, s23, s17
	s_cselect_b32 s17, s24, s19
	s_cmp_ge_u32 s18, s20
	s_cselect_b32 s18, -1, 0
	s_cmp_eq_u32 s11, 0
	s_cselect_b32 s11, s18, -1
	s_delay_alu instid0(SALU_CYCLE_1) | instskip(SKIP_2) | instid1(SALU_CYCLE_1)
	s_cmp_lg_u32 s11, 0
	s_cselect_b32 s11, s17, s16
	s_cselect_b32 s10, s10, s3
	s_xor_b64 s[10:11], s[10:11], s[8:9]
	s_delay_alu instid0(SALU_CYCLE_1)
	s_sub_u32 s16, s10, s8
	s_load_b128 s[8:11], s[0:1], 0x44
	s_and_not1_b32 vcc_lo, exec_lo, s2
	s_cbranch_vccnz .LBB29_3
.LBB29_2:
	v_cvt_f32_u32_e32 v1, s20
	s_sub_i32 s3, 0, s20
	s_delay_alu instid0(VALU_DEP_1) | instskip(SKIP_2) | instid1(VALU_DEP_1)
	v_rcp_iflag_f32_e32 v1, v1
	s_waitcnt_depctr 0xfff
	v_mul_f32_e32 v1, 0x4f7ffffe, v1
	v_cvt_u32_f32_e32 v1, v1
	s_delay_alu instid0(VALU_DEP_1) | instskip(NEXT) | instid1(VALU_DEP_1)
	v_readfirstlane_b32 s2, v1
	s_mul_i32 s3, s3, s2
	s_delay_alu instid0(SALU_CYCLE_1) | instskip(NEXT) | instid1(SALU_CYCLE_1)
	s_mul_hi_u32 s3, s2, s3
	s_add_i32 s2, s2, s3
	s_delay_alu instid0(SALU_CYCLE_1) | instskip(NEXT) | instid1(SALU_CYCLE_1)
	s_mul_hi_u32 s2, s12, s2
	s_mul_i32 s3, s2, s20
	s_waitcnt lgkmcnt(0)
	s_add_i32 s11, s2, 1
	s_sub_i32 s3, s12, s3
	s_delay_alu instid0(SALU_CYCLE_1)
	s_sub_i32 s12, s3, s20
	s_cmp_ge_u32 s3, s20
	s_cselect_b32 s2, s11, s2
	s_cselect_b32 s3, s12, s3
	s_add_i32 s11, s2, 1
	s_cmp_ge_u32 s3, s20
	s_cselect_b32 s16, s11, s2
.LBB29_3:
	s_waitcnt lgkmcnt(0)
	s_add_i32 s11, s13, 1
	s_mov_b32 s2, 0
	s_mul_hi_i32 s3, s7, s11
	s_mul_i32 s11, s7, s11
	s_cmp_lg_u64 s[2:3], 0
	s_cbranch_scc0 .LBB29_22
; %bb.4:
	v_cvt_f32_ubyte0_e32 v1, 0
	v_cvt_f32_u32_e32 v2, s20
	s_sub_u32 s18, 0, s20
	s_subb_u32 s19, 0, 0
	s_delay_alu instid0(VALU_DEP_1) | instskip(NEXT) | instid1(VALU_DEP_1)
	v_fmamk_f32 v1, v1, 0x4f800000, v2
	v_rcp_f32_e32 v1, v1
	s_waitcnt_depctr 0xfff
	v_mul_f32_e32 v1, 0x5f7ffffc, v1
	s_delay_alu instid0(VALU_DEP_1) | instskip(NEXT) | instid1(VALU_DEP_1)
	v_mul_f32_e32 v2, 0x2f800000, v1
	v_trunc_f32_e32 v2, v2
	s_delay_alu instid0(VALU_DEP_1) | instskip(SKIP_1) | instid1(VALU_DEP_2)
	v_fmamk_f32 v1, v2, 0xcf800000, v1
	v_cvt_u32_f32_e32 v2, v2
	v_cvt_u32_f32_e32 v1, v1
	s_delay_alu instid0(VALU_DEP_2) | instskip(NEXT) | instid1(VALU_DEP_2)
	v_readfirstlane_b32 s12, v2
	v_readfirstlane_b32 s17, v1
	s_delay_alu instid0(VALU_DEP_2) | instskip(NEXT) | instid1(VALU_DEP_1)
	s_mul_i32 s21, s18, s12
	s_mul_hi_u32 s23, s18, s17
	s_mul_i32 s22, s19, s17
	s_add_i32 s21, s23, s21
	s_mul_i32 s24, s18, s17
	s_add_i32 s21, s21, s22
	s_mul_hi_u32 s23, s17, s24
	s_mul_hi_u32 s25, s12, s24
	s_mul_i32 s22, s12, s24
	s_mul_hi_u32 s24, s17, s21
	s_mul_i32 s17, s17, s21
	s_mul_hi_u32 s26, s12, s21
	s_add_u32 s17, s23, s17
	s_addc_u32 s23, 0, s24
	s_add_u32 s17, s17, s22
	s_mul_i32 s21, s12, s21
	s_addc_u32 s17, s23, s25
	s_addc_u32 s22, s26, 0
	s_add_u32 s17, s17, s21
	s_addc_u32 s21, 0, s22
	v_add_co_u32 v1, s17, v1, s17
	s_delay_alu instid0(VALU_DEP_1) | instskip(SKIP_1) | instid1(VALU_DEP_1)
	s_cmp_lg_u32 s17, 0
	s_addc_u32 s12, s12, s21
	v_readfirstlane_b32 s17, v1
	s_mul_i32 s21, s18, s12
	s_delay_alu instid0(VALU_DEP_1)
	s_mul_hi_u32 s22, s18, s17
	s_mul_i32 s19, s19, s17
	s_add_i32 s21, s22, s21
	s_mul_i32 s18, s18, s17
	s_add_i32 s21, s21, s19
	s_mul_hi_u32 s22, s12, s18
	s_mul_i32 s23, s12, s18
	s_mul_hi_u32 s18, s17, s18
	s_mul_hi_u32 s24, s17, s21
	s_mul_i32 s17, s17, s21
	s_mul_hi_u32 s19, s12, s21
	s_add_u32 s17, s18, s17
	s_addc_u32 s18, 0, s24
	s_add_u32 s17, s17, s23
	s_mul_i32 s21, s12, s21
	s_addc_u32 s17, s18, s22
	s_addc_u32 s18, s19, 0
	s_add_u32 s17, s17, s21
	s_addc_u32 s18, 0, s18
	v_add_co_u32 v1, s17, v1, s17
	s_delay_alu instid0(VALU_DEP_1) | instskip(SKIP_2) | instid1(SALU_CYCLE_1)
	s_cmp_lg_u32 s17, 0
	s_addc_u32 s12, s12, s18
	s_ashr_i32 s18, s3, 31
	s_add_u32 s22, s11, s18
	s_addc_u32 s23, s3, s18
	v_readfirstlane_b32 s3, v1
	s_mov_b32 s19, s18
	s_delay_alu instid0(SALU_CYCLE_1) | instskip(NEXT) | instid1(SALU_CYCLE_1)
	s_xor_b64 s[22:23], s[22:23], s[18:19]
	s_mul_i32 s21, s22, s12
	s_delay_alu instid0(VALU_DEP_1)
	s_mul_hi_u32 s24, s22, s3
	s_mul_hi_u32 s17, s22, s12
	;; [unrolled: 1-line block ×3, first 2 shown]
	s_mul_i32 s3, s23, s3
	s_add_u32 s21, s24, s21
	s_addc_u32 s17, 0, s17
	s_mul_hi_u32 s25, s23, s12
	s_add_u32 s3, s21, s3
	s_mul_i32 s12, s23, s12
	s_addc_u32 s3, s17, s26
	s_addc_u32 s17, s25, 0
	s_add_u32 s3, s3, s12
	s_addc_u32 s12, 0, s17
	s_mul_i32 s21, s20, s3
	s_add_u32 s17, s3, 1
	v_sub_co_u32 v1, s21, s22, s21
	s_mul_hi_u32 s22, s20, s3
	s_addc_u32 s24, s12, 0
	s_mul_i32 s25, s20, s12
	s_delay_alu instid0(VALU_DEP_1)
	v_sub_co_u32 v2, s26, v1, s20
	s_add_u32 s27, s3, 2
	s_addc_u32 s28, s12, 0
	s_add_i32 s22, s22, s25
	s_cmp_lg_u32 s21, 0
	v_readfirstlane_b32 s21, v2
	s_subb_u32 s22, s23, s22
	s_cmp_lg_u32 s26, 0
	s_subb_u32 s23, s22, 0
	s_delay_alu instid0(VALU_DEP_1) | instskip(SKIP_4) | instid1(SALU_CYCLE_1)
	s_cmp_ge_u32 s21, s20
	s_cselect_b32 s21, -1, 0
	s_cmp_eq_u32 s23, 0
	v_readfirstlane_b32 s23, v1
	s_cselect_b32 s21, s21, -1
	s_cmp_lg_u32 s21, 0
	s_cselect_b32 s17, s27, s17
	s_cselect_b32 s21, s28, s24
	s_cmp_ge_u32 s23, s20
	s_cselect_b32 s23, -1, 0
	s_cmp_eq_u32 s22, 0
	s_cselect_b32 s22, s23, -1
	s_delay_alu instid0(SALU_CYCLE_1) | instskip(SKIP_2) | instid1(SALU_CYCLE_1)
	s_cmp_lg_u32 s22, 0
	s_cselect_b32 s23, s21, s12
	s_cselect_b32 s22, s17, s3
	s_xor_b64 s[22:23], s[22:23], s[18:19]
	s_delay_alu instid0(SALU_CYCLE_1)
	s_sub_u32 s18, s22, s18
	s_and_not1_b32 vcc_lo, exec_lo, s2
	s_cbranch_vccnz .LBB29_6
.LBB29_5:
	v_cvt_f32_u32_e32 v1, s20
	s_sub_i32 s3, 0, s20
	s_delay_alu instid0(VALU_DEP_1) | instskip(SKIP_2) | instid1(VALU_DEP_1)
	v_rcp_iflag_f32_e32 v1, v1
	s_waitcnt_depctr 0xfff
	v_mul_f32_e32 v1, 0x4f7ffffe, v1
	v_cvt_u32_f32_e32 v1, v1
	s_delay_alu instid0(VALU_DEP_1) | instskip(NEXT) | instid1(VALU_DEP_1)
	v_readfirstlane_b32 s2, v1
	s_mul_i32 s3, s3, s2
	s_delay_alu instid0(SALU_CYCLE_1) | instskip(NEXT) | instid1(SALU_CYCLE_1)
	s_mul_hi_u32 s3, s2, s3
	s_add_i32 s2, s2, s3
	s_delay_alu instid0(SALU_CYCLE_1) | instskip(NEXT) | instid1(SALU_CYCLE_1)
	s_mul_hi_u32 s2, s11, s2
	s_mul_i32 s3, s2, s20
	s_delay_alu instid0(SALU_CYCLE_1)
	s_sub_i32 s3, s11, s3
	s_add_i32 s11, s2, 1
	s_sub_i32 s12, s3, s20
	s_cmp_ge_u32 s3, s20
	s_cselect_b32 s2, s11, s2
	s_cselect_b32 s3, s12, s3
	s_add_i32 s11, s2, 1
	s_cmp_ge_u32 s3, s20
	s_cselect_b32 s18, s11, s2
.LBB29_6:
	s_delay_alu instid0(SALU_CYCLE_1) | instskip(SKIP_3) | instid1(SALU_CYCLE_1)
	s_cmp_eq_u32 s16, s18
	s_mul_hi_u32 s2, s16, s8
	s_cselect_b32 s3, -1, 0
	s_add_i32 s2, s2, s16
	s_lshr_b32 s11, s2, s9
	s_delay_alu instid0(SALU_CYCLE_1) | instskip(NEXT) | instid1(SALU_CYCLE_1)
	s_mul_i32 s2, s11, s10
	s_cmp_eq_u32 s2, s16
	s_mul_hi_u32 s2, s18, s8
	s_cselect_b32 s12, -1, 0
	s_add_i32 s2, s2, s18
	s_delay_alu instid0(SALU_CYCLE_1) | instskip(NEXT) | instid1(SALU_CYCLE_1)
	s_lshr_b32 s2, s2, s9
	s_cmp_eq_u32 s11, s2
	s_mul_i32 s2, s2, s10
	s_cselect_b32 s17, -1, 0
	s_cmp_lg_u32 s2, s18
	s_cselect_b32 s2, -1, 0
	s_or_b32 s3, s3, s12
	s_and_b32 s2, s17, s2
	s_delay_alu instid0(SALU_CYCLE_1) | instskip(NEXT) | instid1(SALU_CYCLE_1)
	s_or_b32 s2, s3, s2
	s_and_b32 vcc_lo, exec_lo, s2
	s_cbranch_vccnz .LBB29_24
; %bb.7:
	s_load_b256 s[24:31], s[0:1], 0x20
	s_waitcnt lgkmcnt(0)
	s_mul_hi_u32 s2, s16, s24
	s_delay_alu instid0(SALU_CYCLE_1) | instskip(NEXT) | instid1(SALU_CYCLE_1)
	s_add_i32 s2, s2, s16
	s_lshr_b32 s17, s2, s25
	s_load_b32 s2, s[0:1], 0x40
	s_mul_i32 s3, s17, s26
	s_delay_alu instid0(SALU_CYCLE_1) | instskip(NEXT) | instid1(SALU_CYCLE_1)
	s_sub_i32 s3, s16, s3
	s_mul_hi_u32 s12, s3, s27
	s_delay_alu instid0(SALU_CYCLE_1) | instskip(NEXT) | instid1(SALU_CYCLE_1)
	s_add_i32 s12, s3, s12
	s_lshr_b32 s19, s12, s28
	s_delay_alu instid0(SALU_CYCLE_1) | instskip(NEXT) | instid1(SALU_CYCLE_1)
	s_mul_i32 s12, s19, s29
	s_sub_i32 s3, s3, s12
	s_delay_alu instid0(SALU_CYCLE_1) | instskip(NEXT) | instid1(SALU_CYCLE_1)
	s_mul_hi_u32 s12, s3, s30
	s_add_i32 s12, s3, s12
	s_delay_alu instid0(SALU_CYCLE_1)
	s_lshr_b32 s12, s12, s31
	s_waitcnt lgkmcnt(0)
	s_mul_i32 s2, s12, s2
	s_lshl_b32 s21, s12, 2
	s_sub_i32 s2, s3, s2
	s_mov_b32 s12, 0
	s_mul_hi_u32 s3, s2, s8
	s_delay_alu instid0(SALU_CYCLE_1) | instskip(NEXT) | instid1(SALU_CYCLE_1)
	s_add_i32 s2, s2, s3
	s_lshr_b32 s18, s2, s9
	s_delay_alu instid0(SALU_CYCLE_1) | instskip(NEXT) | instid1(SALU_CYCLE_1)
	s_lshl_b32 s2, s18, 1
	s_add_i32 s2, s2, s14
	s_delay_alu instid0(SALU_CYCLE_1) | instskip(SKIP_2) | instid1(SALU_CYCLE_1)
	s_cmp_lt_i32 s2, s4
	s_cselect_b32 s2, -1, 0
	s_add_i32 s21, s21, s15
	s_cmp_lt_i32 s21, s6
	s_cselect_b32 s3, -1, 0
	s_delay_alu instid0(SALU_CYCLE_1) | instskip(NEXT) | instid1(SALU_CYCLE_1)
	s_and_b32 s2, s2, s3
	s_and_not1_b32 vcc_lo, exec_lo, s2
	s_cbranch_vccnz .LBB29_24
; %bb.8:
	s_load_b128 s[0:3], s[0:1], 0x0
	s_lshl_b32 s22, s20, 5
	s_mov_b32 s23, s12
	s_lshl_b32 s24, s14, 2
	s_lshl_b64 s[22:23], s[22:23], 2
	s_mul_i32 s19, s19, s6
	s_mul_i32 s4, s17, s4
	s_add_i32 s6, s24, s15
	v_cvt_f32_ubyte0_e32 v3, 0
	v_cvt_f32_u32_e32 v4, s20
	s_waitcnt lgkmcnt(0)
	s_add_u32 s15, s2, s22
	s_addc_u32 s17, s3, s23
	s_add_i32 s4, s4, s14
	s_add_i32 s14, s21, s19
	s_mul_i32 s4, s4, s5
	s_mul_i32 s5, s5, s18
	s_add_i32 s4, s14, s4
	s_mulk_i32 s5, 0x50
	s_mul_i32 s4, s4, 40
	s_delay_alu instid0(SALU_CYCLE_1) | instskip(NEXT) | instid1(VALU_DEP_1)
	v_add3_u32 v1, s5, s4, v0
	v_ashrrev_i32_e32 v2, 31, v1
	s_delay_alu instid0(VALU_DEP_1) | instskip(NEXT) | instid1(VALU_DEP_1)
	v_lshlrev_b64 v[1:2], 2, v[1:2]
	v_add_co_u32 v1, vcc_lo, s0, v1
	s_delay_alu instid0(VALU_DEP_2) | instskip(SKIP_1) | instid1(SALU_CYCLE_1)
	v_add_co_ci_u32_e32 v2, vcc_lo, s1, v2, vcc_lo
	s_lshl_b32 s0, s13, 3
	s_add_i32 s0, s6, s0
	global_load_b32 v5, v[1:2], off
	s_ashr_i32 s1, s0, 31
	s_delay_alu instid0(SALU_CYCLE_1) | instskip(NEXT) | instid1(SALU_CYCLE_1)
	s_lshl_b64 s[0:1], s[0:1], 3
	s_add_u32 s0, s2, s0
	s_addc_u32 s1, s3, s1
	s_add_i32 s18, s13, -1
	s_load_b64 s[0:1], s[0:1], 0x0
	v_fmac_f32_e32 v4, 0x4f800000, v3
	s_sub_i32 s14, 0, s20
	s_delay_alu instid0(VALU_DEP_1)
	v_rcp_f32_e32 v3, v4
	s_waitcnt_depctr 0xfff
	v_mul_f32_e32 v6, 0x5f7ffffc, v3
	v_cvt_f32_u32_e32 v3, s20
	s_waitcnt lgkmcnt(0)
	v_mov_b32_e32 v8, s0
	s_delay_alu instid0(VALU_DEP_3) | instskip(NEXT) | instid1(VALU_DEP_3)
	v_mul_f32_e32 v4, 0x2f800000, v6
	v_rcp_iflag_f32_e32 v7, v3
	s_delay_alu instid0(VALU_DEP_1) | instskip(SKIP_1) | instid1(VALU_DEP_2)
	v_trunc_f32_e32 v9, v4
	v_mad_u64_u32 v[3:4], null, s6, 40, v[0:1]
	v_fmac_f32_e32 v6, 0xcf800000, v9
	s_waitcnt_depctr 0xfff
	v_dual_mul_f32 v10, 0x4f7ffffe, v7 :: v_dual_mov_b32 v7, s1
	v_cvt_u32_f32_e32 v4, v9
	v_cvt_u32_f32_e32 v0, v6
	s_delay_alu instid0(VALU_DEP_3)
	v_cvt_u32_f32_e32 v6, v10
.LBB29_9:                               ; =>This Inner Loop Header: Depth=1
	s_mul_hi_i32 s13, s18, s7
	s_mul_i32 s4, s18, s7
	s_cmp_lg_u64 s[12:13], 0
	s_mov_b32 s5, -1
                                        ; implicit-def: $sgpr0_sgpr1
	s_cbranch_scc0 .LBB29_11
; %bb.10:                               ;   in Loop: Header=BB29_9 Depth=1
	v_readfirstlane_b32 s0, v0
	v_readfirstlane_b32 s1, v4
	s_sub_u32 s5, 0, s20
	s_subb_u32 s19, 0, 0
	s_delay_alu instid0(VALU_DEP_2) | instskip(NEXT) | instid1(VALU_DEP_1)
	s_mul_hi_u32 s21, s5, s0
	s_mul_i32 s22, s5, s1
	s_mul_i32 s23, s19, s0
	s_add_i32 s21, s21, s22
	s_mul_i32 s22, s5, s0
	s_add_i32 s21, s21, s23
	s_mul_hi_u32 s23, s0, s22
	s_mul_i32 s24, s0, s21
	s_mul_hi_u32 s0, s0, s21
	s_add_u32 s23, s23, s24
	s_mul_i32 s25, s1, s22
	s_addc_u32 s0, 0, s0
	s_mul_hi_u32 s22, s1, s22
	s_mul_hi_u32 s24, s1, s21
	s_add_u32 s23, s23, s25
	s_addc_u32 s0, s0, s22
	s_mul_i32 s21, s1, s21
	s_addc_u32 s22, s24, 0
	s_add_u32 s0, s0, s21
	s_addc_u32 s21, 0, s22
	v_add_co_u32 v9, s0, v0, s0
	s_delay_alu instid0(VALU_DEP_1) | instskip(SKIP_1) | instid1(VALU_DEP_1)
	s_cmp_lg_u32 s0, 0
	s_addc_u32 s1, s1, s21
	v_readfirstlane_b32 s0, v9
	s_mul_i32 s21, s5, s1
	s_delay_alu instid0(VALU_DEP_1)
	s_mul_hi_u32 s22, s5, s0
	s_mul_i32 s19, s19, s0
	s_add_i32 s21, s22, s21
	s_mul_i32 s5, s5, s0
	s_add_i32 s21, s21, s19
	s_mul_hi_u32 s19, s1, s5
	s_mul_i32 s23, s1, s5
	s_mul_i32 s24, s0, s21
	s_mul_hi_u32 s5, s0, s5
	s_mul_hi_u32 s0, s0, s21
	s_add_u32 s5, s5, s24
	s_addc_u32 s0, 0, s0
	s_mul_hi_u32 s22, s1, s21
	s_add_u32 s5, s5, s23
	s_addc_u32 s0, s0, s19
	s_mul_i32 s5, s1, s21
	s_addc_u32 s19, s22, 0
	s_add_u32 s0, s0, s5
	s_addc_u32 s5, 0, s19
	v_add_co_u32 v9, s0, v9, s0
	s_delay_alu instid0(VALU_DEP_1) | instskip(SKIP_2) | instid1(SALU_CYCLE_1)
	s_cmp_lg_u32 s0, 0
	s_addc_u32 s5, s1, s5
	s_ashr_i32 s0, s13, 31
	s_add_u32 s22, s4, s0
	s_addc_u32 s23, s13, s0
	v_readfirstlane_b32 s13, v9
	s_mov_b32 s1, s0
	s_delay_alu instid0(SALU_CYCLE_1) | instskip(NEXT) | instid1(SALU_CYCLE_1)
	s_xor_b64 s[22:23], s[22:23], s[0:1]
	s_mul_i32 s19, s22, s5
	s_delay_alu instid0(VALU_DEP_1)
	s_mul_hi_u32 s21, s22, s13
	s_mul_hi_u32 s24, s22, s5
	s_add_u32 s19, s21, s19
	s_mul_i32 s25, s23, s13
	s_addc_u32 s21, 0, s24
	s_mul_hi_u32 s13, s23, s13
	s_mul_hi_u32 s24, s23, s5
	s_add_u32 s19, s19, s25
	s_addc_u32 s13, s21, s13
	s_mul_i32 s5, s23, s5
	s_addc_u32 s19, s24, 0
	s_add_u32 s5, s13, s5
	s_addc_u32 s13, 0, s19
	s_mul_i32 s21, s20, s5
	s_add_u32 s19, s5, 1
	v_sub_co_u32 v9, s21, s22, s21
	s_addc_u32 s22, s13, 0
	s_mul_i32 s25, s20, s13
	s_mul_hi_u32 s27, s20, s5
	s_delay_alu instid0(VALU_DEP_1)
	v_sub_co_u32 v10, s26, v9, s20
	s_add_u32 s24, s5, 2
	s_addc_u32 s28, s13, 0
	s_add_i32 s27, s27, s25
	s_cmp_lg_u32 s21, 0
	v_readfirstlane_b32 s21, v10
	s_subb_u32 s23, s23, s27
	s_cmp_lg_u32 s26, 0
	s_subb_u32 s25, s23, 0
	s_delay_alu instid0(VALU_DEP_1) | instskip(SKIP_4) | instid1(SALU_CYCLE_1)
	s_cmp_ge_u32 s21, s20
	s_cselect_b32 s21, -1, 0
	s_cmp_eq_u32 s25, 0
	v_readfirstlane_b32 s25, v9
	s_cselect_b32 s21, s21, -1
	s_cmp_lg_u32 s21, 0
	s_cselect_b32 s19, s24, s19
	s_cselect_b32 s21, s28, s22
	s_cmp_ge_u32 s25, s20
	s_cselect_b32 s22, -1, 0
	s_cmp_eq_u32 s23, 0
	s_cselect_b32 s22, s22, -1
	s_delay_alu instid0(SALU_CYCLE_1) | instskip(SKIP_4) | instid1(SALU_CYCLE_1)
	s_cmp_lg_u32 s22, 0
	s_cselect_b32 s23, s21, s13
	s_cselect_b32 s22, s19, s5
	s_mov_b32 s5, 0
	s_xor_b64 s[22:23], s[22:23], s[0:1]
	s_sub_u32 s0, s22, s0
.LBB29_11:                              ;   in Loop: Header=BB29_9 Depth=1
	s_and_not1_b32 vcc_lo, exec_lo, s5
	s_cbranch_vccnz .LBB29_13
; %bb.12:                               ;   in Loop: Header=BB29_9 Depth=1
	v_readfirstlane_b32 s0, v6
	s_delay_alu instid0(VALU_DEP_1) | instskip(NEXT) | instid1(SALU_CYCLE_1)
	s_mul_i32 s1, s14, s0
	s_mul_hi_u32 s1, s0, s1
	s_delay_alu instid0(SALU_CYCLE_1) | instskip(NEXT) | instid1(SALU_CYCLE_1)
	s_add_i32 s0, s0, s1
	s_mul_hi_u32 s0, s4, s0
	s_delay_alu instid0(SALU_CYCLE_1) | instskip(NEXT) | instid1(SALU_CYCLE_1)
	s_mul_i32 s1, s0, s20
	s_sub_i32 s1, s4, s1
	s_add_i32 s4, s0, 1
	s_sub_i32 s5, s1, s20
	s_cmp_ge_u32 s1, s20
	s_cselect_b32 s0, s4, s0
	s_cselect_b32 s1, s5, s1
	s_add_i32 s4, s0, 1
	s_cmp_ge_u32 s1, s20
	s_cselect_b32 s0, s4, s0
.LBB29_13:                              ;   in Loop: Header=BB29_9 Depth=1
	s_delay_alu instid0(SALU_CYCLE_1)
	s_cmp_lg_u32 s16, s0
	s_cbranch_scc0 .LBB29_17
; %bb.14:                               ;   in Loop: Header=BB29_9 Depth=1
	s_add_i32 s1, s18, s20
	s_mov_b32 s5, s12
	s_lshl_b32 s1, s1, 3
	s_mov_b32 s19, s16
	s_add_i32 s4, s1, s6
	s_mul_hi_u32 s1, s0, s8
	s_lshl_b64 s[4:5], s[4:5], 3
	s_delay_alu instid0(SALU_CYCLE_1) | instskip(SKIP_2) | instid1(SALU_CYCLE_1)
	s_add_u32 s4, s2, s4
	s_addc_u32 s5, s3, s5
	s_add_i32 s1, s1, s0
	s_lshr_b32 s1, s1, s9
	s_delay_alu instid0(SALU_CYCLE_1) | instskip(NEXT) | instid1(SALU_CYCLE_1)
	s_mul_i32 s13, s1, s10
	s_cmp_eq_u32 s13, s0
	s_cselect_b32 s13, -1, 0
	s_cmp_lt_u32 s1, s11
	s_cselect_b32 s1, -1, 0
	s_delay_alu instid0(SALU_CYCLE_1)
	s_or_b32 s1, s1, s13
	s_mov_b32 s13, -1
	s_and_b32 vcc_lo, exec_lo, s1
	s_mov_b32 s1, s18
	s_cbranch_vccnz .LBB29_16
; %bb.15:                               ;   in Loop: Header=BB29_9 Depth=1
	s_add_i32 s1, s18, -1
	s_mov_b32 s13, 0
	s_mov_b32 s19, s0
.LBB29_16:                              ;   in Loop: Header=BB29_9 Depth=1
	v_mad_u64_u32 v[9:10], null, 0x140, s18, v[3:4]
	s_load_b64 s[4:5], s[4:5], 0x0
	s_delay_alu instid0(VALU_DEP_1) | instskip(NEXT) | instid1(VALU_DEP_1)
	v_ashrrev_i32_e32 v10, 31, v9
	v_lshlrev_b64 v[9:10], 2, v[9:10]
	s_delay_alu instid0(VALU_DEP_1) | instskip(NEXT) | instid1(VALU_DEP_2)
	v_add_co_u32 v9, vcc_lo, s15, v9
	v_add_co_ci_u32_e32 v10, vcc_lo, s17, v10, vcc_lo
	s_waitcnt lgkmcnt(0)
	v_max_f32_e64 v11, s4, s4
	global_load_b32 v10, v[9:10], off
	v_max_f32_e32 v9, v8, v8
	s_delay_alu instid0(VALU_DEP_1) | instskip(NEXT) | instid1(VALU_DEP_1)
	v_max_f32_e32 v9, v9, v11
	v_sub_f32_e32 v12, v8, v9
	s_delay_alu instid0(VALU_DEP_1) | instskip(NEXT) | instid1(VALU_DEP_1)
	v_dual_mul_f32 v14, 0x3fb8aa3b, v12 :: v_dual_sub_f32 v11, s4, v9
	v_rndne_f32_e32 v18, v14
	s_delay_alu instid0(VALU_DEP_2) | instskip(SKIP_2) | instid1(VALU_DEP_4)
	v_mul_f32_e32 v13, 0x3fb8aa3b, v11
	v_fma_f32 v17, 0x3fb8aa3b, v12, -v14
	v_cmp_ngt_f32_e32 vcc_lo, 0xc2ce8ed0, v11
	v_sub_f32_e32 v14, v14, v18
	s_delay_alu instid0(VALU_DEP_4) | instskip(SKIP_2) | instid1(VALU_DEP_3)
	v_fma_f32 v15, 0x3fb8aa3b, v11, -v13
	v_rndne_f32_e32 v16, v13
	v_fmac_f32_e32 v17, 0x32a5705f, v12
	v_fmac_f32_e32 v15, 0x32a5705f, v11
	s_delay_alu instid0(VALU_DEP_2) | instskip(NEXT) | instid1(VALU_DEP_1)
	v_dual_sub_f32 v13, v13, v16 :: v_dual_add_f32 v14, v14, v17
	v_add_f32_e32 v13, v13, v15
	s_delay_alu instid0(VALU_DEP_2) | instskip(SKIP_2) | instid1(VALU_DEP_3)
	v_exp_f32_e32 v14, v14
	v_cvt_i32_f32_e32 v15, v16
	v_cvt_i32_f32_e32 v16, v18
	v_exp_f32_e32 v13, v13
	s_waitcnt_depctr 0xfff
	v_ldexp_f32 v14, v14, v16
	v_ldexp_f32 v13, v13, v15
	s_delay_alu instid0(VALU_DEP_1) | instskip(SKIP_1) | instid1(VALU_DEP_4)
	v_cndmask_b32_e32 v13, 0, v13, vcc_lo
	v_cmp_ngt_f32_e32 vcc_lo, 0xc2ce8ed0, v12
	v_cndmask_b32_e32 v14, 0, v14, vcc_lo
	v_cmp_nlt_f32_e32 vcc_lo, 0x42b17218, v11
	s_delay_alu instid0(VALU_DEP_4) | instskip(SKIP_1) | instid1(VALU_DEP_4)
	v_cndmask_b32_e32 v13, 0x7f800000, v13, vcc_lo
	v_cmp_nlt_f32_e32 vcc_lo, 0x42b17218, v12
	v_cndmask_b32_e32 v14, 0x7f800000, v14, vcc_lo
	v_cmp_le_f32_e32 vcc_lo, 0xc1a00000, v11
	s_delay_alu instid0(VALU_DEP_4) | instskip(SKIP_1) | instid1(VALU_DEP_4)
	v_cndmask_b32_e32 v11, 0, v13, vcc_lo
	v_cmp_le_f32_e32 vcc_lo, 0xc1a00000, v12
	v_cndmask_b32_e32 v12, 0, v14, vcc_lo
	s_waitcnt vmcnt(0)
	s_delay_alu instid0(VALU_DEP_3) | instskip(NEXT) | instid1(VALU_DEP_1)
	v_mul_f32_e32 v10, v10, v11
	v_dual_mul_f32 v11, s5, v11 :: v_dual_fmac_f32 v10, v5, v12
	s_delay_alu instid0(VALU_DEP_1)
	v_fmac_f32_e32 v11, v7, v12
	s_cbranch_execz .LBB29_18
	s_branch .LBB29_19
.LBB29_17:                              ;   in Loop: Header=BB29_9 Depth=1
                                        ; implicit-def: $sgpr13
                                        ; implicit-def: $vgpr10
                                        ; implicit-def: $vgpr9
                                        ; implicit-def: $vgpr11
                                        ; implicit-def: $sgpr1
                                        ; implicit-def: $sgpr19
.LBB29_18:                              ;   in Loop: Header=BB29_9 Depth=1
	s_waitcnt vmcnt(0)
	v_dual_mov_b32 v11, v7 :: v_dual_mov_b32 v10, v5
	v_mov_b32_e32 v9, v8
	s_add_i32 s1, s18, -1
	s_mov_b32 s13, 0
	s_mov_b32 s19, s16
.LBB29_19:                              ;   in Loop: Header=BB29_9 Depth=1
	s_and_not1_b32 vcc_lo, exec_lo, s13
	s_cbranch_vccz .LBB29_23
; %bb.20:                               ;   in Loop: Header=BB29_9 Depth=1
	v_dual_mov_b32 v7, v11 :: v_dual_mov_b32 v8, v9
	s_waitcnt vmcnt(0)
	v_mov_b32_e32 v5, v10
	s_mov_b32 s16, s19
	s_mov_b32 s18, s1
	s_branch .LBB29_9
.LBB29_21:
                                        ; implicit-def: $sgpr16_sgpr17
	s_load_b128 s[8:11], s[0:1], 0x44
	s_branch .LBB29_2
.LBB29_22:
                                        ; implicit-def: $sgpr18_sgpr19
	s_branch .LBB29_5
.LBB29_23:
	v_div_scale_f32 v0, null, v11, v11, v10
	s_delay_alu instid0(VALU_DEP_1) | instskip(SKIP_2) | instid1(VALU_DEP_1)
	v_rcp_f32_e32 v3, v0
	s_waitcnt_depctr 0xfff
	v_fma_f32 v4, -v0, v3, 1.0
	v_fmac_f32_e32 v3, v4, v3
	v_div_scale_f32 v4, vcc_lo, v10, v11, v10
	s_waitcnt vmcnt(0)
	s_delay_alu instid0(VALU_DEP_1) | instskip(NEXT) | instid1(VALU_DEP_1)
	v_mul_f32_e32 v5, v4, v3
	v_fma_f32 v6, -v0, v5, v4
	s_delay_alu instid0(VALU_DEP_1) | instskip(NEXT) | instid1(VALU_DEP_1)
	v_fmac_f32_e32 v5, v6, v3
	v_fma_f32 v0, -v0, v5, v4
	s_delay_alu instid0(VALU_DEP_1) | instskip(NEXT) | instid1(VALU_DEP_1)
	v_div_fmas_f32 v0, v0, v3, v5
	v_div_fixup_f32 v0, v0, v11, v10
	global_store_b32 v[1:2], v0, off
.LBB29_24:
	s_nop 0
	s_sendmsg sendmsg(MSG_DEALLOC_VGPRS)
	s_endpgm
	.section	.rodata,"a",@progbits
	.p2align	6, 0x0
	.amdhsa_kernel _ZL33flash_attn_stream_k_fixup_generalILi40ELi2ELi4EEvPfPK15HIP_vector_typeIfLj2EEiiiiS1_IjLj3EES5_S5_S5_
		.amdhsa_group_segment_fixed_size 0
		.amdhsa_private_segment_fixed_size 0
		.amdhsa_kernarg_size 336
		.amdhsa_user_sgpr_count 13
		.amdhsa_user_sgpr_dispatch_ptr 0
		.amdhsa_user_sgpr_queue_ptr 0
		.amdhsa_user_sgpr_kernarg_segment_ptr 1
		.amdhsa_user_sgpr_dispatch_id 0
		.amdhsa_user_sgpr_private_segment_size 0
		.amdhsa_wavefront_size32 1
		.amdhsa_uses_dynamic_stack 0
		.amdhsa_enable_private_segment 0
		.amdhsa_system_sgpr_workgroup_id_x 1
		.amdhsa_system_sgpr_workgroup_id_y 1
		.amdhsa_system_sgpr_workgroup_id_z 1
		.amdhsa_system_sgpr_workgroup_info 0
		.amdhsa_system_vgpr_workitem_id 0
		.amdhsa_next_free_vgpr 19
		.amdhsa_next_free_sgpr 32
		.amdhsa_reserve_vcc 1
		.amdhsa_float_round_mode_32 0
		.amdhsa_float_round_mode_16_64 0
		.amdhsa_float_denorm_mode_32 3
		.amdhsa_float_denorm_mode_16_64 3
		.amdhsa_dx10_clamp 1
		.amdhsa_ieee_mode 1
		.amdhsa_fp16_overflow 0
		.amdhsa_workgroup_processor_mode 1
		.amdhsa_memory_ordered 1
		.amdhsa_forward_progress 0
		.amdhsa_shared_vgpr_count 0
		.amdhsa_exception_fp_ieee_invalid_op 0
		.amdhsa_exception_fp_denorm_src 0
		.amdhsa_exception_fp_ieee_div_zero 0
		.amdhsa_exception_fp_ieee_overflow 0
		.amdhsa_exception_fp_ieee_underflow 0
		.amdhsa_exception_fp_ieee_inexact 0
		.amdhsa_exception_int_div_zero 0
	.end_amdhsa_kernel
	.section	.text._ZL33flash_attn_stream_k_fixup_generalILi40ELi2ELi4EEvPfPK15HIP_vector_typeIfLj2EEiiiiS1_IjLj3EES5_S5_S5_,"axG",@progbits,_ZL33flash_attn_stream_k_fixup_generalILi40ELi2ELi4EEvPfPK15HIP_vector_typeIfLj2EEiiiiS1_IjLj3EES5_S5_S5_,comdat
.Lfunc_end29:
	.size	_ZL33flash_attn_stream_k_fixup_generalILi40ELi2ELi4EEvPfPK15HIP_vector_typeIfLj2EEiiiiS1_IjLj3EES5_S5_S5_, .Lfunc_end29-_ZL33flash_attn_stream_k_fixup_generalILi40ELi2ELi4EEvPfPK15HIP_vector_typeIfLj2EEiiiiS1_IjLj3EES5_S5_S5_
                                        ; -- End function
	.section	.AMDGPU.csdata,"",@progbits
; Kernel info:
; codeLenInByte = 3220
; NumSgprs: 34
; NumVgprs: 19
; ScratchSize: 0
; MemoryBound: 0
; FloatMode: 240
; IeeeMode: 1
; LDSByteSize: 0 bytes/workgroup (compile time only)
; SGPRBlocks: 4
; VGPRBlocks: 2
; NumSGPRsForWavesPerEU: 34
; NumVGPRsForWavesPerEU: 19
; Occupancy: 16
; WaveLimiterHint : 0
; COMPUTE_PGM_RSRC2:SCRATCH_EN: 0
; COMPUTE_PGM_RSRC2:USER_SGPR: 13
; COMPUTE_PGM_RSRC2:TRAP_HANDLER: 0
; COMPUTE_PGM_RSRC2:TGID_X_EN: 1
; COMPUTE_PGM_RSRC2:TGID_Y_EN: 1
; COMPUTE_PGM_RSRC2:TGID_Z_EN: 1
; COMPUTE_PGM_RSRC2:TIDIG_COMP_CNT: 0
	.section	.text._ZL15flash_attn_tileILi40ELi40ELi1ELi4ELb0EEvPKcS1_S1_S1_S1_PKiPfP15HIP_vector_typeIfLj2EEffffjfiS5_IjLj3EEiiiiiiiiiiiliiliiiiil,"axG",@progbits,_ZL15flash_attn_tileILi40ELi40ELi1ELi4ELb0EEvPKcS1_S1_S1_S1_PKiPfP15HIP_vector_typeIfLj2EEffffjfiS5_IjLj3EEiiiiiiiiiiiliiliiiiil,comdat
	.globl	_ZL15flash_attn_tileILi40ELi40ELi1ELi4ELb0EEvPKcS1_S1_S1_S1_PKiPfP15HIP_vector_typeIfLj2EEffffjfiS5_IjLj3EEiiiiiiiiiiiliiliiiiil ; -- Begin function _ZL15flash_attn_tileILi40ELi40ELi1ELi4ELb0EEvPKcS1_S1_S1_S1_PKiPfP15HIP_vector_typeIfLj2EEffffjfiS5_IjLj3EEiiiiiiiiiiiliiliiiiil
	.p2align	8
	.type	_ZL15flash_attn_tileILi40ELi40ELi1ELi4ELb0EEvPKcS1_S1_S1_S1_PKiPfP15HIP_vector_typeIfLj2EEffffjfiS5_IjLj3EEiiiiiiiiiiiliiliiiiil,@function
_ZL15flash_attn_tileILi40ELi40ELi1ELi4ELb0EEvPKcS1_S1_S1_S1_PKiPfP15HIP_vector_typeIfLj2EEffffjfiS5_IjLj3EEiiiiiiiiiiiliiliiiiil: ; @_ZL15flash_attn_tileILi40ELi40ELi1ELi4ELb0EEvPKcS1_S1_S1_S1_PKiPfP15HIP_vector_typeIfLj2EEffffjfiS5_IjLj3EEiiiiiiiiiiiliiliiiiil
; %bb.0:
	s_clause 0x1
	s_load_b128 s[4:7], s[0:1], 0x5c
	s_load_b64 s[34:35], s[0:1], 0x80
	s_mov_b64 s[36:37], 0
	s_waitcnt lgkmcnt(0)
	s_ashr_i32 s2, s7, 31
	s_delay_alu instid0(SALU_CYCLE_1) | instskip(NEXT) | instid1(SALU_CYCLE_1)
	s_lshr_b32 s2, s2, 30
	s_add_i32 s2, s7, s2
	s_delay_alu instid0(SALU_CYCLE_1) | instskip(NEXT) | instid1(SALU_CYCLE_1)
	s_ashr_i32 s2, s2, 2
	v_cvt_f32_u32_e32 v1, s2
	s_sub_i32 s8, 0, s2
	s_delay_alu instid0(VALU_DEP_1) | instskip(SKIP_2) | instid1(VALU_DEP_1)
	v_rcp_iflag_f32_e32 v1, v1
	s_waitcnt_depctr 0xfff
	v_mul_f32_e32 v1, 0x4f7ffffe, v1
	v_cvt_u32_f32_e32 v1, v1
	s_delay_alu instid0(VALU_DEP_1) | instskip(NEXT) | instid1(VALU_DEP_1)
	v_readfirstlane_b32 s3, v1
	s_mul_i32 s8, s8, s3
	s_delay_alu instid0(SALU_CYCLE_1) | instskip(NEXT) | instid1(SALU_CYCLE_1)
	s_mul_hi_u32 s8, s3, s8
	s_add_i32 s3, s3, s8
	s_delay_alu instid0(SALU_CYCLE_1) | instskip(NEXT) | instid1(SALU_CYCLE_1)
	s_mul_hi_u32 s3, s15, s3
	s_mul_i32 s8, s3, s2
	s_add_i32 s9, s3, 1
	s_sub_i32 s8, s15, s8
	s_delay_alu instid0(SALU_CYCLE_1)
	s_sub_i32 s10, s8, s2
	s_cmp_ge_u32 s8, s2
	s_cselect_b32 s3, s9, s3
	s_cselect_b32 s8, s10, s8
	s_add_i32 s9, s3, 1
	s_cmp_ge_u32 s8, s2
	s_cselect_b32 s12, s9, s3
	s_abs_i32 s2, s35
	s_abs_i32 s9, s7
	v_cvt_f32_u32_e32 v1, s2
	s_sub_i32 s8, 0, s2
	s_xor_b32 s10, s7, s35
	s_delay_alu instid0(SALU_CYCLE_1) | instskip(NEXT) | instid1(VALU_DEP_1)
	s_ashr_i32 s10, s10, 31
	v_rcp_iflag_f32_e32 v1, v1
	s_waitcnt_depctr 0xfff
	v_mul_f32_e32 v1, 0x4f7ffffe, v1
	s_delay_alu instid0(VALU_DEP_1) | instskip(NEXT) | instid1(VALU_DEP_1)
	v_cvt_u32_f32_e32 v1, v1
	v_readfirstlane_b32 s3, v1
	s_delay_alu instid0(VALU_DEP_1) | instskip(NEXT) | instid1(SALU_CYCLE_1)
	s_mul_i32 s8, s8, s3
	s_mul_hi_u32 s8, s3, s8
	s_delay_alu instid0(SALU_CYCLE_1) | instskip(SKIP_2) | instid1(SALU_CYCLE_1)
	s_add_i32 s3, s3, s8
	s_lshl_b32 s8, s15, 2
	s_mul_hi_u32 s3, s9, s3
	s_mul_i32 s11, s3, s2
	s_delay_alu instid0(SALU_CYCLE_1)
	s_sub_i32 s9, s9, s11
	s_add_i32 s11, s3, 1
	s_sub_i32 s15, s9, s2
	s_cmp_ge_u32 s9, s2
	s_cselect_b32 s3, s11, s3
	s_cselect_b32 s9, s15, s9
	s_add_i32 s11, s3, 1
	s_cmp_ge_u32 s9, s2
	s_mul_i32 s9, s12, s7
	s_cselect_b32 s2, s11, s3
	s_delay_alu instid0(SALU_CYCLE_1) | instskip(NEXT) | instid1(SALU_CYCLE_1)
	s_xor_b32 s2, s2, s10
	s_sub_i32 s35, s2, s10
	s_clause 0x1
	s_load_b512 s[16:31], s[0:1], 0x0
	s_load_b64 s[2:3], s[0:1], 0xb8
	s_abs_i32 s33, s35
	s_delay_alu instid0(SALU_CYCLE_1) | instskip(NEXT) | instid1(VALU_DEP_1)
	v_cvt_f32_u32_e32 v1, s33
	v_rcp_iflag_f32_e32 v1, v1
	s_waitcnt_depctr 0xfff
	v_mul_f32_e32 v1, 0x4f7ffffe, v1
	s_waitcnt lgkmcnt(0)
	s_cmp_eq_u64 s[22:23], 0
	s_delay_alu instid0(VALU_DEP_1) | instskip(NEXT) | instid1(VALU_DEP_1)
	v_cvt_u32_f32_e32 v1, v1
	v_readfirstlane_b32 s38, v1
	s_cbranch_scc1 .LBB30_2
; %bb.1:
	s_abs_i32 s2, s2
	s_abs_i32 s15, s12
	v_cvt_f32_u32_e32 v1, s2
	s_sub_i32 s11, 0, s2
	s_delay_alu instid0(VALU_DEP_1) | instskip(SKIP_2) | instid1(VALU_DEP_1)
	v_rcp_iflag_f32_e32 v1, v1
	s_waitcnt_depctr 0xfff
	v_mul_f32_e32 v1, 0x4f7ffffe, v1
	v_cvt_u32_f32_e32 v1, v1
	s_delay_alu instid0(VALU_DEP_1) | instskip(NEXT) | instid1(VALU_DEP_1)
	v_readfirstlane_b32 s10, v1
	s_mul_i32 s11, s11, s10
	s_delay_alu instid0(SALU_CYCLE_1) | instskip(NEXT) | instid1(SALU_CYCLE_1)
	s_mul_hi_u32 s11, s10, s11
	s_add_i32 s36, s10, s11
	s_load_b64 s[10:11], s[0:1], 0xc8
	s_mul_hi_u32 s36, s15, s36
	s_delay_alu instid0(SALU_CYCLE_1) | instskip(NEXT) | instid1(SALU_CYCLE_1)
	s_mul_i32 s36, s36, s2
	s_sub_i32 s15, s15, s36
	s_ashr_i32 s36, s12, 31
	s_sub_i32 s37, s15, s2
	s_cmp_ge_u32 s15, s2
	s_cselect_b32 s15, s37, s15
	s_delay_alu instid0(SALU_CYCLE_1) | instskip(SKIP_2) | instid1(SALU_CYCLE_1)
	s_sub_i32 s37, s15, s2
	s_cmp_ge_u32 s15, s2
	s_cselect_b32 s2, s37, s15
	s_xor_b32 s2, s2, s36
	s_delay_alu instid0(SALU_CYCLE_1)
	s_sub_i32 s2, s2, s36
	s_waitcnt lgkmcnt(0)
	s_mul_i32 s11, s2, s11
	s_mul_hi_u32 s15, s2, s10
	s_ashr_i32 s36, s2, 31
	s_add_i32 s11, s15, s11
	s_mul_i32 s36, s36, s10
	s_mul_i32 s2, s2, s10
	s_add_i32 s11, s11, s36
	s_add_u32 s36, s22, s2
	s_addc_u32 s37, s23, s11
.LBB30_2:
	v_bfe_u32 v2, v0, 10, 10
	v_and_b32_e32 v0, 0x3ff, v0
	s_sub_i32 s15, s8, s9
	s_delay_alu instid0(VALU_DEP_2) | instskip(SKIP_1) | instid1(VALU_DEP_3)
	v_lshrrev_b32_e32 v11, 2, v2
	v_and_b32_e32 v12, 3, v2
	v_cmp_gt_u32_e64 s2, 20, v0
	s_delay_alu instid0(VALU_DEP_3) | instskip(NEXT) | instid1(VALU_DEP_1)
	v_add_nc_u32_e32 v3, s13, v11
	v_mul_hi_u32 v4, s4, v3
	s_delay_alu instid0(VALU_DEP_3)
	s_and_saveexec_b32 s4, s2
	s_cbranch_execz .LBB30_4
; %bb.3:
	s_load_b128 s[8:11], s[0:1], 0x70
	s_delay_alu instid0(VALU_DEP_1) | instskip(NEXT) | instid1(VALU_DEP_1)
	v_add_nc_u32_e32 v1, v3, v4
	v_lshrrev_b32_e32 v1, s5, v1
	s_delay_alu instid0(VALU_DEP_1) | instskip(NEXT) | instid1(VALU_DEP_1)
	v_mul_lo_u32 v1, v1, s6
	v_sub_nc_u32_e32 v13, v3, v1
	s_waitcnt lgkmcnt(0)
	s_mul_i32 s10, s12, s10
	s_mul_i32 s11, s15, s9
	s_ashr_i32 s22, s10, 31
	s_add_u32 s10, s16, s10
	s_addc_u32 s16, s17, s22
	s_ashr_i32 s17, s11, 31
	s_add_u32 s10, s10, s11
	s_addc_u32 s11, s16, s17
	s_ashr_i32 s16, s9, 31
	s_delay_alu instid0(SALU_CYCLE_1) | instskip(SKIP_1) | instid1(SALU_CYCLE_1)
	v_alignbit_b32 v7, s16, s9, 2
	s_ashr_i32 s9, s8, 31
	v_alignbit_b32 v1, s9, s8, 2
	s_lshr_b32 s8, s16, 2
	s_delay_alu instid0(VALU_DEP_2) | instskip(NEXT) | instid1(VALU_DEP_2)
	v_mad_u64_u32 v[5:6], null, v7, v12, 0
	v_mad_u64_u32 v[7:8], null, v1, v13, 0
	s_delay_alu instid0(VALU_DEP_1) | instskip(NEXT) | instid1(VALU_DEP_1)
	v_dual_mov_b32 v1, v6 :: v_dual_mov_b32 v6, v8
	v_mad_u64_u32 v[8:9], null, s8, v12, v[1:2]
	s_lshr_b32 s8, s9, 2
	s_delay_alu instid0(VALU_DEP_2) | instid1(SALU_CYCLE_1)
	v_mad_u64_u32 v[9:10], null, s8, v13, v[6:7]
	s_load_b32 s8, s[0:1], 0x40
	s_delay_alu instid0(VALU_DEP_2) | instskip(NEXT) | instid1(VALU_DEP_2)
	v_mov_b32_e32 v6, v8
	v_mov_b32_e32 v8, v9
	s_delay_alu instid0(VALU_DEP_2) | instskip(NEXT) | instid1(VALU_DEP_2)
	v_lshlrev_b64 v[5:6], 2, v[5:6]
	v_lshlrev_b64 v[7:8], 2, v[7:8]
	s_delay_alu instid0(VALU_DEP_2) | instskip(NEXT) | instid1(VALU_DEP_3)
	v_add_co_u32 v1, vcc_lo, s10, v5
	v_add_co_ci_u32_e32 v5, vcc_lo, s11, v6, vcc_lo
	v_lshlrev_b32_e32 v6, 3, v0
	s_delay_alu instid0(VALU_DEP_3) | instskip(NEXT) | instid1(VALU_DEP_3)
	v_add_co_u32 v1, vcc_lo, v1, v7
	v_add_co_ci_u32_e32 v7, vcc_lo, v5, v8, vcc_lo
	s_delay_alu instid0(VALU_DEP_2) | instskip(NEXT) | instid1(VALU_DEP_2)
	v_add_co_u32 v5, vcc_lo, v1, v6
	v_add_co_ci_u32_e32 v6, vcc_lo, 0, v7, vcc_lo
	global_load_b64 v[5:6], v[5:6], off
	s_waitcnt vmcnt(0) lgkmcnt(0)
	v_fma_mixlo_f16 v1, v5, s8, 0
	v_mul_u32_u24_e32 v5, 20, v2
	s_delay_alu instid0(VALU_DEP_2) | instskip(NEXT) | instid1(VALU_DEP_2)
	v_fma_mixhi_f16 v1, v6, s8, 0
	v_add_lshl_u32 v5, v5, v0, 2
	ds_store_b32 v5, v1 offset:3168
.LBB30_4:
	s_or_b32 exec_lo, exec_lo, s4
	s_cmp_eq_u64 s[26:27], 0
	s_waitcnt lgkmcnt(0)
	s_barrier
	buffer_gl0_inv
	s_cbranch_scc1 .LBB30_6
; %bb.5:
	s_load_b32 s4, s[0:1], 0xd0
	s_mov_b32 s9, 0
	s_waitcnt lgkmcnt(0)
	s_mul_i32 s4, s4, s12
	s_delay_alu instid0(SALU_CYCLE_1) | instskip(NEXT) | instid1(SALU_CYCLE_1)
	s_add_i32 s8, s4, s13
	s_lshl_b64 s[8:9], s[8:9], 2
	s_delay_alu instid0(SALU_CYCLE_1)
	s_add_u32 s8, s26, s8
	s_addc_u32 s9, s27, s9
	s_load_b32 s34, s[8:9], 0x0
.LBB30_6:
	v_mbcnt_lo_u32_b32 v13, -1, 0
	s_lshl_b32 s16, s14, 5
	s_waitcnt lgkmcnt(0)
	s_cmp_lt_i32 s16, s34
	s_cbranch_scc1 .LBB30_8
; %bb.7:
	v_mbcnt_lo_u32_b32 v5, -1, 0
	v_mov_b32_e32 v15, 32
	s_mov_b32 s4, 0
	s_mov_b32 s8, 0xfeffffff
	s_delay_alu instid0(VALU_DEP_2)
	v_xor_b32_e32 v20, 16, v5
	v_xor_b32_e32 v19, 8, v5
	;; [unrolled: 1-line block ×5, first 2 shown]
	s_branch .LBB30_9
.LBB30_8:
	s_mov_b32 s4, -1
                                        ; implicit-def: $sgpr8
                                        ; implicit-def: $vgpr5
                                        ; implicit-def: $vgpr15
                                        ; implicit-def: $vgpr20
                                        ; implicit-def: $vgpr19
                                        ; implicit-def: $vgpr18
                                        ; implicit-def: $vgpr17
                                        ; implicit-def: $vgpr16
.LBB30_9:
	s_delay_alu instid0(SALU_CYCLE_1) | instskip(SKIP_1) | instid1(VALU_DEP_2)
	v_cndmask_b32_e64 v1, 0, 1, s4
	v_dual_mov_b32 v14, s4 :: v_dual_mov_b32 v33, s4
	v_cmp_ne_u32_e32 vcc_lo, 1, v1
	v_mov_b32_e32 v1, s8
	s_cbranch_vccnz .LBB30_18
; %bb.10:
	s_clause 0x1
	s_load_b64 s[22:23], s[0:1], 0x8c
	s_load_b128 s[8:11], s[0:1], 0x98
	s_sub_i32 s4, 0, s33
	s_abs_i32 s39, s15
	s_mul_i32 s4, s4, s38
	v_dual_mov_b32 v14, 0 :: v_dual_lshlrev_b32 v21, 2, v0
	s_mul_hi_u32 s4, s38, s4
	s_ashr_i32 s40, s15, 31
	s_add_i32 s38, s38, s4
	s_ashr_i32 s35, s35, 31
	s_mul_hi_u32 s4, s39, s38
	s_ashr_i32 s38, s12, 31
	s_load_b64 s[26:27], s[0:1], 0xa8
	s_ashr_i32 s3, s3, 1
	s_mul_i32 s41, s4, s33
	v_add_nc_u32_e32 v4, v3, v4
	v_dual_mov_b32 v32, 0xfeffffff :: v_dual_and_b32 v15, 12, v21
	v_lshrrev_b32_e32 v1, 2, v0
	s_waitcnt lgkmcnt(0)
	s_ashr_i32 s17, s22, 2
	s_mul_i32 s9, s12, s9
	s_mul_hi_u32 s22, s12, s8
	s_mul_i32 s42, s38, s8
	s_add_i32 s9, s22, s9
	s_mul_i32 s8, s12, s8
	s_ashr_i32 s10, s10, 2
	s_add_i32 s9, s9, s42
	s_add_u32 s8, s18, s8
	s_addc_u32 s9, s19, s9
	s_sub_i32 s19, s39, s41
	s_xor_b32 s18, s40, s35
	s_add_i32 s22, s4, 1
	s_sub_i32 s35, s19, s33
	s_cmp_ge_u32 s19, s33
	v_dual_mov_b32 v31, 0 :: v_dual_lshlrev_b32 v16, 2, v15
	v_dual_mov_b32 v15, 32 :: v_dual_lshlrev_b32 v30, 2, v15
	v_lshrrev_b32_e32 v4, s5, v4
	s_cselect_b32 s4, s22, s4
	s_cselect_b32 s19, s35, s19
	v_lshl_add_u32 v1, v2, 3, v1
	v_lshl_add_u32 v8, v2, 5, v0
	s_add_i32 s22, s4, 1
	s_cmp_ge_u32 s19, s33
	v_mul_lo_u32 v4, v4, s6
	s_cselect_b32 s4, s22, s4
	v_mul_lo_u32 v5, s17, v1
	v_mul_lo_u32 v7, s17, v8
	v_mul_lo_u32 v9, s10, v8
	v_mul_lo_u32 v33, s10, v1
	s_xor_b32 s4, s4, s18
	v_mad_u32_u24 v25, 0x60, v8, 64
	s_sub_i32 s4, s4, s18
	v_lshlrev_b32_e32 v10, 4, v8
	s_mul_i32 s22, s4, s23
	v_sub_nc_u32_e32 v4, v3, v4
	s_mul_i32 s19, s12, s27
	s_mul_hi_u32 s18, s12, s26
	s_ashr_i32 s23, s22, 31
	s_add_u32 s8, s8, s22
	v_cmp_gt_u32_e32 vcc_lo, 32, v8
	v_ashrrev_i32_e32 v6, 31, v5
	v_ashrrev_i32_e32 v8, 31, v7
	v_sub_nc_u32_e32 v28, v25, v10
	v_ashrrev_i32_e32 v10, 31, v9
	v_ashrrev_i32_e32 v34, 31, v33
	s_mul_i32 s38, s38, s26
	s_addc_u32 s9, s9, s23
	s_add_i32 s18, s18, s19
	v_lshl_add_u32 v26, v2, 6, 0xda0
	s_mul_i32 s19, s12, s26
	s_add_i32 s18, s18, s38
	s_mul_i32 s4, s4, s11
	v_mul_u32_u24_e32 v24, 0x50, v2
	v_mad_u64_u32 v[2:3], null, v4, s3, v[0:1]
	s_add_u32 s19, s20, s19
	s_addc_u32 s18, s21, s18
	s_ashr_i32 s5, s4, 31
	v_lshlrev_b64 v[3:4], 2, v[7:8]
	v_lshlrev_b64 v[5:6], 2, v[5:6]
	;; [unrolled: 1-line block ×4, first 2 shown]
	s_add_u32 s11, s19, s4
	v_mad_u32_u24 v22, 0x60, v1, v16
	v_mul_u32_u24_e32 v23, 0x60, v0
	v_lshl_add_u32 v27, v0, 1, v26
	v_mad_u32_u24 v29, 0x50, v1, v16
	v_xor_b32_e32 v20, 16, v13
	v_xor_b32_e32 v19, 8, v13
	;; [unrolled: 1-line block ×5, first 2 shown]
	s_addc_u32 s18, s18, s5
	s_add_u32 s4, s0, 0xd0
	s_addc_u32 s5, s1, 0
.LBB30_11:                              ; =>This Inner Loop Header: Depth=1
	s_mul_hi_i32 s21, s16, s17
	s_mul_i32 s20, s16, s17
	s_delay_alu instid0(SALU_CYCLE_1) | instskip(NEXT) | instid1(SALU_CYCLE_1)
	s_lshl_b64 s[20:21], s[20:21], 2
	s_add_u32 s19, s8, s20
	s_addc_u32 s20, s9, s21
	s_and_saveexec_b32 s21, vcc_lo
	s_cbranch_execz .LBB30_13
; %bb.12:                               ;   in Loop: Header=BB30_11 Depth=1
	v_add_co_u32 v33, s3, s19, v3
	s_delay_alu instid0(VALU_DEP_1)
	v_add_co_ci_u32_e64 v34, s3, s20, v4, s3
	global_load_b128 v[33:36], v[33:34], off offset:64
	s_waitcnt vmcnt(0)
	ds_store_b128 v25, v[33:36]
.LBB30_13:                              ;   in Loop: Header=BB30_11 Depth=1
	s_or_b32 exec_lo, exec_lo, s21
	v_add_co_u32 v1, s3, s19, v5
	s_delay_alu instid0(VALU_DEP_1) | instskip(SKIP_1) | instid1(VALU_DEP_3)
	v_add_co_ci_u32_e64 v34, s3, s20, v6, s3
	v_add_nc_u32_e32 v41, s16, v2
	v_add_co_u32 v33, s3, v1, v30
	s_delay_alu instid0(VALU_DEP_1) | instskip(SKIP_1) | instid1(VALU_DEP_4)
	v_add_co_ci_u32_e64 v34, s3, 0, v34, s3
	v_mov_b32_e32 v1, 0
	v_ashrrev_i32_e32 v42, 31, v41
	s_mul_hi_i32 s21, s16, s10
	global_load_b128 v[33:36], v[33:34], off
	s_mul_i32 s20, s16, s10
	v_lshlrev_b64 v[41:42], 1, v[41:42]
	s_lshl_b64 s[20:21], s[20:21], 2
	s_delay_alu instid0(SALU_CYCLE_1) | instskip(SKIP_1) | instid1(VALU_DEP_1)
	s_add_u32 s19, s11, s20
	s_addc_u32 s20, s18, s21
	v_add_co_u32 v41, s3, s36, v41
	s_delay_alu instid0(VALU_DEP_1)
	v_add_co_ci_u32_e64 v42, s3, s37, v42, s3
	v_cmp_gt_i32_e64 s3, 32, v20
	s_waitcnt vmcnt(0)
	ds_store_b128 v22, v[33:36]
	s_waitcnt lgkmcnt(0)
	s_barrier
	buffer_gl0_inv
	ds_load_b128 v[33:36], v23
	ds_load_b128 v[37:40], v24 offset:3168
	s_waitcnt lgkmcnt(0)
	;;#ASMSTART
	v_dot2_f32_f16 v1, v33, v37, v1
	;;#ASMEND
	;;#ASMSTART
	v_dot2_f32_f16 v1, v34, v38, v1
	;;#ASMEND
	;;#ASMSTART
	v_dot2_f32_f16 v1, v35, v39, v1
	;;#ASMEND
	;;#ASMSTART
	v_dot2_f32_f16 v1, v36, v40, v1
	;;#ASMEND
	ds_load_b128 v[33:36], v23 offset:16
	ds_load_b128 v[37:40], v24 offset:3184
	s_waitcnt lgkmcnt(0)
	;;#ASMSTART
	v_dot2_f32_f16 v1, v33, v37, v1
	;;#ASMEND
	;;#ASMSTART
	v_dot2_f32_f16 v1, v34, v38, v1
	;;#ASMEND
	;;#ASMSTART
	v_dot2_f32_f16 v1, v35, v39, v1
	;;#ASMEND
	;;#ASMSTART
	v_dot2_f32_f16 v1, v36, v40, v1
	;;#ASMEND
	ds_load_b128 v[33:36], v23 offset:32
	;; [unrolled: 15-line block ×4, first 2 shown]
	ds_load_b128 v[37:40], v24 offset:3232
	s_waitcnt lgkmcnt(0)
	;;#ASMSTART
	v_dot2_f32_f16 v1, v33, v37, v1
	;;#ASMEND
	;;#ASMSTART
	v_dot2_f32_f16 v1, v34, v38, v1
	;;#ASMEND
	;;#ASMSTART
	v_dot2_f32_f16 v1, v35, v39, v1
	;;#ASMEND
	;;#ASMSTART
	v_dot2_f32_f16 v1, v36, v40, v1
	;;#ASMEND
	flat_load_u16 v33, v[41:42]
	v_cndmask_b32_e64 v34, v13, v20, s3
	v_cmp_gt_i32_e64 s3, 32, v19
	s_waitcnt vmcnt(0) lgkmcnt(0)
	s_barrier
	buffer_gl0_inv
	v_lshlrev_b32_e32 v34, 2, v34
	v_cvt_f32_f16_e32 v33, v33
	s_delay_alu instid0(VALU_DEP_1) | instskip(SKIP_1) | instid1(VALU_DEP_2)
	v_add_f32_e32 v33, v1, v33
	v_max_f32_e32 v1, v32, v32
	v_add_f32_e32 v35, 0x40051340, v33
	s_delay_alu instid0(VALU_DEP_1)
	v_max_f32_e32 v1, v1, v35
	v_cndmask_b32_e64 v35, v13, v19, s3
	v_cmp_gt_i32_e64 s3, 32, v18
	ds_bpermute_b32 v34, v34, v1
	s_waitcnt lgkmcnt(0)
	v_dual_max_f32 v34, v34, v34 :: v_dual_lshlrev_b32 v35, 2, v35
	s_delay_alu instid0(VALU_DEP_1) | instskip(SKIP_4) | instid1(VALU_DEP_2)
	v_max_f32_e32 v1, v1, v34
	ds_bpermute_b32 v34, v35, v1
	v_cndmask_b32_e64 v35, v13, v18, s3
	v_cmp_gt_i32_e64 s3, 32, v17
	s_waitcnt lgkmcnt(0)
	v_dual_max_f32 v34, v34, v34 :: v_dual_lshlrev_b32 v35, 2, v35
	s_delay_alu instid0(VALU_DEP_1) | instskip(SKIP_4) | instid1(VALU_DEP_2)
	v_max_f32_e32 v1, v1, v34
	ds_bpermute_b32 v34, v35, v1
	v_cndmask_b32_e64 v35, v13, v17, s3
	v_cmp_gt_i32_e64 s3, 32, v16
	s_waitcnt lgkmcnt(0)
	v_dual_max_f32 v34, v34, v34 :: v_dual_lshlrev_b32 v35, 2, v35
	s_delay_alu instid0(VALU_DEP_1) | instskip(SKIP_3) | instid1(VALU_DEP_1)
	v_max_f32_e32 v1, v1, v34
	ds_bpermute_b32 v34, v35, v1
	v_cndmask_b32_e64 v35, v13, v16, s3
	s_waitcnt lgkmcnt(0)
	v_dual_max_f32 v34, v34, v34 :: v_dual_lshlrev_b32 v35, 2, v35
	s_delay_alu instid0(VALU_DEP_1) | instskip(SKIP_3) | instid1(VALU_DEP_1)
	v_max_f32_e32 v1, v1, v34
	ds_bpermute_b32 v34, v35, v1
	s_waitcnt lgkmcnt(0)
	v_max_f32_e32 v34, v34, v34
	v_max_f32_e32 v1, v1, v34
	s_delay_alu instid0(VALU_DEP_1) | instskip(NEXT) | instid1(VALU_DEP_1)
	v_sub_f32_e32 v33, v33, v1
	v_mul_f32_e32 v34, 0x3fb8aa3b, v33
	v_cmp_ngt_f32_e64 s3, 0xc2ce8ed0, v33
	s_delay_alu instid0(VALU_DEP_2) | instskip(SKIP_1) | instid1(VALU_DEP_1)
	v_fma_f32 v35, 0x3fb8aa3b, v33, -v34
	v_rndne_f32_e32 v36, v34
	v_dual_fmac_f32 v35, 0x32a5705f, v33 :: v_dual_sub_f32 v34, v34, v36
	s_delay_alu instid0(VALU_DEP_1) | instskip(SKIP_1) | instid1(VALU_DEP_2)
	v_add_f32_e32 v34, v34, v35
	v_cvt_i32_f32_e32 v35, v36
	v_exp_f32_e32 v34, v34
	s_waitcnt_depctr 0xfff
	v_ldexp_f32 v34, v34, v35
	s_delay_alu instid0(VALU_DEP_1) | instskip(SKIP_1) | instid1(VALU_DEP_1)
	v_cndmask_b32_e64 v34, 0, v34, s3
	v_cmp_nlt_f32_e64 s3, 0x42b17218, v33
	v_cndmask_b32_e64 v33, 0x7f800000, v34, s3
	s_delay_alu instid0(VALU_DEP_1)
	v_cvt_f16_f32_e32 v34, v33
	ds_store_b16 v27, v34
	s_and_saveexec_b32 s21, vcc_lo
	s_cbranch_execz .LBB30_15
; %bb.14:                               ;   in Loop: Header=BB30_11 Depth=1
	v_add_co_u32 v34, s3, s19, v7
	s_delay_alu instid0(VALU_DEP_1)
	v_add_co_ci_u32_e64 v35, s3, s20, v8, s3
	global_load_b128 v[34:37], v[34:35], off offset:64
	s_waitcnt vmcnt(0)
	ds_store_b128 v28, v[34:37]
.LBB30_15:                              ;   in Loop: Header=BB30_11 Depth=1
	s_or_b32 exec_lo, exec_lo, s21
	v_add_co_u32 v34, s3, s19, v9
	s_delay_alu instid0(VALU_DEP_1) | instskip(SKIP_1) | instid1(VALU_DEP_3)
	v_add_co_ci_u32_e64 v35, s3, s20, v10, s3
	v_sub_f32_e32 v32, v32, v1
	v_add_co_u32 v34, s3, v34, v30
	s_delay_alu instid0(VALU_DEP_1) | instskip(NEXT) | instid1(VALU_DEP_3)
	v_add_co_ci_u32_e64 v35, s3, 0, v35, s3
	v_mul_f32_e32 v38, 0x3fb8aa3b, v32
	v_cmp_ngt_f32_e64 s3, 0xc2ce8ed0, v32
	global_load_b128 v[34:37], v[34:35], off
	v_fma_f32 v39, 0x3fb8aa3b, v32, -v38
	v_rndne_f32_e32 v40, v38
	s_delay_alu instid0(VALU_DEP_2) | instskip(NEXT) | instid1(VALU_DEP_2)
	v_fmac_f32_e32 v39, 0x32a5705f, v32
	v_sub_f32_e32 v38, v38, v40
	s_delay_alu instid0(VALU_DEP_1) | instskip(SKIP_1) | instid1(VALU_DEP_2)
	v_add_f32_e32 v38, v38, v39
	v_cvt_i32_f32_e32 v39, v40
	v_exp_f32_e32 v38, v38
	s_waitcnt_depctr 0xfff
	v_ldexp_f32 v38, v38, v39
	s_delay_alu instid0(VALU_DEP_1) | instskip(SKIP_1) | instid1(VALU_DEP_1)
	v_cndmask_b32_e64 v38, 0, v38, s3
	v_cmp_nlt_f32_e64 s3, 0x42b17218, v32
	v_cndmask_b32_e64 v32, 0x7f800000, v38, s3
	s_delay_alu instid0(VALU_DEP_1)
	v_fmac_f32_e32 v33, v31, v32
	v_cvt_f16_f32_e32 v48, v32
	s_waitcnt vmcnt(0)
	ds_store_b128 v29, v[34:37]
	s_waitcnt lgkmcnt(0)
	s_barrier
	buffer_gl0_inv
	ds_load_2addr_b32 v[42:43], v21 offset1:20
	ds_load_b128 v[34:37], v26
	ds_load_2addr_b32 v[44:45], v21 offset0:40 offset1:60
	ds_load_2addr_b32 v[46:47], v21 offset0:80 offset1:100
	ds_load_b128 v[38:41], v26 offset:16
	s_waitcnt lgkmcnt(3)
	v_pk_mul_f16 v42, v42, v34 op_sel_hi:[1,0]
	s_delay_alu instid0(VALU_DEP_1) | instskip(SKIP_1) | instid1(VALU_DEP_2)
	v_pk_fma_f16 v14, v14, v48, v42 op_sel_hi:[1,0,1]
	v_add_nc_u32_e32 v48, 0x400, v21
	v_pk_fma_f16 v14, v43, v34, v14 op_sel:[0,1,0]
	ds_load_2addr_b32 v[42:43], v21 offset0:120 offset1:140
	s_waitcnt lgkmcnt(3)
	v_pk_fma_f16 v14, v44, v35, v14 op_sel_hi:[1,0,1]
	s_delay_alu instid0(VALU_DEP_1) | instskip(SKIP_4) | instid1(VALU_DEP_1)
	v_pk_fma_f16 v14, v45, v35, v14 op_sel:[0,1,0]
	ds_load_2addr_b32 v[34:35], v21 offset0:160 offset1:180
	ds_load_2addr_b32 v[44:45], v21 offset0:200 offset1:220
	s_waitcnt lgkmcnt(4)
	v_pk_fma_f16 v14, v46, v36, v14 op_sel_hi:[1,0,1]
	v_pk_fma_f16 v14, v47, v36, v14 op_sel:[0,1,0]
	v_add_nc_u32_e32 v36, 0x200, v21
	ds_load_2addr_b32 v[46:47], v48 offset0:24 offset1:44
	s_waitcnt lgkmcnt(3)
	v_pk_fma_f16 v14, v42, v37, v14 op_sel_hi:[1,0,1]
	s_delay_alu instid0(VALU_DEP_1) | instskip(SKIP_3) | instid1(VALU_DEP_1)
	v_pk_fma_f16 v14, v43, v37, v14 op_sel:[0,1,0]
	ds_load_2addr_b32 v[42:43], v36 offset0:112 offset1:132
	s_waitcnt lgkmcnt(3)
	v_pk_fma_f16 v14, v34, v38, v14 op_sel_hi:[1,0,1]
	v_pk_fma_f16 v14, v35, v38, v14 op_sel:[0,1,0]
	ds_load_b128 v[34:37], v26 offset:32
	s_waitcnt lgkmcnt(3)
	v_pk_fma_f16 v14, v44, v39, v14 op_sel_hi:[1,0,1]
	s_delay_alu instid0(VALU_DEP_1) | instskip(SKIP_3) | instid1(VALU_DEP_1)
	v_pk_fma_f16 v14, v45, v39, v14 op_sel:[0,1,0]
	ds_load_2addr_b32 v[44:45], v48 offset0:64 offset1:84
	s_waitcnt lgkmcnt(2)
	v_pk_fma_f16 v14, v42, v40, v14 op_sel_hi:[1,0,1]
	v_pk_fma_f16 v14, v43, v40, v14 op_sel:[0,1,0]
	ds_load_2addr_b32 v[42:43], v48 offset0:104 offset1:124
	v_pk_fma_f16 v14, v46, v41, v14 op_sel_hi:[1,0,1]
	s_delay_alu instid0(VALU_DEP_1) | instskip(SKIP_4) | instid1(VALU_DEP_1)
	v_pk_fma_f16 v14, v47, v41, v14 op_sel:[0,1,0]
	ds_load_b128 v[38:41], v26 offset:48
	ds_load_2addr_b32 v[46:47], v48 offset0:144 offset1:164
	s_waitcnt lgkmcnt(3)
	v_pk_fma_f16 v14, v44, v34, v14 op_sel_hi:[1,0,1]
	v_pk_fma_f16 v14, v45, v34, v14 op_sel:[0,1,0]
	ds_load_2addr_b32 v[44:45], v48 offset0:184 offset1:204
	s_waitcnt lgkmcnt(3)
	v_pk_fma_f16 v14, v42, v35, v14 op_sel_hi:[1,0,1]
	s_delay_alu instid0(VALU_DEP_1) | instskip(SKIP_4) | instid1(VALU_DEP_2)
	v_pk_fma_f16 v14, v43, v35, v14 op_sel:[0,1,0]
	ds_load_2addr_b32 v[34:35], v48 offset0:224 offset1:244
	s_waitcnt lgkmcnt(2)
	v_pk_fma_f16 v14, v46, v36, v14 op_sel_hi:[1,0,1]
	v_add_nc_u32_e32 v46, 0x800, v21
	v_pk_fma_f16 v14, v47, v36, v14 op_sel:[0,1,0]
	ds_load_2addr_b32 v[42:43], v46 offset0:8 offset1:28
	s_waitcnt lgkmcnt(2)
	v_pk_fma_f16 v14, v44, v37, v14 op_sel_hi:[1,0,1]
	s_delay_alu instid0(VALU_DEP_1) | instskip(SKIP_3) | instid1(VALU_DEP_1)
	v_pk_fma_f16 v14, v45, v37, v14 op_sel:[0,1,0]
	ds_load_2addr_b32 v[36:37], v46 offset0:48 offset1:68
	s_waitcnt lgkmcnt(2)
	v_pk_fma_f16 v14, v34, v38, v14 op_sel_hi:[1,0,1]
	v_pk_fma_f16 v14, v35, v38, v14 op_sel:[0,1,0]
	ds_load_2addr_b32 v[34:35], v46 offset0:88 offset1:108
	s_waitcnt lgkmcnt(0)
	s_barrier
	buffer_gl0_inv
	v_pk_fma_f16 v14, v42, v39, v14 op_sel_hi:[1,0,1]
	s_load_b32 s3, s[4:5], 0x4
	s_delay_alu instid0(VALU_DEP_1) | instskip(NEXT) | instid1(VALU_DEP_1)
	v_pk_fma_f16 v14, v43, v39, v14 op_sel:[0,1,0]
	v_pk_fma_f16 v14, v36, v40, v14 op_sel_hi:[1,0,1]
	s_delay_alu instid0(VALU_DEP_1) | instskip(NEXT) | instid1(VALU_DEP_1)
	v_pk_fma_f16 v14, v37, v40, v14 op_sel:[0,1,0]
	v_pk_fma_f16 v14, v34, v41, v14 op_sel_hi:[1,0,1]
	s_waitcnt lgkmcnt(0)
	s_lshl_b32 s3, s3, 5
	s_delay_alu instid0(SALU_CYCLE_1) | instskip(NEXT) | instid1(VALU_DEP_1)
	s_add_i32 s16, s3, s16
	v_pk_fma_f16 v14, v35, v41, v14 op_sel:[0,1,0]
	s_cmp_lt_i32 s16, s34
	s_cbranch_scc0 .LBB30_17
; %bb.16:                               ;   in Loop: Header=BB30_11 Depth=1
	v_mov_b32_e32 v32, v1
	v_mov_b32_e32 v31, v33
	s_branch .LBB30_11
.LBB30_17:
	v_mov_b32_e32 v5, v13
.LBB30_18:
	v_cmp_lt_i32_e32 vcc_lo, v20, v15
	s_cmp_eq_u64 s[24:25], 0
	s_cselect_b32 s3, -1, 0
	s_cmp_lg_u32 s14, 0
	v_cndmask_b32_e32 v2, v5, v20, vcc_lo
	v_cmp_lt_i32_e32 vcc_lo, v19, v15
	s_cselect_b32 s4, -1, 0
	s_delay_alu instid0(SALU_CYCLE_1) | instskip(SKIP_4) | instid1(VALU_DEP_2)
	s_or_b32 s3, s4, s3
	v_cndmask_b32_e32 v3, v5, v19, vcc_lo
	v_cmp_lt_i32_e32 vcc_lo, v18, v15
	v_cndmask_b32_e32 v4, v5, v18, vcc_lo
	v_cmp_lt_i32_e32 vcc_lo, v17, v15
	v_lshlrev_b32_e32 v4, 2, v4
	v_lshlrev_b32_e32 v3, 2, v3
	v_lshlrev_b32_e32 v2, 2, v2
	ds_bpermute_b32 v2, v2, v33
	s_waitcnt lgkmcnt(0)
	v_add_f32_e32 v2, v33, v2
	ds_bpermute_b32 v3, v3, v2
	s_waitcnt lgkmcnt(0)
	v_add_f32_e32 v2, v2, v3
	ds_bpermute_b32 v3, v4, v2
	v_cndmask_b32_e32 v4, v5, v17, vcc_lo
	v_cmp_lt_i32_e32 vcc_lo, v16, v15
	s_delay_alu instid0(VALU_DEP_2)
	v_lshlrev_b32_e32 v4, 2, v4
	s_waitcnt lgkmcnt(0)
	v_add_f32_e32 v2, v2, v3
	ds_bpermute_b32 v3, v4, v2
	v_cndmask_b32_e32 v4, v5, v16, vcc_lo
	s_and_b32 vcc_lo, exec_lo, s3
	s_delay_alu instid0(VALU_DEP_1)
	v_lshlrev_b32_e32 v4, 2, v4
	s_waitcnt lgkmcnt(0)
	v_dual_add_f32 v2, v2, v3 :: v_dual_add_nc_u32 v3, s15, v12
	ds_bpermute_b32 v4, v4, v2
	s_waitcnt lgkmcnt(0)
	v_add_f32_e32 v2, v2, v4
	s_cbranch_vccnz .LBB30_20
; %bb.19:
	v_ashrrev_i32_e32 v4, 31, v3
	s_delay_alu instid0(VALU_DEP_1) | instskip(NEXT) | instid1(VALU_DEP_1)
	v_lshlrev_b64 v[4:5], 2, v[3:4]
	v_add_co_u32 v4, vcc_lo, s24, v4
	s_delay_alu instid0(VALU_DEP_2) | instskip(SKIP_3) | instid1(VALU_DEP_1)
	v_add_co_ci_u32_e32 v5, vcc_lo, s25, v5, vcc_lo
	global_load_b32 v4, v[4:5], off
	s_waitcnt vmcnt(0)
	v_dual_max_f32 v5, v1, v1 :: v_dual_max_f32 v6, v4, v4
	v_max_f32_e32 v5, v5, v6
	s_delay_alu instid0(VALU_DEP_1) | instskip(NEXT) | instid1(VALU_DEP_1)
	v_sub_f32_e32 v1, v1, v5
	v_mul_f32_e32 v6, 0x3fb8aa3b, v1
	v_sub_f32_e32 v4, v4, v5
	s_delay_alu instid0(VALU_DEP_2) | instskip(NEXT) | instid1(VALU_DEP_2)
	v_rndne_f32_e32 v9, v6
	v_mul_f32_e32 v7, 0x3fb8aa3b, v4
	s_delay_alu instid0(VALU_DEP_1) | instskip(SKIP_1) | instid1(VALU_DEP_1)
	v_fma_f32 v10, 0x3fb8aa3b, v4, -v7
	v_rndne_f32_e32 v12, v7
	v_sub_f32_e32 v7, v7, v12
	s_delay_alu instid0(VALU_DEP_3) | instskip(SKIP_3) | instid1(VALU_DEP_3)
	v_fmac_f32_e32 v10, 0x32a5705f, v4
	v_fma_f32 v8, 0x3fb8aa3b, v1, -v6
	v_sub_f32_e32 v6, v6, v9
	v_cmp_ngt_f32_e32 vcc_lo, 0xc2ce8ed0, v1
	v_dual_add_f32 v7, v7, v10 :: v_dual_fmac_f32 v8, 0x32a5705f, v1
	s_delay_alu instid0(VALU_DEP_1) | instskip(NEXT) | instid1(VALU_DEP_1)
	v_exp_f32_e32 v7, v7
	v_add_f32_e32 v6, v6, v8
	v_cvt_i32_f32_e32 v8, v9
	v_cvt_i32_f32_e32 v9, v12
	s_delay_alu instid0(VALU_DEP_3) | instskip(SKIP_3) | instid1(VALU_DEP_1)
	v_exp_f32_e32 v6, v6
	s_waitcnt_depctr 0xfff
	v_ldexp_f32 v7, v7, v9
	v_ldexp_f32 v6, v6, v8
	v_cndmask_b32_e32 v6, 0, v6, vcc_lo
	v_cmp_ngt_f32_e32 vcc_lo, 0xc2ce8ed0, v4
	s_delay_alu instid0(VALU_DEP_4) | instskip(SKIP_1) | instid1(VALU_DEP_4)
	v_cndmask_b32_e32 v7, 0, v7, vcc_lo
	v_cmp_nlt_f32_e32 vcc_lo, 0x42b17218, v1
	v_cndmask_b32_e32 v1, 0x7f800000, v6, vcc_lo
	v_cmp_nlt_f32_e32 vcc_lo, 0x42b17218, v4
	s_delay_alu instid0(VALU_DEP_4) | instskip(NEXT) | instid1(VALU_DEP_1)
	v_cndmask_b32_e32 v4, 0x7f800000, v7, vcc_lo
	v_fmac_f32_e32 v4, v2, v1
	s_delay_alu instid0(VALU_DEP_1) | instskip(SKIP_2) | instid1(VALU_DEP_2)
	v_mov_b32_e32 v2, v4
	v_cvt_f16_f32_e32 v6, v1
	v_mov_b32_e32 v1, v5
	v_pk_mul_f16 v14, v14, v6 op_sel_hi:[1,0]
.LBB30_20:
	s_load_b32 s0, s[0:1], 0xd4
	s_mul_i32 s12, s12, s6
	s_delay_alu instid0(SALU_CYCLE_1) | instskip(NEXT) | instid1(VALU_DEP_1)
	v_add3_u32 v4, s12, s13, v11
	v_mad_u64_u32 v[5:6], null, v4, s7, v[3:4]
	s_waitcnt lgkmcnt(0)
	s_delay_alu instid0(VALU_DEP_1)
	v_mad_u64_u32 v[3:4], null, s0, v5, s[14:15]
	s_cmp_lg_u32 s0, 1
	s_cselect_b32 s0, -1, 0
	s_and_saveexec_b32 s1, s2
	s_cbranch_execz .LBB30_22
; %bb.21:
	v_div_scale_f32 v4, null, v2, v2, 1.0
	v_div_scale_f32 v7, vcc_lo, 1.0, v2, 1.0
	v_cvt_f32_f16_e32 v9, v14
	s_delay_alu instid0(VALU_DEP_3) | instskip(SKIP_2) | instid1(VALU_DEP_1)
	v_rcp_f32_e32 v5, v4
	s_waitcnt_depctr 0xfff
	v_fma_f32 v6, -v4, v5, 1.0
	v_fmac_f32_e32 v5, v6, v5
	s_delay_alu instid0(VALU_DEP_1) | instskip(NEXT) | instid1(VALU_DEP_1)
	v_mul_f32_e32 v6, v7, v5
	v_fma_f32 v8, -v4, v6, v7
	s_delay_alu instid0(VALU_DEP_1) | instskip(NEXT) | instid1(VALU_DEP_1)
	v_fmac_f32_e32 v6, v8, v5
	v_fma_f32 v4, -v4, v6, v7
	v_mul_lo_u32 v7, v3, 40
	s_delay_alu instid0(VALU_DEP_2) | instskip(SKIP_2) | instid1(VALU_DEP_3)
	v_div_fmas_f32 v4, v4, v5, v6
	v_mov_b32_e32 v5, 0
	v_lshrrev_b32_e32 v6, 16, v14
	v_div_fixup_f32 v8, v4, v2, 1.0
	v_lshl_add_u32 v4, v0, 1, v7
	s_delay_alu instid0(VALU_DEP_3) | instskip(NEXT) | instid1(VALU_DEP_3)
	v_cvt_f32_f16_e32 v6, v6
	v_cndmask_b32_e64 v8, v8, 1.0, s0
	s_delay_alu instid0(VALU_DEP_3) | instskip(NEXT) | instid1(VALU_DEP_2)
	v_lshlrev_b64 v[4:5], 2, v[4:5]
	v_mul_f32_e32 v7, v8, v6
	v_mul_f32_e32 v6, v8, v9
	s_delay_alu instid0(VALU_DEP_3) | instskip(NEXT) | instid1(VALU_DEP_4)
	v_add_co_u32 v4, vcc_lo, s28, v4
	v_add_co_ci_u32_e32 v5, vcc_lo, s29, v5, vcc_lo
	global_store_b64 v[4:5], v[6:7], off
.LBB30_22:
	s_or_b32 exec_lo, exec_lo, s1
	v_cmp_eq_u32_e32 vcc_lo, 0, v0
	s_and_b32 s0, vcc_lo, s0
	s_delay_alu instid0(SALU_CYCLE_1)
	s_and_saveexec_b32 s1, s0
	s_cbranch_execz .LBB30_24
; %bb.23:
	v_ashrrev_i32_e32 v4, 31, v3
	s_delay_alu instid0(VALU_DEP_1) | instskip(NEXT) | instid1(VALU_DEP_1)
	v_lshlrev_b64 v[3:4], 3, v[3:4]
	v_add_co_u32 v3, vcc_lo, s30, v3
	s_delay_alu instid0(VALU_DEP_2)
	v_add_co_ci_u32_e32 v4, vcc_lo, s31, v4, vcc_lo
	global_store_b64 v[3:4], v[1:2], off
.LBB30_24:
	s_nop 0
	s_sendmsg sendmsg(MSG_DEALLOC_VGPRS)
	s_endpgm
	.section	.rodata,"a",@progbits
	.p2align	6, 0x0
	.amdhsa_kernel _ZL15flash_attn_tileILi40ELi40ELi1ELi4ELb0EEvPKcS1_S1_S1_S1_PKiPfP15HIP_vector_typeIfLj2EEffffjfiS5_IjLj3EEiiiiiiiiiiiliiliiiiil
		.amdhsa_group_segment_fixed_size 3744
		.amdhsa_private_segment_fixed_size 0
		.amdhsa_kernarg_size 464
		.amdhsa_user_sgpr_count 13
		.amdhsa_user_sgpr_dispatch_ptr 0
		.amdhsa_user_sgpr_queue_ptr 0
		.amdhsa_user_sgpr_kernarg_segment_ptr 1
		.amdhsa_user_sgpr_dispatch_id 0
		.amdhsa_user_sgpr_private_segment_size 0
		.amdhsa_wavefront_size32 1
		.amdhsa_uses_dynamic_stack 0
		.amdhsa_enable_private_segment 0
		.amdhsa_system_sgpr_workgroup_id_x 1
		.amdhsa_system_sgpr_workgroup_id_y 1
		.amdhsa_system_sgpr_workgroup_id_z 1
		.amdhsa_system_sgpr_workgroup_info 0
		.amdhsa_system_vgpr_workitem_id 1
		.amdhsa_next_free_vgpr 49
		.amdhsa_next_free_sgpr 43
		.amdhsa_reserve_vcc 1
		.amdhsa_float_round_mode_32 0
		.amdhsa_float_round_mode_16_64 0
		.amdhsa_float_denorm_mode_32 3
		.amdhsa_float_denorm_mode_16_64 3
		.amdhsa_dx10_clamp 1
		.amdhsa_ieee_mode 1
		.amdhsa_fp16_overflow 0
		.amdhsa_workgroup_processor_mode 1
		.amdhsa_memory_ordered 1
		.amdhsa_forward_progress 0
		.amdhsa_shared_vgpr_count 0
		.amdhsa_exception_fp_ieee_invalid_op 0
		.amdhsa_exception_fp_denorm_src 0
		.amdhsa_exception_fp_ieee_div_zero 0
		.amdhsa_exception_fp_ieee_overflow 0
		.amdhsa_exception_fp_ieee_underflow 0
		.amdhsa_exception_fp_ieee_inexact 0
		.amdhsa_exception_int_div_zero 0
	.end_amdhsa_kernel
	.section	.text._ZL15flash_attn_tileILi40ELi40ELi1ELi4ELb0EEvPKcS1_S1_S1_S1_PKiPfP15HIP_vector_typeIfLj2EEffffjfiS5_IjLj3EEiiiiiiiiiiiliiliiiiil,"axG",@progbits,_ZL15flash_attn_tileILi40ELi40ELi1ELi4ELb0EEvPKcS1_S1_S1_S1_PKiPfP15HIP_vector_typeIfLj2EEffffjfiS5_IjLj3EEiiiiiiiiiiiliiliiiiil,comdat
.Lfunc_end30:
	.size	_ZL15flash_attn_tileILi40ELi40ELi1ELi4ELb0EEvPKcS1_S1_S1_S1_PKiPfP15HIP_vector_typeIfLj2EEffffjfiS5_IjLj3EEiiiiiiiiiiiliiliiiiil, .Lfunc_end30-_ZL15flash_attn_tileILi40ELi40ELi1ELi4ELb0EEvPKcS1_S1_S1_S1_PKiPfP15HIP_vector_typeIfLj2EEffffjfiS5_IjLj3EEiiiiiiiiiiiliiliiiiil
                                        ; -- End function
	.section	.AMDGPU.csdata,"",@progbits
; Kernel info:
; codeLenInByte = 4404
; NumSgprs: 45
; NumVgprs: 49
; ScratchSize: 0
; MemoryBound: 0
; FloatMode: 240
; IeeeMode: 1
; LDSByteSize: 3744 bytes/workgroup (compile time only)
; SGPRBlocks: 5
; VGPRBlocks: 6
; NumSGPRsForWavesPerEU: 45
; NumVGPRsForWavesPerEU: 49
; Occupancy: 16
; WaveLimiterHint : 1
; COMPUTE_PGM_RSRC2:SCRATCH_EN: 0
; COMPUTE_PGM_RSRC2:USER_SGPR: 13
; COMPUTE_PGM_RSRC2:TRAP_HANDLER: 0
; COMPUTE_PGM_RSRC2:TGID_X_EN: 1
; COMPUTE_PGM_RSRC2:TGID_Y_EN: 1
; COMPUTE_PGM_RSRC2:TGID_Z_EN: 1
; COMPUTE_PGM_RSRC2:TIDIG_COMP_CNT: 1
	.section	.text._ZL33flash_attn_stream_k_fixup_uniformILi40ELi1ELi4EEvPfPK15HIP_vector_typeIfLj2EEiiiiiiS1_IjLj3EES5_S5_,"axG",@progbits,_ZL33flash_attn_stream_k_fixup_uniformILi40ELi1ELi4EEvPfPK15HIP_vector_typeIfLj2EEiiiiiiS1_IjLj3EES5_S5_,comdat
	.globl	_ZL33flash_attn_stream_k_fixup_uniformILi40ELi1ELi4EEvPfPK15HIP_vector_typeIfLj2EEiiiiiiS1_IjLj3EES5_S5_ ; -- Begin function _ZL33flash_attn_stream_k_fixup_uniformILi40ELi1ELi4EEvPfPK15HIP_vector_typeIfLj2EEiiiiiiS1_IjLj3EES5_S5_
	.p2align	8
	.type	_ZL33flash_attn_stream_k_fixup_uniformILi40ELi1ELi4EEvPfPK15HIP_vector_typeIfLj2EEiiiiiiS1_IjLj3EES5_S5_,@function
_ZL33flash_attn_stream_k_fixup_uniformILi40ELi1ELi4EEvPfPK15HIP_vector_typeIfLj2EEiiiiiiS1_IjLj3EES5_S5_: ; @_ZL33flash_attn_stream_k_fixup_uniformILi40ELi1ELi4EEvPfPK15HIP_vector_typeIfLj2EEiiiiiiS1_IjLj3EES5_S5_
; %bb.0:
	s_clause 0x1
	s_load_b256 s[4:11], s[0:1], 0x1c
	s_load_b128 s[16:19], s[0:1], 0x3c
	s_waitcnt lgkmcnt(0)
	s_mul_hi_u32 s2, s7, s13
	s_delay_alu instid0(SALU_CYCLE_1) | instskip(NEXT) | instid1(SALU_CYCLE_1)
	s_add_i32 s2, s13, s2
	s_lshr_b32 s7, s2, s8
	s_delay_alu instid0(SALU_CYCLE_1) | instskip(NEXT) | instid1(SALU_CYCLE_1)
	s_mul_i32 s2, s7, s9
	s_sub_i32 s9, s13, s2
	s_load_b64 s[2:3], s[0:1], 0x10
	s_mul_hi_u32 s8, s9, s10
	s_delay_alu instid0(SALU_CYCLE_1) | instskip(NEXT) | instid1(SALU_CYCLE_1)
	s_add_i32 s8, s9, s8
	s_lshr_b32 s8, s8, s11
	s_delay_alu instid0(SALU_CYCLE_1) | instskip(NEXT) | instid1(SALU_CYCLE_1)
	s_mul_i32 s10, s8, s16
	s_sub_i32 s9, s9, s10
	s_delay_alu instid0(SALU_CYCLE_1) | instskip(NEXT) | instid1(SALU_CYCLE_1)
	s_mul_hi_u32 s10, s9, s17
	s_add_i32 s10, s9, s10
	s_delay_alu instid0(SALU_CYCLE_1) | instskip(NEXT) | instid1(SALU_CYCLE_1)
	s_lshr_b32 s10, s10, s18
	s_mul_i32 s11, s10, s19
	s_lshl_b32 s10, s10, 2
	s_sub_i32 s9, s9, s11
	s_delay_alu instid0(SALU_CYCLE_1) | instskip(SKIP_4) | instid1(SALU_CYCLE_1)
	s_add_i32 s9, s9, s14
	s_waitcnt lgkmcnt(0)
	s_cmp_lt_i32 s9, s2
	s_cselect_b32 s11, -1, 0
	s_add_i32 s10, s10, s15
	s_cmp_lt_i32 s10, s5
	s_cselect_b32 s12, -1, 0
	s_delay_alu instid0(SALU_CYCLE_1) | instskip(NEXT) | instid1(SALU_CYCLE_1)
	s_and_b32 s11, s11, s12
	s_and_not1_b32 vcc_lo, exec_lo, s11
	s_cbranch_vccnz .LBB31_6
; %bb.1:
	s_mul_i32 s7, s7, s2
	s_mul_i32 s8, s8, s5
	s_add_i32 s2, s9, s7
	s_add_i32 s5, s10, s8
	s_mul_i32 s7, s2, s3
	s_load_b128 s[0:3], s[0:1], 0x0
	s_add_i32 s5, s5, s7
	s_delay_alu instid0(SALU_CYCLE_1) | instskip(SKIP_1) | instid1(SALU_CYCLE_1)
	v_mad_u64_u32 v[1:2], null, s5, 40, v[0:1]
	s_mul_i32 s5, s13, s6
	s_add_i32 s9, s5, s6
	s_delay_alu instid0(VALU_DEP_1) | instskip(NEXT) | instid1(VALU_DEP_1)
	v_ashrrev_i32_e32 v2, 31, v1
	v_lshlrev_b64 v[1:2], 2, v[1:2]
	s_waitcnt lgkmcnt(0)
	s_delay_alu instid0(VALU_DEP_1) | instskip(NEXT) | instid1(VALU_DEP_2)
	v_add_co_u32 v1, vcc_lo, s0, v1
	v_add_co_ci_u32_e32 v2, vcc_lo, s1, v2, vcc_lo
	s_add_i32 s0, s14, s9
	s_delay_alu instid0(SALU_CYCLE_1) | instskip(SKIP_2) | instid1(SALU_CYCLE_1)
	s_lshl_b32 s0, s0, 2
	global_load_b32 v5, v[1:2], off
	s_add_i32 s0, s0, s15
	s_add_i32 s0, s0, -4
	s_delay_alu instid0(SALU_CYCLE_1) | instskip(NEXT) | instid1(SALU_CYCLE_1)
	s_ashr_i32 s1, s0, 31
	s_lshl_b64 s[0:1], s[0:1], 3
	s_delay_alu instid0(SALU_CYCLE_1)
	s_add_u32 s0, s2, s0
	s_addc_u32 s1, s3, s1
	s_add_i32 s7, s9, -2
	s_load_b32 s10, s[0:1], 0x4
	s_cmp_lt_i32 s7, s5
	s_cbranch_scc1 .LBB31_4
; %bb.2:
	s_load_b32 s11, s[0:1], 0x0
	s_lshl_b32 s16, s4, 4
	s_waitcnt lgkmcnt(0)
	v_mov_b32_e32 v6, s10
	s_ashr_i32 s17, s16, 31
	s_delay_alu instid0(SALU_CYCLE_1) | instskip(NEXT) | instid1(SALU_CYCLE_1)
	s_lshl_b64 s[0:1], s[16:17], 2
	s_add_u32 s7, s2, s0
	s_addc_u32 s8, s3, s1
	s_add_i32 s13, s13, 1
	s_mul_i32 s1, s14, 0xa0
	s_mul_i32 s0, s6, s13
	;; [unrolled: 1-line block ×3, first 2 shown]
	s_add_i32 s4, s14, s4
	s_mulk_i32 s0, 0xa0
	s_add_i32 s1, s6, s1
	s_add_i32 s4, s4, s9
	;; [unrolled: 1-line block ×3, first 2 shown]
	s_lshl_b32 s0, s4, 2
	v_add3_u32 v3, s1, v0, 0xfffffec0
	v_mov_b32_e32 v0, s11
	s_add_i32 s0, s15, s0
	s_add_i32 s4, s9, -1
	s_add_i32 s0, s0, -8
.LBB31_3:                               ; =>This Inner Loop Header: Depth=1
	s_delay_alu instid0(VALU_DEP_2) | instskip(SKIP_1) | instid1(SALU_CYCLE_1)
	v_ashrrev_i32_e32 v4, 31, v3
	s_ashr_i32 s1, s0, 31
	s_lshl_b64 s[10:11], s[0:1], 3
	s_delay_alu instid0(SALU_CYCLE_1) | instskip(NEXT) | instid1(VALU_DEP_1)
	s_add_u32 s10, s2, s10
	v_lshlrev_b64 v[7:8], 2, v[3:4]
	s_addc_u32 s11, s3, s11
	s_add_i32 s4, s4, -1
	s_add_i32 s0, s0, -4
	s_cmp_le_i32 s4, s5
	s_load_b64 s[10:11], s[10:11], 0x0
	v_add_co_u32 v7, vcc_lo, s7, v7
	v_add_co_ci_u32_e32 v8, vcc_lo, s8, v8, vcc_lo
	global_load_b32 v4, v[7:8], off
	v_max_f32_e32 v7, v0, v0
	s_waitcnt lgkmcnt(0)
	v_max_f32_e64 v8, s10, s10
	s_delay_alu instid0(VALU_DEP_1) | instskip(NEXT) | instid1(VALU_DEP_1)
	v_max_f32_e32 v7, v7, v8
	v_sub_f32_e32 v8, s10, v7
	s_delay_alu instid0(VALU_DEP_1) | instskip(NEXT) | instid1(VALU_DEP_1)
	v_dual_sub_f32 v0, v0, v7 :: v_dual_mul_f32 v9, 0x3fb8aa3b, v8
	v_fma_f32 v10, 0x3fb8aa3b, v8, -v9
	v_rndne_f32_e32 v11, v9
	s_delay_alu instid0(VALU_DEP_3) | instskip(NEXT) | instid1(VALU_DEP_2)
	v_mul_f32_e32 v12, 0x3fb8aa3b, v0
	v_dual_fmac_f32 v10, 0x32a5705f, v8 :: v_dual_sub_f32 v9, v9, v11
	v_cvt_i32_f32_e32 v11, v11
	s_delay_alu instid0(VALU_DEP_3) | instskip(SKIP_1) | instid1(VALU_DEP_4)
	v_fma_f32 v13, 0x3fb8aa3b, v0, -v12
	v_rndne_f32_e32 v14, v12
	v_add_f32_e32 v9, v9, v10
	v_cmp_ngt_f32_e32 vcc_lo, 0xc2ce8ed0, v8
	s_delay_alu instid0(VALU_DEP_3) | instskip(NEXT) | instid1(VALU_DEP_3)
	v_sub_f32_e32 v10, v12, v14
	v_exp_f32_e32 v9, v9
	s_waitcnt_depctr 0xfff
	v_ldexp_f32 v9, v9, v11
	v_cvt_i32_f32_e32 v11, v14
	s_delay_alu instid0(VALU_DEP_2) | instskip(SKIP_1) | instid1(VALU_DEP_2)
	v_cndmask_b32_e32 v9, 0, v9, vcc_lo
	v_cmp_nlt_f32_e32 vcc_lo, 0x42b17218, v8
	v_cndmask_b32_e32 v9, 0x7f800000, v9, vcc_lo
	v_cmp_ngt_f32_e32 vcc_lo, 0xc2ce8ed0, v0
	v_fmac_f32_e32 v13, 0x32a5705f, v0
	s_delay_alu instid0(VALU_DEP_1) | instskip(NEXT) | instid1(VALU_DEP_1)
	v_add_f32_e32 v10, v10, v13
	v_exp_f32_e32 v10, v10
	s_waitcnt_depctr 0xfff
	v_ldexp_f32 v10, v10, v11
	s_delay_alu instid0(VALU_DEP_1)
	v_dual_mov_b32 v11, v6 :: v_dual_cndmask_b32 v10, 0, v10
	v_cmp_le_f32_e32 vcc_lo, 0xc1a00000, v8
	s_waitcnt vmcnt(1)
	v_dual_cndmask_b32 v8, 0, v9 :: v_dual_mov_b32 v9, v5
	v_cmp_nlt_f32_e32 vcc_lo, 0x42b17218, v0
	v_cndmask_b32_e32 v5, 0x7f800000, v10, vcc_lo
	s_delay_alu instid0(VALU_DEP_3) | instskip(SKIP_2) | instid1(VALU_DEP_3)
	v_mul_f32_e32 v10, s11, v8
	v_cmp_le_f32_e32 vcc_lo, 0xc1a00000, v0
	v_mov_b32_e32 v0, v7
	v_mov_b32_e32 v6, v10
	s_waitcnt vmcnt(0)
	v_dual_cndmask_b32 v12, 0, v5 :: v_dual_mul_f32 v5, v4, v8
	s_delay_alu instid0(VALU_DEP_1) | instskip(NEXT) | instid1(VALU_DEP_2)
	v_dual_fmac_f32 v6, v11, v12 :: v_dual_add_nc_u32 v3, 0xffffff60, v3
	v_fmac_f32_e32 v5, v9, v12
	s_cbranch_scc0 .LBB31_3
	s_branch .LBB31_5
.LBB31_4:
	s_waitcnt lgkmcnt(0)
	v_mov_b32_e32 v6, s10
.LBB31_5:
	s_waitcnt vmcnt(0)
	s_delay_alu instid0(VALU_DEP_1) | instskip(NEXT) | instid1(VALU_DEP_1)
	v_div_scale_f32 v0, null, v6, v6, v5
	v_rcp_f32_e32 v3, v0
	s_waitcnt_depctr 0xfff
	v_fma_f32 v4, -v0, v3, 1.0
	s_delay_alu instid0(VALU_DEP_1) | instskip(SKIP_1) | instid1(VALU_DEP_1)
	v_fmac_f32_e32 v3, v4, v3
	v_div_scale_f32 v4, vcc_lo, v5, v6, v5
	v_mul_f32_e32 v7, v4, v3
	s_delay_alu instid0(VALU_DEP_1) | instskip(NEXT) | instid1(VALU_DEP_1)
	v_fma_f32 v8, -v0, v7, v4
	v_fmac_f32_e32 v7, v8, v3
	s_delay_alu instid0(VALU_DEP_1) | instskip(NEXT) | instid1(VALU_DEP_1)
	v_fma_f32 v0, -v0, v7, v4
	v_div_fmas_f32 v0, v0, v3, v7
	s_delay_alu instid0(VALU_DEP_1)
	v_div_fixup_f32 v0, v0, v6, v5
	global_store_b32 v[1:2], v0, off
.LBB31_6:
	s_nop 0
	s_sendmsg sendmsg(MSG_DEALLOC_VGPRS)
	s_endpgm
	.section	.rodata,"a",@progbits
	.p2align	6, 0x0
	.amdhsa_kernel _ZL33flash_attn_stream_k_fixup_uniformILi40ELi1ELi4EEvPfPK15HIP_vector_typeIfLj2EEiiiiiiS1_IjLj3EES5_S5_
		.amdhsa_group_segment_fixed_size 0
		.amdhsa_private_segment_fixed_size 0
		.amdhsa_kernarg_size 76
		.amdhsa_user_sgpr_count 13
		.amdhsa_user_sgpr_dispatch_ptr 0
		.amdhsa_user_sgpr_queue_ptr 0
		.amdhsa_user_sgpr_kernarg_segment_ptr 1
		.amdhsa_user_sgpr_dispatch_id 0
		.amdhsa_user_sgpr_private_segment_size 0
		.amdhsa_wavefront_size32 1
		.amdhsa_uses_dynamic_stack 0
		.amdhsa_enable_private_segment 0
		.amdhsa_system_sgpr_workgroup_id_x 1
		.amdhsa_system_sgpr_workgroup_id_y 1
		.amdhsa_system_sgpr_workgroup_id_z 1
		.amdhsa_system_sgpr_workgroup_info 0
		.amdhsa_system_vgpr_workitem_id 0
		.amdhsa_next_free_vgpr 15
		.amdhsa_next_free_sgpr 20
		.amdhsa_reserve_vcc 1
		.amdhsa_float_round_mode_32 0
		.amdhsa_float_round_mode_16_64 0
		.amdhsa_float_denorm_mode_32 3
		.amdhsa_float_denorm_mode_16_64 3
		.amdhsa_dx10_clamp 1
		.amdhsa_ieee_mode 1
		.amdhsa_fp16_overflow 0
		.amdhsa_workgroup_processor_mode 1
		.amdhsa_memory_ordered 1
		.amdhsa_forward_progress 0
		.amdhsa_shared_vgpr_count 0
		.amdhsa_exception_fp_ieee_invalid_op 0
		.amdhsa_exception_fp_denorm_src 0
		.amdhsa_exception_fp_ieee_div_zero 0
		.amdhsa_exception_fp_ieee_overflow 0
		.amdhsa_exception_fp_ieee_underflow 0
		.amdhsa_exception_fp_ieee_inexact 0
		.amdhsa_exception_int_div_zero 0
	.end_amdhsa_kernel
	.section	.text._ZL33flash_attn_stream_k_fixup_uniformILi40ELi1ELi4EEvPfPK15HIP_vector_typeIfLj2EEiiiiiiS1_IjLj3EES5_S5_,"axG",@progbits,_ZL33flash_attn_stream_k_fixup_uniformILi40ELi1ELi4EEvPfPK15HIP_vector_typeIfLj2EEiiiiiiS1_IjLj3EES5_S5_,comdat
.Lfunc_end31:
	.size	_ZL33flash_attn_stream_k_fixup_uniformILi40ELi1ELi4EEvPfPK15HIP_vector_typeIfLj2EEiiiiiiS1_IjLj3EES5_S5_, .Lfunc_end31-_ZL33flash_attn_stream_k_fixup_uniformILi40ELi1ELi4EEvPfPK15HIP_vector_typeIfLj2EEiiiiiiS1_IjLj3EES5_S5_
                                        ; -- End function
	.section	.AMDGPU.csdata,"",@progbits
; Kernel info:
; codeLenInByte = 968
; NumSgprs: 22
; NumVgprs: 15
; ScratchSize: 0
; MemoryBound: 0
; FloatMode: 240
; IeeeMode: 1
; LDSByteSize: 0 bytes/workgroup (compile time only)
; SGPRBlocks: 2
; VGPRBlocks: 1
; NumSGPRsForWavesPerEU: 22
; NumVGPRsForWavesPerEU: 15
; Occupancy: 16
; WaveLimiterHint : 0
; COMPUTE_PGM_RSRC2:SCRATCH_EN: 0
; COMPUTE_PGM_RSRC2:USER_SGPR: 13
; COMPUTE_PGM_RSRC2:TRAP_HANDLER: 0
; COMPUTE_PGM_RSRC2:TGID_X_EN: 1
; COMPUTE_PGM_RSRC2:TGID_Y_EN: 1
; COMPUTE_PGM_RSRC2:TGID_Z_EN: 1
; COMPUTE_PGM_RSRC2:TIDIG_COMP_CNT: 0
	.section	.text._ZL33flash_attn_stream_k_fixup_generalILi40ELi1ELi4EEvPfPK15HIP_vector_typeIfLj2EEiiiiS1_IjLj3EES5_S5_S5_,"axG",@progbits,_ZL33flash_attn_stream_k_fixup_generalILi40ELi1ELi4EEvPfPK15HIP_vector_typeIfLj2EEiiiiS1_IjLj3EES5_S5_S5_,comdat
	.globl	_ZL33flash_attn_stream_k_fixup_generalILi40ELi1ELi4EEvPfPK15HIP_vector_typeIfLj2EEiiiiS1_IjLj3EES5_S5_S5_ ; -- Begin function _ZL33flash_attn_stream_k_fixup_generalILi40ELi1ELi4EEvPfPK15HIP_vector_typeIfLj2EEiiiiS1_IjLj3EES5_S5_S5_
	.p2align	8
	.type	_ZL33flash_attn_stream_k_fixup_generalILi40ELi1ELi4EEvPfPK15HIP_vector_typeIfLj2EEiiiiS1_IjLj3EES5_S5_S5_,@function
_ZL33flash_attn_stream_k_fixup_generalILi40ELi1ELi4EEvPfPK15HIP_vector_typeIfLj2EEiiiiS1_IjLj3EES5_S5_S5_: ; @_ZL33flash_attn_stream_k_fixup_generalILi40ELi1ELi4EEvPfPK15HIP_vector_typeIfLj2EEiiiiS1_IjLj3EES5_S5_S5_
; %bb.0:
	s_clause 0x1
	s_load_b128 s[4:7], s[0:1], 0x10
	s_load_b32 s20, s[0:1], 0x50
	s_mov_b32 s2, 0
	s_waitcnt lgkmcnt(0)
	s_mul_hi_i32 s3, s7, s13
	s_mul_i32 s12, s7, s13
	s_cmp_lg_u64 s[2:3], 0
	s_cbranch_scc0 .LBB32_21
; %bb.1:
	v_cvt_f32_ubyte0_e32 v1, 0
	v_cvt_f32_u32_e32 v2, s20
	s_sub_u32 s10, 0, s20
	s_subb_u32 s11, 0, 0
	s_delay_alu instid0(VALU_DEP_1) | instskip(NEXT) | instid1(VALU_DEP_1)
	v_fmamk_f32 v1, v1, 0x4f800000, v2
	v_rcp_f32_e32 v1, v1
	s_waitcnt_depctr 0xfff
	v_mul_f32_e32 v1, 0x5f7ffffc, v1
	s_delay_alu instid0(VALU_DEP_1) | instskip(NEXT) | instid1(VALU_DEP_1)
	v_mul_f32_e32 v2, 0x2f800000, v1
	v_trunc_f32_e32 v2, v2
	s_delay_alu instid0(VALU_DEP_1) | instskip(SKIP_1) | instid1(VALU_DEP_2)
	v_fmamk_f32 v1, v2, 0xcf800000, v1
	v_cvt_u32_f32_e32 v2, v2
	v_cvt_u32_f32_e32 v1, v1
	s_delay_alu instid0(VALU_DEP_2) | instskip(NEXT) | instid1(VALU_DEP_2)
	v_readfirstlane_b32 s8, v2
	v_readfirstlane_b32 s9, v1
	s_delay_alu instid0(VALU_DEP_2) | instskip(NEXT) | instid1(VALU_DEP_1)
	s_mul_i32 s16, s10, s8
	s_mul_hi_u32 s18, s10, s9
	s_mul_i32 s17, s11, s9
	s_add_i32 s16, s18, s16
	s_mul_i32 s19, s10, s9
	s_add_i32 s16, s16, s17
	s_mul_hi_u32 s18, s9, s19
	s_mul_hi_u32 s21, s8, s19
	s_mul_i32 s17, s8, s19
	s_mul_hi_u32 s19, s9, s16
	s_mul_i32 s9, s9, s16
	s_mul_hi_u32 s22, s8, s16
	s_add_u32 s9, s18, s9
	s_addc_u32 s18, 0, s19
	s_add_u32 s9, s9, s17
	s_mul_i32 s16, s8, s16
	s_addc_u32 s9, s18, s21
	s_addc_u32 s17, s22, 0
	s_add_u32 s9, s9, s16
	s_addc_u32 s16, 0, s17
	v_add_co_u32 v1, s9, v1, s9
	s_delay_alu instid0(VALU_DEP_1) | instskip(SKIP_1) | instid1(VALU_DEP_1)
	s_cmp_lg_u32 s9, 0
	s_addc_u32 s8, s8, s16
	v_readfirstlane_b32 s9, v1
	s_mul_i32 s16, s10, s8
	s_delay_alu instid0(VALU_DEP_1)
	s_mul_hi_u32 s17, s10, s9
	s_mul_i32 s11, s11, s9
	s_add_i32 s16, s17, s16
	s_mul_i32 s10, s10, s9
	s_add_i32 s16, s16, s11
	s_mul_hi_u32 s17, s8, s10
	s_mul_i32 s18, s8, s10
	s_mul_hi_u32 s10, s9, s10
	s_mul_hi_u32 s19, s9, s16
	s_mul_i32 s9, s9, s16
	s_mul_hi_u32 s11, s8, s16
	s_add_u32 s9, s10, s9
	s_addc_u32 s10, 0, s19
	s_add_u32 s9, s9, s18
	s_mul_i32 s16, s8, s16
	s_addc_u32 s9, s10, s17
	s_addc_u32 s10, s11, 0
	s_add_u32 s9, s9, s16
	s_addc_u32 s10, 0, s10
	v_add_co_u32 v1, s9, v1, s9
	s_delay_alu instid0(VALU_DEP_1) | instskip(SKIP_2) | instid1(SALU_CYCLE_1)
	s_cmp_lg_u32 s9, 0
	s_addc_u32 s16, s8, s10
	s_ashr_i32 s8, s3, 31
	s_add_u32 s10, s12, s8
	s_addc_u32 s11, s3, s8
	v_readfirstlane_b32 s3, v1
	s_mov_b32 s9, s8
	s_delay_alu instid0(SALU_CYCLE_1) | instskip(NEXT) | instid1(SALU_CYCLE_1)
	s_xor_b64 s[10:11], s[10:11], s[8:9]
	s_mul_i32 s18, s10, s16
	s_delay_alu instid0(VALU_DEP_1)
	s_mul_hi_u32 s19, s10, s3
	s_mul_hi_u32 s17, s10, s16
	s_mul_hi_u32 s22, s11, s3
	s_mul_i32 s3, s11, s3
	s_add_u32 s18, s19, s18
	s_addc_u32 s17, 0, s17
	s_mul_hi_u32 s21, s11, s16
	s_add_u32 s3, s18, s3
	s_mul_i32 s16, s11, s16
	s_addc_u32 s3, s17, s22
	s_addc_u32 s17, s21, 0
	s_add_u32 s3, s3, s16
	s_addc_u32 s16, 0, s17
	s_mul_i32 s18, s20, s3
	s_add_u32 s17, s3, 1
	v_sub_co_u32 v1, s10, s10, s18
	s_mul_hi_u32 s18, s20, s3
	s_addc_u32 s19, s16, 0
	s_mul_i32 s21, s20, s16
	s_delay_alu instid0(VALU_DEP_1)
	v_sub_co_u32 v2, s22, v1, s20
	s_add_u32 s23, s3, 2
	s_addc_u32 s24, s16, 0
	s_add_i32 s18, s18, s21
	s_cmp_lg_u32 s10, 0
	v_readfirstlane_b32 s10, v2
	s_subb_u32 s11, s11, s18
	s_cmp_lg_u32 s22, 0
	s_subb_u32 s18, s11, 0
	s_delay_alu instid0(VALU_DEP_1) | instskip(SKIP_4) | instid1(SALU_CYCLE_1)
	s_cmp_ge_u32 s10, s20
	s_cselect_b32 s10, -1, 0
	s_cmp_eq_u32 s18, 0
	v_readfirstlane_b32 s18, v1
	s_cselect_b32 s10, s10, -1
	s_cmp_lg_u32 s10, 0
	s_cselect_b32 s10, s23, s17
	s_cselect_b32 s17, s24, s19
	s_cmp_ge_u32 s18, s20
	s_cselect_b32 s18, -1, 0
	s_cmp_eq_u32 s11, 0
	s_cselect_b32 s11, s18, -1
	s_delay_alu instid0(SALU_CYCLE_1) | instskip(SKIP_2) | instid1(SALU_CYCLE_1)
	s_cmp_lg_u32 s11, 0
	s_cselect_b32 s11, s17, s16
	s_cselect_b32 s10, s10, s3
	s_xor_b64 s[10:11], s[10:11], s[8:9]
	s_delay_alu instid0(SALU_CYCLE_1)
	s_sub_u32 s16, s10, s8
	s_load_b128 s[8:11], s[0:1], 0x44
	s_and_not1_b32 vcc_lo, exec_lo, s2
	s_cbranch_vccnz .LBB32_3
.LBB32_2:
	v_cvt_f32_u32_e32 v1, s20
	s_sub_i32 s3, 0, s20
	s_delay_alu instid0(VALU_DEP_1) | instskip(SKIP_2) | instid1(VALU_DEP_1)
	v_rcp_iflag_f32_e32 v1, v1
	s_waitcnt_depctr 0xfff
	v_mul_f32_e32 v1, 0x4f7ffffe, v1
	v_cvt_u32_f32_e32 v1, v1
	s_delay_alu instid0(VALU_DEP_1) | instskip(NEXT) | instid1(VALU_DEP_1)
	v_readfirstlane_b32 s2, v1
	s_mul_i32 s3, s3, s2
	s_delay_alu instid0(SALU_CYCLE_1) | instskip(NEXT) | instid1(SALU_CYCLE_1)
	s_mul_hi_u32 s3, s2, s3
	s_add_i32 s2, s2, s3
	s_delay_alu instid0(SALU_CYCLE_1) | instskip(NEXT) | instid1(SALU_CYCLE_1)
	s_mul_hi_u32 s2, s12, s2
	s_mul_i32 s3, s2, s20
	s_waitcnt lgkmcnt(0)
	s_add_i32 s11, s2, 1
	s_sub_i32 s3, s12, s3
	s_delay_alu instid0(SALU_CYCLE_1)
	s_sub_i32 s12, s3, s20
	s_cmp_ge_u32 s3, s20
	s_cselect_b32 s2, s11, s2
	s_cselect_b32 s3, s12, s3
	s_add_i32 s11, s2, 1
	s_cmp_ge_u32 s3, s20
	s_cselect_b32 s16, s11, s2
.LBB32_3:
	s_waitcnt lgkmcnt(0)
	s_add_i32 s11, s13, 1
	s_mov_b32 s2, 0
	s_mul_hi_i32 s3, s7, s11
	s_mul_i32 s11, s7, s11
	s_cmp_lg_u64 s[2:3], 0
	s_cbranch_scc0 .LBB32_22
; %bb.4:
	v_cvt_f32_ubyte0_e32 v1, 0
	v_cvt_f32_u32_e32 v2, s20
	s_sub_u32 s18, 0, s20
	s_subb_u32 s19, 0, 0
	s_delay_alu instid0(VALU_DEP_1) | instskip(NEXT) | instid1(VALU_DEP_1)
	v_fmamk_f32 v1, v1, 0x4f800000, v2
	v_rcp_f32_e32 v1, v1
	s_waitcnt_depctr 0xfff
	v_mul_f32_e32 v1, 0x5f7ffffc, v1
	s_delay_alu instid0(VALU_DEP_1) | instskip(NEXT) | instid1(VALU_DEP_1)
	v_mul_f32_e32 v2, 0x2f800000, v1
	v_trunc_f32_e32 v2, v2
	s_delay_alu instid0(VALU_DEP_1) | instskip(SKIP_1) | instid1(VALU_DEP_2)
	v_fmamk_f32 v1, v2, 0xcf800000, v1
	v_cvt_u32_f32_e32 v2, v2
	v_cvt_u32_f32_e32 v1, v1
	s_delay_alu instid0(VALU_DEP_2) | instskip(NEXT) | instid1(VALU_DEP_2)
	v_readfirstlane_b32 s12, v2
	v_readfirstlane_b32 s17, v1
	s_delay_alu instid0(VALU_DEP_2) | instskip(NEXT) | instid1(VALU_DEP_1)
	s_mul_i32 s21, s18, s12
	s_mul_hi_u32 s23, s18, s17
	s_mul_i32 s22, s19, s17
	s_add_i32 s21, s23, s21
	s_mul_i32 s24, s18, s17
	s_add_i32 s21, s21, s22
	s_mul_hi_u32 s23, s17, s24
	s_mul_hi_u32 s25, s12, s24
	s_mul_i32 s22, s12, s24
	s_mul_hi_u32 s24, s17, s21
	s_mul_i32 s17, s17, s21
	s_mul_hi_u32 s26, s12, s21
	s_add_u32 s17, s23, s17
	s_addc_u32 s23, 0, s24
	s_add_u32 s17, s17, s22
	s_mul_i32 s21, s12, s21
	s_addc_u32 s17, s23, s25
	s_addc_u32 s22, s26, 0
	s_add_u32 s17, s17, s21
	s_addc_u32 s21, 0, s22
	v_add_co_u32 v1, s17, v1, s17
	s_delay_alu instid0(VALU_DEP_1) | instskip(SKIP_1) | instid1(VALU_DEP_1)
	s_cmp_lg_u32 s17, 0
	s_addc_u32 s12, s12, s21
	v_readfirstlane_b32 s17, v1
	s_mul_i32 s21, s18, s12
	s_delay_alu instid0(VALU_DEP_1)
	s_mul_hi_u32 s22, s18, s17
	s_mul_i32 s19, s19, s17
	s_add_i32 s21, s22, s21
	s_mul_i32 s18, s18, s17
	s_add_i32 s21, s21, s19
	s_mul_hi_u32 s22, s12, s18
	s_mul_i32 s23, s12, s18
	s_mul_hi_u32 s18, s17, s18
	s_mul_hi_u32 s24, s17, s21
	s_mul_i32 s17, s17, s21
	s_mul_hi_u32 s19, s12, s21
	s_add_u32 s17, s18, s17
	s_addc_u32 s18, 0, s24
	s_add_u32 s17, s17, s23
	s_mul_i32 s21, s12, s21
	s_addc_u32 s17, s18, s22
	s_addc_u32 s18, s19, 0
	s_add_u32 s17, s17, s21
	s_addc_u32 s18, 0, s18
	v_add_co_u32 v1, s17, v1, s17
	s_delay_alu instid0(VALU_DEP_1) | instskip(SKIP_2) | instid1(SALU_CYCLE_1)
	s_cmp_lg_u32 s17, 0
	s_addc_u32 s12, s12, s18
	s_ashr_i32 s18, s3, 31
	s_add_u32 s22, s11, s18
	s_addc_u32 s23, s3, s18
	v_readfirstlane_b32 s3, v1
	s_mov_b32 s19, s18
	s_delay_alu instid0(SALU_CYCLE_1) | instskip(NEXT) | instid1(SALU_CYCLE_1)
	s_xor_b64 s[22:23], s[22:23], s[18:19]
	s_mul_i32 s21, s22, s12
	s_delay_alu instid0(VALU_DEP_1)
	s_mul_hi_u32 s24, s22, s3
	s_mul_hi_u32 s17, s22, s12
	;; [unrolled: 1-line block ×3, first 2 shown]
	s_mul_i32 s3, s23, s3
	s_add_u32 s21, s24, s21
	s_addc_u32 s17, 0, s17
	s_mul_hi_u32 s25, s23, s12
	s_add_u32 s3, s21, s3
	s_mul_i32 s12, s23, s12
	s_addc_u32 s3, s17, s26
	s_addc_u32 s17, s25, 0
	s_add_u32 s3, s3, s12
	s_addc_u32 s12, 0, s17
	s_mul_i32 s21, s20, s3
	s_add_u32 s17, s3, 1
	v_sub_co_u32 v1, s21, s22, s21
	s_mul_hi_u32 s22, s20, s3
	s_addc_u32 s24, s12, 0
	s_mul_i32 s25, s20, s12
	s_delay_alu instid0(VALU_DEP_1)
	v_sub_co_u32 v2, s26, v1, s20
	s_add_u32 s27, s3, 2
	s_addc_u32 s28, s12, 0
	s_add_i32 s22, s22, s25
	s_cmp_lg_u32 s21, 0
	v_readfirstlane_b32 s21, v2
	s_subb_u32 s22, s23, s22
	s_cmp_lg_u32 s26, 0
	s_subb_u32 s23, s22, 0
	s_delay_alu instid0(VALU_DEP_1) | instskip(SKIP_4) | instid1(SALU_CYCLE_1)
	s_cmp_ge_u32 s21, s20
	s_cselect_b32 s21, -1, 0
	s_cmp_eq_u32 s23, 0
	v_readfirstlane_b32 s23, v1
	s_cselect_b32 s21, s21, -1
	s_cmp_lg_u32 s21, 0
	s_cselect_b32 s17, s27, s17
	s_cselect_b32 s21, s28, s24
	s_cmp_ge_u32 s23, s20
	s_cselect_b32 s23, -1, 0
	s_cmp_eq_u32 s22, 0
	s_cselect_b32 s22, s23, -1
	s_delay_alu instid0(SALU_CYCLE_1) | instskip(SKIP_2) | instid1(SALU_CYCLE_1)
	s_cmp_lg_u32 s22, 0
	s_cselect_b32 s23, s21, s12
	s_cselect_b32 s22, s17, s3
	s_xor_b64 s[22:23], s[22:23], s[18:19]
	s_delay_alu instid0(SALU_CYCLE_1)
	s_sub_u32 s18, s22, s18
	s_and_not1_b32 vcc_lo, exec_lo, s2
	s_cbranch_vccnz .LBB32_6
.LBB32_5:
	v_cvt_f32_u32_e32 v1, s20
	s_sub_i32 s3, 0, s20
	s_delay_alu instid0(VALU_DEP_1) | instskip(SKIP_2) | instid1(VALU_DEP_1)
	v_rcp_iflag_f32_e32 v1, v1
	s_waitcnt_depctr 0xfff
	v_mul_f32_e32 v1, 0x4f7ffffe, v1
	v_cvt_u32_f32_e32 v1, v1
	s_delay_alu instid0(VALU_DEP_1) | instskip(NEXT) | instid1(VALU_DEP_1)
	v_readfirstlane_b32 s2, v1
	s_mul_i32 s3, s3, s2
	s_delay_alu instid0(SALU_CYCLE_1) | instskip(NEXT) | instid1(SALU_CYCLE_1)
	s_mul_hi_u32 s3, s2, s3
	s_add_i32 s2, s2, s3
	s_delay_alu instid0(SALU_CYCLE_1) | instskip(NEXT) | instid1(SALU_CYCLE_1)
	s_mul_hi_u32 s2, s11, s2
	s_mul_i32 s3, s2, s20
	s_delay_alu instid0(SALU_CYCLE_1)
	s_sub_i32 s3, s11, s3
	s_add_i32 s11, s2, 1
	s_sub_i32 s12, s3, s20
	s_cmp_ge_u32 s3, s20
	s_cselect_b32 s2, s11, s2
	s_cselect_b32 s3, s12, s3
	s_add_i32 s11, s2, 1
	s_cmp_ge_u32 s3, s20
	s_cselect_b32 s18, s11, s2
.LBB32_6:
	s_delay_alu instid0(SALU_CYCLE_1) | instskip(SKIP_3) | instid1(SALU_CYCLE_1)
	s_cmp_eq_u32 s16, s18
	s_mul_hi_u32 s2, s16, s8
	s_cselect_b32 s3, -1, 0
	s_add_i32 s2, s2, s16
	s_lshr_b32 s11, s2, s9
	s_delay_alu instid0(SALU_CYCLE_1) | instskip(NEXT) | instid1(SALU_CYCLE_1)
	s_mul_i32 s2, s11, s10
	s_cmp_eq_u32 s2, s16
	s_mul_hi_u32 s2, s18, s8
	s_cselect_b32 s12, -1, 0
	s_add_i32 s2, s2, s18
	s_delay_alu instid0(SALU_CYCLE_1) | instskip(NEXT) | instid1(SALU_CYCLE_1)
	s_lshr_b32 s2, s2, s9
	s_cmp_eq_u32 s11, s2
	s_mul_i32 s2, s2, s10
	s_cselect_b32 s17, -1, 0
	s_cmp_lg_u32 s2, s18
	s_cselect_b32 s2, -1, 0
	s_or_b32 s3, s3, s12
	s_and_b32 s2, s17, s2
	s_delay_alu instid0(SALU_CYCLE_1) | instskip(NEXT) | instid1(SALU_CYCLE_1)
	s_or_b32 s2, s3, s2
	s_and_b32 vcc_lo, exec_lo, s2
	s_cbranch_vccnz .LBB32_24
; %bb.7:
	s_load_b256 s[24:31], s[0:1], 0x20
	s_waitcnt lgkmcnt(0)
	s_mul_hi_u32 s2, s16, s24
	s_delay_alu instid0(SALU_CYCLE_1) | instskip(NEXT) | instid1(SALU_CYCLE_1)
	s_add_i32 s2, s2, s16
	s_lshr_b32 s17, s2, s25
	s_load_b32 s2, s[0:1], 0x40
	s_mul_i32 s3, s17, s26
	s_delay_alu instid0(SALU_CYCLE_1) | instskip(NEXT) | instid1(SALU_CYCLE_1)
	s_sub_i32 s3, s16, s3
	s_mul_hi_u32 s12, s3, s27
	s_delay_alu instid0(SALU_CYCLE_1) | instskip(NEXT) | instid1(SALU_CYCLE_1)
	s_add_i32 s12, s3, s12
	s_lshr_b32 s18, s12, s28
	s_delay_alu instid0(SALU_CYCLE_1) | instskip(NEXT) | instid1(SALU_CYCLE_1)
	s_mul_i32 s12, s18, s29
	s_sub_i32 s3, s3, s12
	s_delay_alu instid0(SALU_CYCLE_1) | instskip(NEXT) | instid1(SALU_CYCLE_1)
	s_mul_hi_u32 s12, s3, s30
	s_add_i32 s12, s3, s12
	s_delay_alu instid0(SALU_CYCLE_1)
	s_lshr_b32 s12, s12, s31
	s_waitcnt lgkmcnt(0)
	s_mul_i32 s2, s12, s2
	s_lshl_b32 s21, s12, 2
	s_sub_i32 s2, s3, s2
	s_mov_b32 s12, 0
	s_mul_hi_u32 s3, s2, s8
	s_delay_alu instid0(SALU_CYCLE_1) | instskip(NEXT) | instid1(SALU_CYCLE_1)
	s_add_i32 s2, s2, s3
	s_lshr_b32 s19, s2, s9
	s_delay_alu instid0(SALU_CYCLE_1) | instskip(NEXT) | instid1(SALU_CYCLE_1)
	s_add_i32 s19, s19, s14
	s_cmp_lt_i32 s19, s4
	s_cselect_b32 s2, -1, 0
	s_add_i32 s21, s21, s15
	s_delay_alu instid0(SALU_CYCLE_1) | instskip(SKIP_1) | instid1(SALU_CYCLE_1)
	s_cmp_lt_i32 s21, s6
	s_cselect_b32 s3, -1, 0
	s_and_b32 s2, s2, s3
	s_delay_alu instid0(SALU_CYCLE_1)
	s_and_not1_b32 vcc_lo, exec_lo, s2
	s_cbranch_vccnz .LBB32_24
; %bb.8:
	s_load_b128 s[0:3], s[0:1], 0x0
	s_lshl_b32 s22, s20, 4
	s_mov_b32 s23, s12
	s_lshl_b32 s24, s14, 2
	s_lshl_b64 s[22:23], s[22:23], 2
	s_mul_i32 s4, s17, s4
	s_add_i32 s24, s24, s15
	s_mul_i32 s18, s18, s6
	v_cvt_f32_ubyte0_e32 v3, 0
	v_cvt_f32_u32_e32 v4, s20
	s_waitcnt lgkmcnt(0)
	s_add_u32 s6, s2, s22
	s_addc_u32 s17, s3, s23
	s_add_i32 s4, s19, s4
	s_add_i32 s18, s21, s18
	s_mul_i32 s4, s4, s5
	s_delay_alu instid0(SALU_CYCLE_1) | instskip(NEXT) | instid1(SALU_CYCLE_1)
	s_add_i32 s18, s18, s4
	v_mad_u64_u32 v[1:2], null, s18, 40, v[0:1]
	s_delay_alu instid0(VALU_DEP_1) | instskip(NEXT) | instid1(VALU_DEP_1)
	v_ashrrev_i32_e32 v2, 31, v1
	v_lshlrev_b64 v[1:2], 2, v[1:2]
	s_delay_alu instid0(VALU_DEP_1) | instskip(NEXT) | instid1(VALU_DEP_2)
	v_add_co_u32 v1, vcc_lo, s0, v1
	v_add_co_ci_u32_e32 v2, vcc_lo, s1, v2, vcc_lo
	s_add_i32 s0, s14, s13
	s_delay_alu instid0(SALU_CYCLE_1) | instskip(SKIP_2) | instid1(SALU_CYCLE_1)
	s_lshl_b32 s0, s0, 2
	global_load_b32 v5, v[1:2], off
	s_add_i32 s0, s0, s15
	s_ashr_i32 s1, s0, 31
	s_delay_alu instid0(SALU_CYCLE_1) | instskip(NEXT) | instid1(SALU_CYCLE_1)
	s_lshl_b64 s[0:1], s[0:1], 3
	s_add_u32 s0, s2, s0
	s_addc_u32 s1, s3, s1
	s_add_i32 s19, s13, -1
	s_load_b64 s[0:1], s[0:1], 0x0
	v_fmamk_f32 v3, v3, 0x4f800000, v4
	v_cvt_f32_u32_e32 v4, s20
	s_add_i32 s14, s20, s14
	s_sub_i32 s18, 0, s20
	s_delay_alu instid0(VALU_DEP_1)
	v_rcp_iflag_f32_e32 v7, v4
	s_waitcnt_depctr 0xfff
	v_mul_f32_e32 v10, 0x4f7ffffe, v7
	s_waitcnt lgkmcnt(0)
	v_mov_b32_e32 v8, s0
	v_rcp_f32_e32 v3, v3
	v_mov_b32_e32 v7, s1
	s_waitcnt_depctr 0xfff
	v_mul_f32_e32 v3, 0x5f7ffffc, v3
	s_delay_alu instid0(VALU_DEP_1) | instskip(NEXT) | instid1(VALU_DEP_1)
	v_mul_f32_e32 v6, 0x2f800000, v3
	v_trunc_f32_e32 v6, v6
	s_delay_alu instid0(VALU_DEP_1) | instskip(SKIP_3) | instid1(VALU_DEP_4)
	v_fmamk_f32 v9, v6, 0xcf800000, v3
	v_mad_u64_u32 v[3:4], null, s24, 40, v[0:1]
	v_cvt_u32_f32_e32 v4, v6
	v_cvt_u32_f32_e32 v6, v10
	;; [unrolled: 1-line block ×3, first 2 shown]
.LBB32_9:                               ; =>This Inner Loop Header: Depth=1
	s_mul_hi_i32 s13, s19, s7
	s_mul_i32 s4, s19, s7
	s_cmp_lg_u64 s[12:13], 0
	s_mov_b32 s5, -1
                                        ; implicit-def: $sgpr0_sgpr1
	s_cbranch_scc0 .LBB32_11
; %bb.10:                               ;   in Loop: Header=BB32_9 Depth=1
	v_readfirstlane_b32 s0, v0
	v_readfirstlane_b32 s1, v4
	s_sub_u32 s5, 0, s20
	s_subb_u32 s21, 0, 0
	s_delay_alu instid0(VALU_DEP_2) | instskip(NEXT) | instid1(VALU_DEP_1)
	s_mul_hi_u32 s22, s5, s0
	s_mul_i32 s23, s5, s1
	s_mul_i32 s24, s21, s0
	s_add_i32 s22, s22, s23
	s_mul_i32 s23, s5, s0
	s_add_i32 s22, s22, s24
	s_mul_hi_u32 s24, s0, s23
	s_mul_i32 s25, s0, s22
	s_mul_hi_u32 s0, s0, s22
	s_add_u32 s24, s24, s25
	s_mul_i32 s26, s1, s23
	s_addc_u32 s0, 0, s0
	s_mul_hi_u32 s23, s1, s23
	s_mul_hi_u32 s25, s1, s22
	s_add_u32 s24, s24, s26
	s_addc_u32 s0, s0, s23
	s_mul_i32 s22, s1, s22
	s_addc_u32 s23, s25, 0
	s_add_u32 s0, s0, s22
	s_addc_u32 s22, 0, s23
	v_add_co_u32 v9, s0, v0, s0
	s_delay_alu instid0(VALU_DEP_1) | instskip(SKIP_1) | instid1(VALU_DEP_1)
	s_cmp_lg_u32 s0, 0
	s_addc_u32 s1, s1, s22
	v_readfirstlane_b32 s0, v9
	s_mul_i32 s22, s5, s1
	s_delay_alu instid0(VALU_DEP_1)
	s_mul_hi_u32 s23, s5, s0
	s_mul_i32 s21, s21, s0
	s_add_i32 s22, s23, s22
	s_mul_i32 s5, s5, s0
	s_add_i32 s22, s22, s21
	s_mul_hi_u32 s21, s1, s5
	s_mul_i32 s24, s1, s5
	s_mul_i32 s25, s0, s22
	s_mul_hi_u32 s5, s0, s5
	s_mul_hi_u32 s0, s0, s22
	s_add_u32 s5, s5, s25
	s_addc_u32 s0, 0, s0
	s_mul_hi_u32 s23, s1, s22
	s_add_u32 s5, s5, s24
	s_addc_u32 s0, s0, s21
	s_mul_i32 s5, s1, s22
	s_addc_u32 s21, s23, 0
	s_add_u32 s0, s0, s5
	s_addc_u32 s5, 0, s21
	v_add_co_u32 v9, s0, v9, s0
	s_delay_alu instid0(VALU_DEP_1) | instskip(SKIP_2) | instid1(SALU_CYCLE_1)
	s_cmp_lg_u32 s0, 0
	s_addc_u32 s5, s1, s5
	s_ashr_i32 s0, s13, 31
	s_add_u32 s22, s4, s0
	s_addc_u32 s23, s13, s0
	v_readfirstlane_b32 s13, v9
	s_mov_b32 s1, s0
	s_delay_alu instid0(SALU_CYCLE_1) | instskip(NEXT) | instid1(SALU_CYCLE_1)
	s_xor_b64 s[22:23], s[22:23], s[0:1]
	s_mul_i32 s21, s22, s5
	s_delay_alu instid0(VALU_DEP_1)
	s_mul_hi_u32 s24, s22, s13
	s_mul_hi_u32 s25, s22, s5
	s_add_u32 s21, s24, s21
	s_mul_i32 s26, s23, s13
	s_addc_u32 s24, 0, s25
	s_mul_hi_u32 s13, s23, s13
	s_mul_hi_u32 s25, s23, s5
	s_add_u32 s21, s21, s26
	s_addc_u32 s13, s24, s13
	s_mul_i32 s5, s23, s5
	s_addc_u32 s21, s25, 0
	s_add_u32 s5, s13, s5
	s_addc_u32 s13, 0, s21
	s_mul_i32 s24, s20, s5
	s_add_u32 s21, s5, 1
	v_sub_co_u32 v9, s22, s22, s24
	s_addc_u32 s24, s13, 0
	s_mul_i32 s26, s20, s13
	s_mul_hi_u32 s28, s20, s5
	s_delay_alu instid0(VALU_DEP_1)
	v_sub_co_u32 v10, s27, v9, s20
	s_add_u32 s25, s5, 2
	s_addc_u32 s29, s13, 0
	s_add_i32 s28, s28, s26
	s_cmp_lg_u32 s22, 0
	v_readfirstlane_b32 s22, v10
	s_subb_u32 s23, s23, s28
	s_cmp_lg_u32 s27, 0
	s_subb_u32 s26, s23, 0
	s_delay_alu instid0(VALU_DEP_1) | instskip(SKIP_4) | instid1(SALU_CYCLE_1)
	s_cmp_ge_u32 s22, s20
	s_cselect_b32 s22, -1, 0
	s_cmp_eq_u32 s26, 0
	v_readfirstlane_b32 s26, v9
	s_cselect_b32 s22, s22, -1
	s_cmp_lg_u32 s22, 0
	s_cselect_b32 s21, s25, s21
	s_cselect_b32 s22, s29, s24
	s_cmp_ge_u32 s26, s20
	s_cselect_b32 s24, -1, 0
	s_cmp_eq_u32 s23, 0
	s_cselect_b32 s23, s24, -1
	s_delay_alu instid0(SALU_CYCLE_1) | instskip(SKIP_4) | instid1(SALU_CYCLE_1)
	s_cmp_lg_u32 s23, 0
	s_cselect_b32 s23, s22, s13
	s_cselect_b32 s22, s21, s5
	s_mov_b32 s5, 0
	s_xor_b64 s[22:23], s[22:23], s[0:1]
	s_sub_u32 s0, s22, s0
.LBB32_11:                              ;   in Loop: Header=BB32_9 Depth=1
	s_and_not1_b32 vcc_lo, exec_lo, s5
	s_cbranch_vccnz .LBB32_13
; %bb.12:                               ;   in Loop: Header=BB32_9 Depth=1
	v_readfirstlane_b32 s0, v6
	s_delay_alu instid0(VALU_DEP_1) | instskip(NEXT) | instid1(SALU_CYCLE_1)
	s_mul_i32 s1, s18, s0
	s_mul_hi_u32 s1, s0, s1
	s_delay_alu instid0(SALU_CYCLE_1) | instskip(NEXT) | instid1(SALU_CYCLE_1)
	s_add_i32 s0, s0, s1
	s_mul_hi_u32 s0, s4, s0
	s_delay_alu instid0(SALU_CYCLE_1) | instskip(NEXT) | instid1(SALU_CYCLE_1)
	s_mul_i32 s1, s0, s20
	s_sub_i32 s1, s4, s1
	s_add_i32 s4, s0, 1
	s_sub_i32 s5, s1, s20
	s_cmp_ge_u32 s1, s20
	s_cselect_b32 s0, s4, s0
	s_cselect_b32 s1, s5, s1
	s_add_i32 s4, s0, 1
	s_cmp_ge_u32 s1, s20
	s_cselect_b32 s0, s4, s0
.LBB32_13:                              ;   in Loop: Header=BB32_9 Depth=1
	s_delay_alu instid0(SALU_CYCLE_1)
	s_cmp_lg_u32 s16, s0
	s_cbranch_scc0 .LBB32_17
; %bb.14:                               ;   in Loop: Header=BB32_9 Depth=1
	s_add_i32 s1, s14, s19
	s_mov_b32 s5, s12
	s_lshl_b32 s1, s1, 2
	s_mov_b32 s21, s16
	s_add_i32 s4, s1, s15
	s_mul_hi_u32 s1, s0, s8
	s_lshl_b64 s[4:5], s[4:5], 3
	s_delay_alu instid0(SALU_CYCLE_1) | instskip(SKIP_2) | instid1(SALU_CYCLE_1)
	s_add_u32 s4, s2, s4
	s_addc_u32 s5, s3, s5
	s_add_i32 s1, s1, s0
	s_lshr_b32 s1, s1, s9
	s_delay_alu instid0(SALU_CYCLE_1) | instskip(NEXT) | instid1(SALU_CYCLE_1)
	s_mul_i32 s13, s1, s10
	s_cmp_eq_u32 s13, s0
	s_cselect_b32 s13, -1, 0
	s_cmp_lt_u32 s1, s11
	s_cselect_b32 s1, -1, 0
	s_delay_alu instid0(SALU_CYCLE_1)
	s_or_b32 s1, s1, s13
	s_mov_b32 s13, -1
	s_and_b32 vcc_lo, exec_lo, s1
	s_mov_b32 s1, s19
	s_cbranch_vccnz .LBB32_16
; %bb.15:                               ;   in Loop: Header=BB32_9 Depth=1
	s_add_i32 s1, s19, -1
	s_mov_b32 s13, 0
	s_mov_b32 s21, s0
.LBB32_16:                              ;   in Loop: Header=BB32_9 Depth=1
	v_mad_u64_u32 v[9:10], null, 0xa0, s19, v[3:4]
	s_load_b64 s[4:5], s[4:5], 0x0
	s_delay_alu instid0(VALU_DEP_1) | instskip(NEXT) | instid1(VALU_DEP_1)
	v_ashrrev_i32_e32 v10, 31, v9
	v_lshlrev_b64 v[9:10], 2, v[9:10]
	s_delay_alu instid0(VALU_DEP_1) | instskip(NEXT) | instid1(VALU_DEP_2)
	v_add_co_u32 v9, vcc_lo, s6, v9
	v_add_co_ci_u32_e32 v10, vcc_lo, s17, v10, vcc_lo
	s_waitcnt lgkmcnt(0)
	v_max_f32_e64 v11, s4, s4
	global_load_b32 v10, v[9:10], off
	v_max_f32_e32 v9, v8, v8
	s_delay_alu instid0(VALU_DEP_1) | instskip(NEXT) | instid1(VALU_DEP_1)
	v_max_f32_e32 v9, v9, v11
	v_sub_f32_e32 v12, v8, v9
	s_delay_alu instid0(VALU_DEP_1) | instskip(NEXT) | instid1(VALU_DEP_1)
	v_dual_mul_f32 v14, 0x3fb8aa3b, v12 :: v_dual_sub_f32 v11, s4, v9
	v_rndne_f32_e32 v18, v14
	s_delay_alu instid0(VALU_DEP_2) | instskip(SKIP_2) | instid1(VALU_DEP_4)
	v_mul_f32_e32 v13, 0x3fb8aa3b, v11
	v_fma_f32 v17, 0x3fb8aa3b, v12, -v14
	v_cmp_ngt_f32_e32 vcc_lo, 0xc2ce8ed0, v11
	v_sub_f32_e32 v14, v14, v18
	s_delay_alu instid0(VALU_DEP_4) | instskip(SKIP_2) | instid1(VALU_DEP_3)
	v_fma_f32 v15, 0x3fb8aa3b, v11, -v13
	v_rndne_f32_e32 v16, v13
	v_fmac_f32_e32 v17, 0x32a5705f, v12
	v_fmac_f32_e32 v15, 0x32a5705f, v11
	s_delay_alu instid0(VALU_DEP_2) | instskip(NEXT) | instid1(VALU_DEP_1)
	v_dual_sub_f32 v13, v13, v16 :: v_dual_add_f32 v14, v14, v17
	v_add_f32_e32 v13, v13, v15
	s_delay_alu instid0(VALU_DEP_2) | instskip(SKIP_2) | instid1(VALU_DEP_3)
	v_exp_f32_e32 v14, v14
	v_cvt_i32_f32_e32 v15, v16
	v_cvt_i32_f32_e32 v16, v18
	v_exp_f32_e32 v13, v13
	s_waitcnt_depctr 0xfff
	v_ldexp_f32 v14, v14, v16
	v_ldexp_f32 v13, v13, v15
	s_delay_alu instid0(VALU_DEP_1) | instskip(SKIP_1) | instid1(VALU_DEP_4)
	v_cndmask_b32_e32 v13, 0, v13, vcc_lo
	v_cmp_ngt_f32_e32 vcc_lo, 0xc2ce8ed0, v12
	v_cndmask_b32_e32 v14, 0, v14, vcc_lo
	v_cmp_nlt_f32_e32 vcc_lo, 0x42b17218, v11
	s_delay_alu instid0(VALU_DEP_4) | instskip(SKIP_1) | instid1(VALU_DEP_4)
	v_cndmask_b32_e32 v13, 0x7f800000, v13, vcc_lo
	v_cmp_nlt_f32_e32 vcc_lo, 0x42b17218, v12
	v_cndmask_b32_e32 v14, 0x7f800000, v14, vcc_lo
	v_cmp_le_f32_e32 vcc_lo, 0xc1a00000, v11
	s_delay_alu instid0(VALU_DEP_4) | instskip(SKIP_1) | instid1(VALU_DEP_4)
	v_cndmask_b32_e32 v11, 0, v13, vcc_lo
	v_cmp_le_f32_e32 vcc_lo, 0xc1a00000, v12
	v_cndmask_b32_e32 v12, 0, v14, vcc_lo
	s_waitcnt vmcnt(0)
	s_delay_alu instid0(VALU_DEP_3) | instskip(NEXT) | instid1(VALU_DEP_1)
	v_mul_f32_e32 v10, v10, v11
	v_dual_mul_f32 v11, s5, v11 :: v_dual_fmac_f32 v10, v5, v12
	s_delay_alu instid0(VALU_DEP_1)
	v_fmac_f32_e32 v11, v7, v12
	s_cbranch_execz .LBB32_18
	s_branch .LBB32_19
.LBB32_17:                              ;   in Loop: Header=BB32_9 Depth=1
                                        ; implicit-def: $sgpr13
                                        ; implicit-def: $vgpr10
                                        ; implicit-def: $vgpr9
                                        ; implicit-def: $vgpr11
                                        ; implicit-def: $sgpr1
                                        ; implicit-def: $sgpr21
.LBB32_18:                              ;   in Loop: Header=BB32_9 Depth=1
	s_waitcnt vmcnt(0)
	v_dual_mov_b32 v11, v7 :: v_dual_mov_b32 v10, v5
	v_mov_b32_e32 v9, v8
	s_add_i32 s1, s19, -1
	s_mov_b32 s13, 0
	s_mov_b32 s21, s16
.LBB32_19:                              ;   in Loop: Header=BB32_9 Depth=1
	s_and_not1_b32 vcc_lo, exec_lo, s13
	s_cbranch_vccz .LBB32_23
; %bb.20:                               ;   in Loop: Header=BB32_9 Depth=1
	v_dual_mov_b32 v7, v11 :: v_dual_mov_b32 v8, v9
	s_waitcnt vmcnt(0)
	v_mov_b32_e32 v5, v10
	s_mov_b32 s16, s21
	s_mov_b32 s19, s1
	s_branch .LBB32_9
.LBB32_21:
                                        ; implicit-def: $sgpr16_sgpr17
	s_load_b128 s[8:11], s[0:1], 0x44
	s_branch .LBB32_2
.LBB32_22:
                                        ; implicit-def: $sgpr18_sgpr19
	s_branch .LBB32_5
.LBB32_23:
	v_div_scale_f32 v0, null, v11, v11, v10
	s_delay_alu instid0(VALU_DEP_1) | instskip(SKIP_2) | instid1(VALU_DEP_1)
	v_rcp_f32_e32 v3, v0
	s_waitcnt_depctr 0xfff
	v_fma_f32 v4, -v0, v3, 1.0
	v_fmac_f32_e32 v3, v4, v3
	v_div_scale_f32 v4, vcc_lo, v10, v11, v10
	s_waitcnt vmcnt(0)
	s_delay_alu instid0(VALU_DEP_1) | instskip(NEXT) | instid1(VALU_DEP_1)
	v_mul_f32_e32 v5, v4, v3
	v_fma_f32 v6, -v0, v5, v4
	s_delay_alu instid0(VALU_DEP_1) | instskip(NEXT) | instid1(VALU_DEP_1)
	v_fmac_f32_e32 v5, v6, v3
	v_fma_f32 v0, -v0, v5, v4
	s_delay_alu instid0(VALU_DEP_1) | instskip(NEXT) | instid1(VALU_DEP_1)
	v_div_fmas_f32 v0, v0, v3, v5
	v_div_fixup_f32 v0, v0, v11, v10
	global_store_b32 v[1:2], v0, off
.LBB32_24:
	s_nop 0
	s_sendmsg sendmsg(MSG_DEALLOC_VGPRS)
	s_endpgm
	.section	.rodata,"a",@progbits
	.p2align	6, 0x0
	.amdhsa_kernel _ZL33flash_attn_stream_k_fixup_generalILi40ELi1ELi4EEvPfPK15HIP_vector_typeIfLj2EEiiiiS1_IjLj3EES5_S5_S5_
		.amdhsa_group_segment_fixed_size 0
		.amdhsa_private_segment_fixed_size 0
		.amdhsa_kernarg_size 336
		.amdhsa_user_sgpr_count 13
		.amdhsa_user_sgpr_dispatch_ptr 0
		.amdhsa_user_sgpr_queue_ptr 0
		.amdhsa_user_sgpr_kernarg_segment_ptr 1
		.amdhsa_user_sgpr_dispatch_id 0
		.amdhsa_user_sgpr_private_segment_size 0
		.amdhsa_wavefront_size32 1
		.amdhsa_uses_dynamic_stack 0
		.amdhsa_enable_private_segment 0
		.amdhsa_system_sgpr_workgroup_id_x 1
		.amdhsa_system_sgpr_workgroup_id_y 1
		.amdhsa_system_sgpr_workgroup_id_z 1
		.amdhsa_system_sgpr_workgroup_info 0
		.amdhsa_system_vgpr_workitem_id 0
		.amdhsa_next_free_vgpr 19
		.amdhsa_next_free_sgpr 32
		.amdhsa_reserve_vcc 1
		.amdhsa_float_round_mode_32 0
		.amdhsa_float_round_mode_16_64 0
		.amdhsa_float_denorm_mode_32 3
		.amdhsa_float_denorm_mode_16_64 3
		.amdhsa_dx10_clamp 1
		.amdhsa_ieee_mode 1
		.amdhsa_fp16_overflow 0
		.amdhsa_workgroup_processor_mode 1
		.amdhsa_memory_ordered 1
		.amdhsa_forward_progress 0
		.amdhsa_shared_vgpr_count 0
		.amdhsa_exception_fp_ieee_invalid_op 0
		.amdhsa_exception_fp_denorm_src 0
		.amdhsa_exception_fp_ieee_div_zero 0
		.amdhsa_exception_fp_ieee_overflow 0
		.amdhsa_exception_fp_ieee_underflow 0
		.amdhsa_exception_fp_ieee_inexact 0
		.amdhsa_exception_int_div_zero 0
	.end_amdhsa_kernel
	.section	.text._ZL33flash_attn_stream_k_fixup_generalILi40ELi1ELi4EEvPfPK15HIP_vector_typeIfLj2EEiiiiS1_IjLj3EES5_S5_S5_,"axG",@progbits,_ZL33flash_attn_stream_k_fixup_generalILi40ELi1ELi4EEvPfPK15HIP_vector_typeIfLj2EEiiiiS1_IjLj3EES5_S5_S5_,comdat
.Lfunc_end32:
	.size	_ZL33flash_attn_stream_k_fixup_generalILi40ELi1ELi4EEvPfPK15HIP_vector_typeIfLj2EEiiiiS1_IjLj3EES5_S5_S5_, .Lfunc_end32-_ZL33flash_attn_stream_k_fixup_generalILi40ELi1ELi4EEvPfPK15HIP_vector_typeIfLj2EEiiiiS1_IjLj3EES5_S5_S5_
                                        ; -- End function
	.section	.AMDGPU.csdata,"",@progbits
; Kernel info:
; codeLenInByte = 3212
; NumSgprs: 34
; NumVgprs: 19
; ScratchSize: 0
; MemoryBound: 0
; FloatMode: 240
; IeeeMode: 1
; LDSByteSize: 0 bytes/workgroup (compile time only)
; SGPRBlocks: 4
; VGPRBlocks: 2
; NumSGPRsForWavesPerEU: 34
; NumVGPRsForWavesPerEU: 19
; Occupancy: 16
; WaveLimiterHint : 0
; COMPUTE_PGM_RSRC2:SCRATCH_EN: 0
; COMPUTE_PGM_RSRC2:USER_SGPR: 13
; COMPUTE_PGM_RSRC2:TRAP_HANDLER: 0
; COMPUTE_PGM_RSRC2:TGID_X_EN: 1
; COMPUTE_PGM_RSRC2:TGID_Y_EN: 1
; COMPUTE_PGM_RSRC2:TGID_Z_EN: 1
; COMPUTE_PGM_RSRC2:TIDIG_COMP_CNT: 0
	.section	.text._ZL15flash_attn_tileILi40ELi40ELi32ELi2ELb0EEvPKcS1_S1_S1_S1_PKiPfP15HIP_vector_typeIfLj2EEffffjfiS5_IjLj3EEiiiiiiiiiiiliiliiiiil,"axG",@progbits,_ZL15flash_attn_tileILi40ELi40ELi32ELi2ELb0EEvPKcS1_S1_S1_S1_PKiPfP15HIP_vector_typeIfLj2EEffffjfiS5_IjLj3EEiiiiiiiiiiiliiliiiiil,comdat
	.globl	_ZL15flash_attn_tileILi40ELi40ELi32ELi2ELb0EEvPKcS1_S1_S1_S1_PKiPfP15HIP_vector_typeIfLj2EEffffjfiS5_IjLj3EEiiiiiiiiiiiliiliiiiil ; -- Begin function _ZL15flash_attn_tileILi40ELi40ELi32ELi2ELb0EEvPKcS1_S1_S1_S1_PKiPfP15HIP_vector_typeIfLj2EEffffjfiS5_IjLj3EEiiiiiiiiiiiliiliiiiil
	.p2align	8
	.type	_ZL15flash_attn_tileILi40ELi40ELi32ELi2ELb0EEvPKcS1_S1_S1_S1_PKiPfP15HIP_vector_typeIfLj2EEffffjfiS5_IjLj3EEiiiiiiiiiiiliiliiiiil,@function
_ZL15flash_attn_tileILi40ELi40ELi32ELi2ELb0EEvPKcS1_S1_S1_S1_PKiPfP15HIP_vector_typeIfLj2EEffffjfiS5_IjLj3EEiiiiiiiiiiiliiliiiiil: ; @_ZL15flash_attn_tileILi40ELi40ELi32ELi2ELb0EEvPKcS1_S1_S1_S1_PKiPfP15HIP_vector_typeIfLj2EEffffjfiS5_IjLj3EEiiiiiiiiiiiliiliiiiil
; %bb.0:
	s_clause 0x1
	s_load_b128 s[36:39], s[0:1], 0x5c
	s_load_b64 s[40:41], s[0:1], 0x80
	s_mov_b64 s[42:43], 0
	s_waitcnt lgkmcnt(0)
	s_lshr_b32 s2, s39, 31
	s_delay_alu instid0(SALU_CYCLE_1) | instskip(NEXT) | instid1(SALU_CYCLE_1)
	s_add_i32 s2, s39, s2
	s_ashr_i32 s2, s2, 1
	s_delay_alu instid0(SALU_CYCLE_1) | instskip(SKIP_1) | instid1(VALU_DEP_1)
	v_cvt_f32_u32_e32 v1, s2
	s_sub_i32 s4, 0, s2
	v_rcp_iflag_f32_e32 v1, v1
	s_waitcnt_depctr 0xfff
	v_mul_f32_e32 v1, 0x4f7ffffe, v1
	s_delay_alu instid0(VALU_DEP_1) | instskip(NEXT) | instid1(VALU_DEP_1)
	v_cvt_u32_f32_e32 v1, v1
	v_readfirstlane_b32 s3, v1
	s_delay_alu instid0(VALU_DEP_1) | instskip(NEXT) | instid1(SALU_CYCLE_1)
	s_mul_i32 s4, s4, s3
	s_mul_hi_u32 s4, s3, s4
	s_delay_alu instid0(SALU_CYCLE_1) | instskip(NEXT) | instid1(SALU_CYCLE_1)
	s_add_i32 s3, s3, s4
	s_mul_hi_u32 s3, s15, s3
	s_delay_alu instid0(SALU_CYCLE_1) | instskip(SKIP_2) | instid1(SALU_CYCLE_1)
	s_mul_i32 s4, s3, s2
	s_add_i32 s5, s3, 1
	s_sub_i32 s4, s15, s4
	s_sub_i32 s6, s4, s2
	s_cmp_ge_u32 s4, s2
	s_cselect_b32 s3, s5, s3
	s_cselect_b32 s4, s6, s4
	s_add_i32 s5, s3, 1
	s_cmp_ge_u32 s4, s2
	s_cselect_b32 s44, s5, s3
	s_abs_i32 s2, s41
	s_abs_i32 s7, s39
	v_cvt_f32_u32_e32 v1, s2
	s_sub_i32 s4, 0, s2
	s_lshl_b32 s5, s15, 1
	s_mul_i32 s6, s44, s39
	s_delay_alu instid0(VALU_DEP_1) | instskip(SKIP_3) | instid1(VALU_DEP_1)
	v_rcp_iflag_f32_e32 v1, v1
	s_sub_i32 s34, s5, s6
	s_waitcnt_depctr 0xfff
	v_mul_f32_e32 v1, 0x4f7ffffe, v1
	v_cvt_u32_f32_e32 v1, v1
	s_delay_alu instid0(VALU_DEP_1) | instskip(NEXT) | instid1(VALU_DEP_1)
	v_readfirstlane_b32 s3, v1
	s_mul_i32 s4, s4, s3
	s_delay_alu instid0(SALU_CYCLE_1) | instskip(NEXT) | instid1(SALU_CYCLE_1)
	s_mul_hi_u32 s4, s3, s4
	s_add_i32 s3, s3, s4
	s_xor_b32 s4, s39, s41
	s_mul_hi_u32 s3, s7, s3
	s_ashr_i32 s4, s4, 31
	s_mul_i32 s5, s3, s2
	s_add_i32 s6, s3, 1
	s_sub_i32 s5, s7, s5
	s_delay_alu instid0(SALU_CYCLE_1)
	s_sub_i32 s7, s5, s2
	s_cmp_ge_u32 s5, s2
	s_cselect_b32 s3, s6, s3
	s_cselect_b32 s5, s7, s5
	s_add_i32 s6, s3, 1
	s_cmp_ge_u32 s5, s2
	s_cselect_b32 s2, s6, s3
	s_delay_alu instid0(SALU_CYCLE_1) | instskip(NEXT) | instid1(SALU_CYCLE_1)
	s_xor_b32 s2, s2, s4
	s_sub_i32 s9, s2, s4
	s_clause 0x1
	s_load_b512 s[16:31], s[0:1], 0x0
	s_load_b64 s[2:3], s[0:1], 0xb8
	s_abs_i32 s8, s9
	s_delay_alu instid0(SALU_CYCLE_1) | instskip(NEXT) | instid1(VALU_DEP_1)
	v_cvt_f32_u32_e32 v1, s8
	v_rcp_iflag_f32_e32 v1, v1
	s_waitcnt_depctr 0xfff
	v_mul_f32_e32 v1, 0x4f7ffffe, v1
	s_waitcnt lgkmcnt(0)
	s_cmp_eq_u64 s[22:23], 0
	s_delay_alu instid0(VALU_DEP_1) | instskip(NEXT) | instid1(VALU_DEP_1)
	v_cvt_u32_f32_e32 v1, v1
	v_readfirstlane_b32 s10, v1
	s_cbranch_scc1 .LBB33_2
; %bb.1:
	s_abs_i32 s2, s2
	s_abs_i32 s6, s44
	v_cvt_f32_u32_e32 v1, s2
	s_sub_i32 s5, 0, s2
	s_delay_alu instid0(VALU_DEP_1) | instskip(SKIP_2) | instid1(VALU_DEP_1)
	v_rcp_iflag_f32_e32 v1, v1
	s_waitcnt_depctr 0xfff
	v_mul_f32_e32 v1, 0x4f7ffffe, v1
	v_cvt_u32_f32_e32 v1, v1
	s_delay_alu instid0(VALU_DEP_1) | instskip(NEXT) | instid1(VALU_DEP_1)
	v_readfirstlane_b32 s4, v1
	s_mul_i32 s5, s5, s4
	s_delay_alu instid0(SALU_CYCLE_1) | instskip(NEXT) | instid1(SALU_CYCLE_1)
	s_mul_hi_u32 s5, s4, s5
	s_add_i32 s7, s4, s5
	s_load_b64 s[4:5], s[0:1], 0xc8
	s_mul_hi_u32 s7, s6, s7
	s_delay_alu instid0(SALU_CYCLE_1) | instskip(NEXT) | instid1(SALU_CYCLE_1)
	s_mul_i32 s7, s7, s2
	s_sub_i32 s6, s6, s7
	s_ashr_i32 s7, s44, 31
	s_sub_i32 s11, s6, s2
	s_cmp_ge_u32 s6, s2
	s_cselect_b32 s6, s11, s6
	s_delay_alu instid0(SALU_CYCLE_1) | instskip(SKIP_2) | instid1(SALU_CYCLE_1)
	s_sub_i32 s11, s6, s2
	s_cmp_ge_u32 s6, s2
	s_cselect_b32 s2, s11, s6
	s_xor_b32 s2, s2, s7
	s_delay_alu instid0(SALU_CYCLE_1)
	s_sub_i32 s2, s2, s7
	s_waitcnt lgkmcnt(0)
	s_mul_i32 s5, s2, s5
	s_mul_hi_u32 s6, s2, s4
	s_ashr_i32 s7, s2, 31
	s_add_i32 s5, s6, s5
	s_mul_i32 s7, s7, s4
	s_mul_i32 s2, s2, s4
	s_add_i32 s5, s5, s7
	s_add_u32 s42, s22, s2
	s_addc_u32 s43, s23, s5
.LBB33_2:
	s_clause 0x1
	s_load_b128 s[48:51], s[0:1], 0x70
	s_load_b32 s11, s[0:1], 0x40
	v_and_b32_e32 v33, 0x3ff, v0
	v_bfe_u32 v25, v0, 10, 10
	s_lshl_b32 s33, s13, 5
	s_delay_alu instid0(VALU_DEP_2) | instskip(SKIP_1) | instid1(VALU_DEP_3)
	v_lshlrev_b32_e32 v24, 1, v33
	v_cmp_gt_u32_e64 s2, 20, v33
	v_lshl_add_u32 v8, v25, 2, s33
	s_delay_alu instid0(VALU_DEP_3)
	v_lshlrev_b32_e32 v0, 2, v24
	s_waitcnt lgkmcnt(0)
	s_mul_i32 s5, s44, s50
	s_mul_i32 s6, s34, s49
	s_ashr_i32 s7, s5, 31
	s_add_u32 s5, s16, s5
	s_addc_u32 s7, s17, s7
	s_ashr_i32 s15, s6, 31
	s_add_u32 s12, s5, s6
	s_mov_b32 s4, s49
	s_addc_u32 s15, s7, s15
	s_ashr_i32 s5, s49, 31
	s_ashr_i32 s49, s48, 31
	s_lshr_b64 s[4:5], s[4:5], 2
	s_lshr_b64 s[6:7], s[48:49], 2
	s_and_saveexec_b32 s16, s2
	s_cbranch_execz .LBB33_4
; %bb.3:
	v_mul_hi_u32 v1, v8, s36
	s_lshl_b64 s[22:23], s[4:5], 2
	s_delay_alu instid0(SALU_CYCLE_1) | instskip(SKIP_1) | instid1(VALU_DEP_1)
	s_add_u32 s17, s12, s22
	s_addc_u32 s22, s15, s23
	v_add_nc_u32_e32 v1, v8, v1
	s_delay_alu instid0(VALU_DEP_1) | instskip(NEXT) | instid1(VALU_DEP_1)
	v_lshrrev_b32_e32 v1, s37, v1
	v_mul_lo_u32 v1, v1, s38
	s_delay_alu instid0(VALU_DEP_1) | instskip(NEXT) | instid1(VALU_DEP_1)
	v_sub_nc_u32_e32 v5, v8, v1
	v_mad_u64_u32 v[1:2], null, s6, v5, 0
	s_delay_alu instid0(VALU_DEP_1) | instskip(NEXT) | instid1(VALU_DEP_1)
	v_mad_u64_u32 v[3:4], null, s7, v5, v[2:3]
	v_mov_b32_e32 v2, v3
	s_delay_alu instid0(VALU_DEP_1) | instskip(NEXT) | instid1(VALU_DEP_1)
	v_lshlrev_b64 v[1:2], 2, v[1:2]
	v_add_co_u32 v3, vcc_lo, s12, v1
	s_delay_alu instid0(VALU_DEP_2) | instskip(SKIP_2) | instid1(VALU_DEP_4)
	v_add_co_ci_u32_e32 v4, vcc_lo, s15, v2, vcc_lo
	v_add_co_u32 v5, vcc_lo, s17, v1
	v_add_co_ci_u32_e32 v6, vcc_lo, s22, v2, vcc_lo
	v_add_co_u32 v1, vcc_lo, v3, v0
	s_delay_alu instid0(VALU_DEP_4) | instskip(NEXT) | instid1(VALU_DEP_4)
	v_add_co_ci_u32_e32 v2, vcc_lo, 0, v4, vcc_lo
	v_add_co_u32 v3, vcc_lo, v5, v0
	s_delay_alu instid0(VALU_DEP_4) | instskip(SKIP_4) | instid1(VALU_DEP_1)
	v_add_co_ci_u32_e32 v4, vcc_lo, 0, v6, vcc_lo
	s_clause 0x1
	global_load_b64 v[1:2], v[1:2], off
	global_load_b64 v[3:4], v[3:4], off
	v_mul_u32_u24_e32 v5, 0xa0, v25
	v_or_b32_e32 v5, v5, v33
	s_delay_alu instid0(VALU_DEP_1) | instskip(SKIP_4) | instid1(VALU_DEP_2)
	v_lshlrev_b32_e32 v5, 2, v5
	s_waitcnt vmcnt(1)
	v_fma_mixlo_f16 v1, v1, s11, 0
	s_waitcnt vmcnt(0)
	v_fma_mixlo_f16 v3, v3, s11, 0
	v_fma_mixhi_f16 v1, v2, s11, 0
	s_delay_alu instid0(VALU_DEP_2)
	v_fma_mixhi_f16 v3, v4, s11, 0
	ds_store_2addr_b32 v5, v1, v3 offset1:20
.LBB33_4:
	s_or_b32 exec_lo, exec_lo, s16
	v_lshlrev_b32_e32 v9, 3, v25
	s_delay_alu instid0(VALU_DEP_1) | instskip(NEXT) | instid1(VALU_DEP_1)
	v_or_b32_e32 v1, 2, v9
	v_lshrrev_b32_e32 v32, 1, v1
	s_and_saveexec_b32 s16, s2
	s_cbranch_execnz .LBB33_15
; %bb.5:
	s_or_b32 exec_lo, exec_lo, s16
	v_or_b32_e32 v31, 3, v9
	s_and_saveexec_b32 s16, s2
	s_cbranch_execnz .LBB33_16
.LBB33_6:
	s_or_b32 exec_lo, exec_lo, s16
	v_or_b32_e32 v30, 4, v9
	s_and_saveexec_b32 s16, s2
	s_cbranch_execnz .LBB33_17
.LBB33_7:
	s_or_b32 exec_lo, exec_lo, s16
	v_or_b32_e32 v29, 5, v9
	s_and_saveexec_b32 s16, s2
	s_cbranch_execnz .LBB33_18
.LBB33_8:
	s_or_b32 exec_lo, exec_lo, s16
	v_or_b32_e32 v28, 6, v9
	s_and_saveexec_b32 s16, s2
	s_cbranch_execnz .LBB33_19
.LBB33_9:
	s_or_b32 exec_lo, exec_lo, s16
	v_or_b32_e32 v27, 7, v9
	s_and_saveexec_b32 s16, s2
	s_cbranch_execz .LBB33_11
.LBB33_10:
	s_delay_alu instid0(VALU_DEP_1) | instskip(SKIP_1) | instid1(SALU_CYCLE_1)
	v_lshrrev_b32_e32 v1, 1, v27
	s_lshl_b64 s[4:5], s[4:5], 2
	s_add_u32 s4, s12, s4
	s_addc_u32 s5, s15, s5
	s_delay_alu instid0(VALU_DEP_1) | instskip(NEXT) | instid1(VALU_DEP_1)
	v_add_nc_u32_e32 v1, s33, v1
	v_mul_hi_u32 v2, v1, s36
	s_delay_alu instid0(VALU_DEP_1) | instskip(NEXT) | instid1(VALU_DEP_1)
	v_add_nc_u32_e32 v2, v1, v2
	v_lshrrev_b32_e32 v2, s37, v2
	s_delay_alu instid0(VALU_DEP_1) | instskip(NEXT) | instid1(VALU_DEP_1)
	v_mul_lo_u32 v2, v2, s38
	v_sub_nc_u32_e32 v5, v1, v2
	s_delay_alu instid0(VALU_DEP_1) | instskip(NEXT) | instid1(VALU_DEP_1)
	v_mad_u64_u32 v[1:2], null, s6, v5, 0
	v_mad_u64_u32 v[3:4], null, s7, v5, v[2:3]
	s_delay_alu instid0(VALU_DEP_1) | instskip(NEXT) | instid1(VALU_DEP_1)
	v_mov_b32_e32 v2, v3
	v_lshlrev_b64 v[1:2], 2, v[1:2]
	s_delay_alu instid0(VALU_DEP_1) | instskip(NEXT) | instid1(VALU_DEP_2)
	v_add_co_u32 v1, vcc_lo, s4, v1
	v_add_co_ci_u32_e32 v2, vcc_lo, s5, v2, vcc_lo
	s_delay_alu instid0(VALU_DEP_2) | instskip(NEXT) | instid1(VALU_DEP_2)
	v_add_co_u32 v0, vcc_lo, v1, v0
	v_add_co_ci_u32_e32 v1, vcc_lo, 0, v2, vcc_lo
	v_mul_u32_u24_e32 v2, 20, v27
	global_load_b64 v[0:1], v[0:1], off
	s_waitcnt vmcnt(0)
	v_fma_mixlo_f16 v0, v0, s11, 0
	s_delay_alu instid0(VALU_DEP_1)
	v_fma_mixhi_f16 v0, v1, s11, 0
	v_add_lshl_u32 v1, v2, v33, 2
	ds_store_b32 v1, v0
.LBB33_11:
	s_or_b32 exec_lo, exec_lo, s16
	s_cmp_eq_u64 s[26:27], 0
	s_waitcnt lgkmcnt(0)
	s_barrier
	buffer_gl0_inv
	s_cbranch_scc1 .LBB33_13
; %bb.12:
	s_load_b32 s4, s[0:1], 0xd0
	s_mov_b32 s5, 0
	s_waitcnt lgkmcnt(0)
	s_mul_i32 s4, s4, s44
	s_delay_alu instid0(SALU_CYCLE_1) | instskip(NEXT) | instid1(SALU_CYCLE_1)
	s_add_i32 s4, s4, s13
	s_lshl_b64 s[4:5], s[4:5], 2
	s_delay_alu instid0(SALU_CYCLE_1)
	s_add_u32 s4, s26, s4
	s_addc_u32 s5, s27, s5
	s_load_b32 s40, s[4:5], 0x0
.LBB33_13:
	v_mbcnt_lo_u32_b32 v16, -1, 0
	s_lshl_b32 s35, s14, 5
	s_waitcnt lgkmcnt(0)
	s_cmp_lt_i32 s35, s40
	s_cbranch_scc1 .LBB33_20
; %bb.14:
	v_mbcnt_lo_u32_b32 v10, -1, 0
	v_mov_b32_e32 v17, 32
	s_mov_b32 s4, 0
	s_mov_b32 s5, 0xfeffffff
	s_delay_alu instid0(VALU_DEP_2)
	v_xor_b32_e32 v22, 16, v10
	v_xor_b32_e32 v21, 8, v10
	;; [unrolled: 1-line block ×5, first 2 shown]
	s_branch .LBB33_21
.LBB33_15:
	s_delay_alu instid0(VALU_DEP_1) | instskip(SKIP_1) | instid1(VALU_DEP_2)
	v_add_nc_u32_e32 v2, s33, v32
	v_mul_u32_u24_e32 v1, 20, v1
	v_mul_hi_u32 v3, v2, s36
	s_delay_alu instid0(VALU_DEP_2) | instskip(NEXT) | instid1(VALU_DEP_2)
	v_add_lshl_u32 v1, v1, v33, 2
	v_add_nc_u32_e32 v3, v2, v3
	s_delay_alu instid0(VALU_DEP_1) | instskip(NEXT) | instid1(VALU_DEP_1)
	v_lshrrev_b32_e32 v3, s37, v3
	v_mul_lo_u32 v3, v3, s38
	s_delay_alu instid0(VALU_DEP_1) | instskip(NEXT) | instid1(VALU_DEP_1)
	v_sub_nc_u32_e32 v6, v2, v3
	v_mad_u64_u32 v[2:3], null, s6, v6, 0
	s_delay_alu instid0(VALU_DEP_1) | instskip(NEXT) | instid1(VALU_DEP_1)
	v_mad_u64_u32 v[4:5], null, s7, v6, v[3:4]
	v_mov_b32_e32 v3, v4
	s_delay_alu instid0(VALU_DEP_1) | instskip(NEXT) | instid1(VALU_DEP_1)
	v_lshlrev_b64 v[2:3], 2, v[2:3]
	v_add_co_u32 v2, vcc_lo, s12, v2
	s_delay_alu instid0(VALU_DEP_2) | instskip(NEXT) | instid1(VALU_DEP_2)
	v_add_co_ci_u32_e32 v3, vcc_lo, s15, v3, vcc_lo
	v_add_co_u32 v2, vcc_lo, v2, v0
	s_delay_alu instid0(VALU_DEP_2) | instskip(SKIP_3) | instid1(VALU_DEP_1)
	v_add_co_ci_u32_e32 v3, vcc_lo, 0, v3, vcc_lo
	global_load_b64 v[2:3], v[2:3], off
	s_waitcnt vmcnt(0)
	v_fma_mixlo_f16 v2, v2, s11, 0
	v_fma_mixhi_f16 v2, v3, s11, 0
	ds_store_b32 v1, v2
	s_or_b32 exec_lo, exec_lo, s16
	v_or_b32_e32 v31, 3, v9
	s_and_saveexec_b32 s16, s2
	s_cbranch_execz .LBB33_6
.LBB33_16:
	s_delay_alu instid0(VALU_DEP_1) | instskip(SKIP_1) | instid1(SALU_CYCLE_1)
	v_lshrrev_b32_e32 v1, 1, v31
	s_lshl_b64 s[22:23], s[4:5], 2
	s_add_u32 s17, s12, s22
	s_addc_u32 s22, s15, s23
	s_delay_alu instid0(VALU_DEP_1) | instskip(NEXT) | instid1(VALU_DEP_1)
	v_add_nc_u32_e32 v1, s33, v1
	v_mul_hi_u32 v2, v1, s36
	s_delay_alu instid0(VALU_DEP_1) | instskip(NEXT) | instid1(VALU_DEP_1)
	v_add_nc_u32_e32 v2, v1, v2
	v_lshrrev_b32_e32 v2, s37, v2
	s_delay_alu instid0(VALU_DEP_1) | instskip(NEXT) | instid1(VALU_DEP_1)
	v_mul_lo_u32 v2, v2, s38
	v_sub_nc_u32_e32 v5, v1, v2
	s_delay_alu instid0(VALU_DEP_1) | instskip(NEXT) | instid1(VALU_DEP_1)
	v_mad_u64_u32 v[1:2], null, s6, v5, 0
	v_mad_u64_u32 v[3:4], null, s7, v5, v[2:3]
	s_delay_alu instid0(VALU_DEP_1) | instskip(SKIP_1) | instid1(VALU_DEP_2)
	v_mov_b32_e32 v2, v3
	v_mul_u32_u24_e32 v3, 20, v31
	v_lshlrev_b64 v[1:2], 2, v[1:2]
	s_delay_alu instid0(VALU_DEP_1) | instskip(NEXT) | instid1(VALU_DEP_2)
	v_add_co_u32 v1, vcc_lo, s17, v1
	v_add_co_ci_u32_e32 v2, vcc_lo, s22, v2, vcc_lo
	s_delay_alu instid0(VALU_DEP_2) | instskip(NEXT) | instid1(VALU_DEP_2)
	v_add_co_u32 v1, vcc_lo, v1, v0
	v_add_co_ci_u32_e32 v2, vcc_lo, 0, v2, vcc_lo
	global_load_b64 v[1:2], v[1:2], off
	s_waitcnt vmcnt(0)
	v_fma_mixlo_f16 v1, v1, s11, 0
	s_delay_alu instid0(VALU_DEP_1)
	v_fma_mixhi_f16 v1, v2, s11, 0
	v_add_lshl_u32 v2, v3, v33, 2
	ds_store_b32 v2, v1
	s_or_b32 exec_lo, exec_lo, s16
	v_or_b32_e32 v30, 4, v9
	s_and_saveexec_b32 s16, s2
	s_cbranch_execz .LBB33_7
.LBB33_17:
	s_delay_alu instid0(VALU_DEP_1) | instskip(NEXT) | instid1(VALU_DEP_1)
	v_lshrrev_b32_e32 v1, 1, v30
	v_add_nc_u32_e32 v1, s33, v1
	s_delay_alu instid0(VALU_DEP_1) | instskip(NEXT) | instid1(VALU_DEP_1)
	v_mul_hi_u32 v2, v1, s36
	v_add_nc_u32_e32 v2, v1, v2
	s_delay_alu instid0(VALU_DEP_1) | instskip(NEXT) | instid1(VALU_DEP_1)
	v_lshrrev_b32_e32 v2, s37, v2
	v_mul_lo_u32 v2, v2, s38
	s_delay_alu instid0(VALU_DEP_1) | instskip(NEXT) | instid1(VALU_DEP_1)
	v_sub_nc_u32_e32 v5, v1, v2
	v_mad_u64_u32 v[1:2], null, s6, v5, 0
	s_delay_alu instid0(VALU_DEP_1) | instskip(NEXT) | instid1(VALU_DEP_1)
	v_mad_u64_u32 v[3:4], null, s7, v5, v[2:3]
	v_mov_b32_e32 v2, v3
	v_mul_u32_u24_e32 v3, 20, v30
	s_delay_alu instid0(VALU_DEP_2) | instskip(NEXT) | instid1(VALU_DEP_1)
	v_lshlrev_b64 v[1:2], 2, v[1:2]
	v_add_co_u32 v1, vcc_lo, s12, v1
	s_delay_alu instid0(VALU_DEP_2) | instskip(NEXT) | instid1(VALU_DEP_2)
	v_add_co_ci_u32_e32 v2, vcc_lo, s15, v2, vcc_lo
	v_add_co_u32 v1, vcc_lo, v1, v0
	s_delay_alu instid0(VALU_DEP_2) | instskip(SKIP_3) | instid1(VALU_DEP_1)
	v_add_co_ci_u32_e32 v2, vcc_lo, 0, v2, vcc_lo
	global_load_b64 v[1:2], v[1:2], off
	s_waitcnt vmcnt(0)
	v_fma_mixlo_f16 v1, v1, s11, 0
	v_fma_mixhi_f16 v1, v2, s11, 0
	v_add_lshl_u32 v2, v3, v33, 2
	ds_store_b32 v2, v1
	s_or_b32 exec_lo, exec_lo, s16
	v_or_b32_e32 v29, 5, v9
	s_and_saveexec_b32 s16, s2
	s_cbranch_execz .LBB33_8
.LBB33_18:
	s_delay_alu instid0(VALU_DEP_1) | instskip(SKIP_1) | instid1(SALU_CYCLE_1)
	v_lshrrev_b32_e32 v1, 1, v29
	s_lshl_b64 s[22:23], s[4:5], 2
	s_add_u32 s17, s12, s22
	s_addc_u32 s22, s15, s23
	s_delay_alu instid0(VALU_DEP_1) | instskip(NEXT) | instid1(VALU_DEP_1)
	v_add_nc_u32_e32 v1, s33, v1
	v_mul_hi_u32 v2, v1, s36
	s_delay_alu instid0(VALU_DEP_1) | instskip(NEXT) | instid1(VALU_DEP_1)
	v_add_nc_u32_e32 v2, v1, v2
	v_lshrrev_b32_e32 v2, s37, v2
	s_delay_alu instid0(VALU_DEP_1) | instskip(NEXT) | instid1(VALU_DEP_1)
	v_mul_lo_u32 v2, v2, s38
	v_sub_nc_u32_e32 v5, v1, v2
	s_delay_alu instid0(VALU_DEP_1) | instskip(NEXT) | instid1(VALU_DEP_1)
	v_mad_u64_u32 v[1:2], null, s6, v5, 0
	v_mad_u64_u32 v[3:4], null, s7, v5, v[2:3]
	s_delay_alu instid0(VALU_DEP_1) | instskip(SKIP_1) | instid1(VALU_DEP_2)
	v_mov_b32_e32 v2, v3
	v_mul_u32_u24_e32 v3, 20, v29
	v_lshlrev_b64 v[1:2], 2, v[1:2]
	s_delay_alu instid0(VALU_DEP_1) | instskip(NEXT) | instid1(VALU_DEP_2)
	v_add_co_u32 v1, vcc_lo, s17, v1
	v_add_co_ci_u32_e32 v2, vcc_lo, s22, v2, vcc_lo
	s_delay_alu instid0(VALU_DEP_2) | instskip(NEXT) | instid1(VALU_DEP_2)
	v_add_co_u32 v1, vcc_lo, v1, v0
	v_add_co_ci_u32_e32 v2, vcc_lo, 0, v2, vcc_lo
	global_load_b64 v[1:2], v[1:2], off
	s_waitcnt vmcnt(0)
	v_fma_mixlo_f16 v1, v1, s11, 0
	s_delay_alu instid0(VALU_DEP_1)
	v_fma_mixhi_f16 v1, v2, s11, 0
	v_add_lshl_u32 v2, v3, v33, 2
	ds_store_b32 v2, v1
	s_or_b32 exec_lo, exec_lo, s16
	v_or_b32_e32 v28, 6, v9
	s_and_saveexec_b32 s16, s2
	s_cbranch_execz .LBB33_9
.LBB33_19:
	s_delay_alu instid0(VALU_DEP_1) | instskip(NEXT) | instid1(VALU_DEP_1)
	v_lshrrev_b32_e32 v1, 1, v28
	v_add_nc_u32_e32 v1, s33, v1
	s_delay_alu instid0(VALU_DEP_1) | instskip(NEXT) | instid1(VALU_DEP_1)
	v_mul_hi_u32 v2, v1, s36
	v_add_nc_u32_e32 v2, v1, v2
	s_delay_alu instid0(VALU_DEP_1) | instskip(NEXT) | instid1(VALU_DEP_1)
	v_lshrrev_b32_e32 v2, s37, v2
	v_mul_lo_u32 v2, v2, s38
	s_delay_alu instid0(VALU_DEP_1) | instskip(NEXT) | instid1(VALU_DEP_1)
	v_sub_nc_u32_e32 v5, v1, v2
	v_mad_u64_u32 v[1:2], null, s6, v5, 0
	s_delay_alu instid0(VALU_DEP_1) | instskip(NEXT) | instid1(VALU_DEP_1)
	v_mad_u64_u32 v[3:4], null, s7, v5, v[2:3]
	v_mov_b32_e32 v2, v3
	v_mul_u32_u24_e32 v3, 20, v28
	s_delay_alu instid0(VALU_DEP_2) | instskip(NEXT) | instid1(VALU_DEP_1)
	v_lshlrev_b64 v[1:2], 2, v[1:2]
	v_add_co_u32 v1, vcc_lo, s12, v1
	s_delay_alu instid0(VALU_DEP_2) | instskip(NEXT) | instid1(VALU_DEP_2)
	v_add_co_ci_u32_e32 v2, vcc_lo, s15, v2, vcc_lo
	v_add_co_u32 v1, vcc_lo, v1, v0
	s_delay_alu instid0(VALU_DEP_2) | instskip(SKIP_3) | instid1(VALU_DEP_1)
	v_add_co_ci_u32_e32 v2, vcc_lo, 0, v2, vcc_lo
	global_load_b64 v[1:2], v[1:2], off
	s_waitcnt vmcnt(0)
	v_fma_mixlo_f16 v1, v1, s11, 0
	v_fma_mixhi_f16 v1, v2, s11, 0
	v_add_lshl_u32 v2, v3, v33, 2
	ds_store_b32 v2, v1
	s_or_b32 exec_lo, exec_lo, s16
	v_or_b32_e32 v27, 7, v9
	s_and_saveexec_b32 s16, s2
	s_cbranch_execnz .LBB33_10
	s_branch .LBB33_11
.LBB33_20:
	s_mov_b32 s4, -1
                                        ; implicit-def: $sgpr5
                                        ; implicit-def: $vgpr10
                                        ; implicit-def: $vgpr17
                                        ; implicit-def: $vgpr22
                                        ; implicit-def: $vgpr21
                                        ; implicit-def: $vgpr20
                                        ; implicit-def: $vgpr19
                                        ; implicit-def: $vgpr18
.LBB33_21:
	s_delay_alu instid0(SALU_CYCLE_1) | instskip(SKIP_2) | instid1(VALU_DEP_3)
	v_cndmask_b32_e64 v0, 0, 1, s4
	v_dual_mov_b32 v7, s5 :: v_dual_mov_b32 v70, s4
	v_dual_mov_b32 v41, s4 :: v_dual_mov_b32 v6, s5
	v_cmp_ne_u32_e32 vcc_lo, 1, v0
	v_dual_mov_b32 v5, s5 :: v_dual_mov_b32 v4, s5
	v_dual_mov_b32 v3, s5 :: v_dual_mov_b32 v2, s5
	;; [unrolled: 1-line block ×10, first 2 shown]
	s_cbranch_vccnz .LBB33_34
; %bb.22:
	s_clause 0x1
	s_load_b128 s[4:7], s[0:1], 0x98
	s_load_b64 s[12:13], s[0:1], 0x8c
	s_sub_i32 s11, 0, s8
	v_dual_mov_b32 v17, 32 :: v_dual_add_nc_u32 v4, 1, v8
	v_dual_mov_b32 v35, 0 :: v_dual_add_nc_u32 v6, 2, v8
	s_mul_i32 s11, s11, s10
	s_delay_alu instid0(VALU_DEP_2) | instskip(SKIP_1) | instid1(VALU_DEP_2)
	v_mul_hi_u32 v1, s36, v4
	s_mul_hi_u32 s11, s10, s11
	v_mul_hi_u32 v2, s36, v6
	s_abs_i32 s15, s34
	s_add_i32 s10, s10, s11
	s_ashr_i32 s11, s3, 1
	s_mul_hi_u32 s3, s15, s10
	s_ashr_i32 s10, s44, 31
	v_lshrrev_b32_e32 v0, 2, v33
	v_dual_mov_b32 v39, 0 :: v_dual_add_nc_u32 v10, 3, v8
	s_ashr_i32 s22, s34, 31
	s_waitcnt lgkmcnt(0)
	s_ashr_i32 s41, s6, 2
	s_mul_i32 s5, s44, s5
	s_mul_hi_u32 s6, s44, s4
	s_ashr_i32 s45, s12, 2
	s_mul_i32 s12, s10, s4
	s_add_i32 s5, s6, s5
	s_mul_i32 s4, s44, s4
	s_ashr_i32 s9, s9, 31
	s_load_b64 s[16:17], s[0:1], 0xa8
	s_mul_i32 s23, s3, s8
	s_add_i32 s5, s5, s12
	s_add_u32 s4, s18, s4
	v_dual_mov_b32 v38, 0 :: v_dual_add_nc_u32 v1, v4, v1
	v_dual_mov_b32 v63, 0xfeffffff :: v_dual_add_nc_u32 v2, v6, v2
	s_addc_u32 s5, s19, s5
	s_xor_b32 s6, s22, s9
	s_sub_i32 s9, s15, s23
	s_add_i32 s12, s3, 1
	s_sub_i32 s15, s9, s8
	v_dual_mov_b32 v34, 0 :: v_dual_add_nc_u32 v7, v9, v0
	v_mul_hi_u32 v0, s36, v8
	v_mul_hi_u32 v3, s36, v10
	s_cmp_ge_u32 s9, s8
	v_lshrrev_b32_e32 v1, s37, v1
	v_lshrrev_b32_e32 v14, s37, v2
	s_cselect_b32 s3, s12, s3
	v_dual_mov_b32 v62, 0xfeffffff :: v_dual_lshlrev_b32 v9, 2, v33
	s_cselect_b32 s9, s15, s9
	s_add_i32 s12, s3, 1
	s_cmp_ge_u32 s9, s8
	v_mul_lo_u32 v15, v1, s38
	v_mul_lo_u32 v14, v14, s38
	s_cselect_b32 s3, s12, s3
	v_dual_mov_b32 v37, 0 :: v_dual_and_b32 v18, 12, v9
	v_dual_mov_b32 v36, 0 :: v_dual_add_nc_u32 v13, v8, v0
	v_dual_mov_b32 v40, 0 :: v_dual_add_nc_u32 v3, v10, v3
	s_xor_b32 s3, s3, s6
	v_mul_u32_u24_e32 v11, 0x60, v7
	s_sub_i32 s3, s3, s6
	v_dual_mov_b32 v41, 0 :: v_dual_lshlrev_b32 v12, 2, v18
	v_lshrrev_b32_e32 v13, s37, v13
	v_lshrrev_b32_e32 v3, s37, v3
	s_mul_i32 s6, s3, s13
	v_lshl_add_u32 v5, v25, 5, v33
	v_sub_nc_u32_e32 v4, v4, v15
	v_sub_nc_u32_e32 v6, v6, v14
	s_waitcnt lgkmcnt(0)
	s_mul_i32 s8, s44, s17
	s_mul_hi_u32 s9, s44, s16
	s_ashr_i32 s13, s6, 31
	s_add_u32 s46, s4, s6
	s_mul_i32 s10, s10, s16
	s_addc_u32 s47, s5, s13
	s_add_i32 s4, s9, s8
	v_mul_lo_u32 v13, v13, s38
	v_add3_u32 v42, v11, v12, 0x2400
	v_mul_lo_u32 v11, v3, s38
	s_mul_i32 s12, s44, s16
	s_mul_i32 s3, s3, s7
	s_add_i32 s4, s4, s10
	v_mul_lo_u32 v0, s45, v7
	v_mul_lo_u32 v2, s45, v5
	;; [unrolled: 1-line block ×6, first 2 shown]
	s_add_u32 s5, s20, s12
	s_addc_u32 s4, s21, s4
	s_ashr_i32 s6, s3, 31
	s_add_u32 s48, s5, s3
	v_cmp_gt_u32_e64 s3, 32, v7
	v_mul_u32_u24_e32 v7, 0x50, v7
	s_movk_i32 s5, 0x2440
	v_sub_nc_u32_e32 v8, v8, v13
	v_mad_u32_u24 v43, 0x60, v5, s5
	v_sub_nc_u32_e32 v10, v10, v11
	s_movk_i32 s5, 0x50
	v_cmp_gt_u32_e32 vcc_lo, 32, v5
	v_ashrrev_i32_e32 v1, 31, v0
	v_ashrrev_i32_e32 v3, 31, v2
	v_lshl_add_u32 v48, v25, 9, 0x1400
	v_dual_mov_b32 v64, 0xfeffffff :: v_dual_lshlrev_b32 v13, 4, v33
	v_mad_u32_u24 v49, v5, s5, 0x2440
	v_ashrrev_i32_e32 v5, 31, v4
	v_add3_u32 v50, v7, v12, 0x2400
	v_ashrrev_i32_e32 v7, 31, v6
	v_mul_lo_u32 v44, v8, s11
	v_mul_lo_u32 v47, v10, s11
	v_dual_mov_b32 v60, 0 :: v_dual_add_nc_u32 v51, 0x2400, v9
	v_lshlrev_b64 v[8:9], 2, v[2:3]
	v_lshlrev_b64 v[10:11], 2, v[0:1]
	v_dual_mov_b32 v67, 0xfeffffff :: v_dual_add_nc_u32 v52, v48, v13
	v_lshlrev_b64 v[12:13], 2, v[4:5]
	v_lshlrev_b64 v[14:15], 2, v[6:7]
	v_mul_u32_u24_e32 v23, 0x60, v33
	v_mul_u32_u24_e32 v26, 0x280, v25
	v_dual_mov_b32 v68, 0xfeffffff :: v_dual_lshlrev_b32 v53, 2, v18
	v_xor_b32_e32 v22, 16, v16
	v_xor_b32_e32 v21, 8, v16
	;; [unrolled: 1-line block ×5, first 2 shown]
	v_dual_mov_b32 v65, 0xfeffffff :: v_dual_mov_b32 v66, 0xfeffffff
	v_dual_mov_b32 v69, 0xfeffffff :: v_dual_mov_b32 v56, 0
	;; [unrolled: 1-line block ×4, first 2 shown]
	v_mov_b32_e32 v57, 0
	v_mov_b32_e32 v55, 0
	s_addc_u32 s36, s4, s6
	s_add_u32 s22, s0, 0xd0
	s_addc_u32 s23, s1, 0
.LBB33_23:                              ; =>This Inner Loop Header: Depth=1
	s_mul_hi_i32 s5, s35, s45
	s_mul_i32 s4, s35, s45
	s_delay_alu instid0(SALU_CYCLE_1) | instskip(NEXT) | instid1(SALU_CYCLE_1)
	s_lshl_b64 s[6:7], s[4:5], 2
	s_add_u32 s5, s46, s6
	s_addc_u32 s6, s47, s7
	s_and_saveexec_b32 s7, vcc_lo
	s_cbranch_execz .LBB33_25
; %bb.24:                               ;   in Loop: Header=BB33_23 Depth=1
	v_add_co_u32 v0, s4, s5, v8
	s_delay_alu instid0(VALU_DEP_1)
	v_add_co_ci_u32_e64 v1, s4, s6, v9, s4
	global_load_b128 v[0:3], v[0:1], off offset:64
	s_waitcnt vmcnt(0)
	ds_store_b128 v43, v[0:3]
.LBB33_25:                              ;   in Loop: Header=BB33_23 Depth=1
	s_or_b32 exec_lo, exec_lo, s7
	s_and_saveexec_b32 s7, s3
	s_cbranch_execz .LBB33_27
; %bb.26:                               ;   in Loop: Header=BB33_23 Depth=1
	v_add_co_u32 v0, s4, s5, v10
	s_delay_alu instid0(VALU_DEP_1) | instskip(NEXT) | instid1(VALU_DEP_2)
	v_add_co_ci_u32_e64 v1, s4, s6, v11, s4
	v_add_co_u32 v0, s4, v0, v53
	s_delay_alu instid0(VALU_DEP_1)
	v_add_co_ci_u32_e64 v1, s4, 0, v1, s4
	global_load_b128 v[0:3], v[0:1], off
	s_waitcnt vmcnt(0)
	ds_store_b128 v42, v[0:3]
.LBB33_27:                              ;   in Loop: Header=BB33_23 Depth=1
	s_or_b32 exec_lo, exec_lo, s7
	s_waitcnt lgkmcnt(0)
	s_barrier
	buffer_gl0_inv
	ds_load_b128 v[70:73], v23 offset:9216
	ds_load_b128 v[74:77], v26
	ds_load_b128 v[78:81], v26 offset:80
	ds_load_b128 v[82:85], v26 offset:160
	ds_load_b128 v[86:89], v26 offset:240
	ds_load_b128 v[90:93], v26 offset:320
	ds_load_b128 v[94:97], v26 offset:400
	ds_load_b128 v[98:101], v26 offset:480
	ds_load_b128 v[102:105], v26 offset:560
	v_dual_mov_b32 v0, 0 :: v_dual_mov_b32 v1, 0
	v_dual_mov_b32 v2, 0 :: v_dual_mov_b32 v3, 0
	;; [unrolled: 1-line block ×4, first 2 shown]
	v_add_nc_u32_e32 v110, s35, v33
	s_waitcnt lgkmcnt(7)
	;;#ASMSTART
	v_dot2_f32_f16 v0, v70, v74, v0
	;;#ASMEND
	;;#ASMSTART
	v_dot2_f32_f16 v0, v71, v75, v0
	;;#ASMEND
	;;#ASMSTART
	v_dot2_f32_f16 v0, v72, v76, v0
	;;#ASMEND
	;;#ASMSTART
	v_dot2_f32_f16 v0, v73, v77, v0
	;;#ASMEND
	s_waitcnt lgkmcnt(6)
	;;#ASMSTART
	v_dot2_f32_f16 v1, v70, v78, v1
	;;#ASMEND
	;;#ASMSTART
	v_dot2_f32_f16 v1, v71, v79, v1
	;;#ASMEND
	;;#ASMSTART
	v_dot2_f32_f16 v1, v72, v80, v1
	;;#ASMEND
	;;#ASMSTART
	v_dot2_f32_f16 v1, v73, v81, v1
	;;#ASMEND
	s_waitcnt lgkmcnt(5)
	;;#ASMSTART
	v_dot2_f32_f16 v2, v70, v82, v2
	;;#ASMEND
	;;#ASMSTART
	v_dot2_f32_f16 v2, v71, v83, v2
	;;#ASMEND
	;;#ASMSTART
	v_dot2_f32_f16 v2, v72, v84, v2
	;;#ASMEND
	;;#ASMSTART
	v_dot2_f32_f16 v2, v73, v85, v2
	;;#ASMEND
	s_waitcnt lgkmcnt(4)
	;;#ASMSTART
	v_dot2_f32_f16 v3, v70, v86, v3
	;;#ASMEND
	;;#ASMSTART
	v_dot2_f32_f16 v3, v71, v87, v3
	;;#ASMEND
	;;#ASMSTART
	v_dot2_f32_f16 v3, v72, v88, v3
	;;#ASMEND
	;;#ASMSTART
	v_dot2_f32_f16 v3, v73, v89, v3
	;;#ASMEND
	s_waitcnt lgkmcnt(3)
	;;#ASMSTART
	v_dot2_f32_f16 v4, v70, v90, v4
	;;#ASMEND
	;;#ASMSTART
	v_dot2_f32_f16 v4, v71, v91, v4
	;;#ASMEND
	;;#ASMSTART
	v_dot2_f32_f16 v4, v72, v92, v4
	;;#ASMEND
	;;#ASMSTART
	v_dot2_f32_f16 v4, v73, v93, v4
	;;#ASMEND
	s_waitcnt lgkmcnt(2)
	;;#ASMSTART
	v_dot2_f32_f16 v5, v70, v94, v5
	;;#ASMEND
	;;#ASMSTART
	v_dot2_f32_f16 v5, v71, v95, v5
	;;#ASMEND
	;;#ASMSTART
	v_dot2_f32_f16 v5, v72, v96, v5
	;;#ASMEND
	;;#ASMSTART
	v_dot2_f32_f16 v5, v73, v97, v5
	;;#ASMEND
	s_waitcnt lgkmcnt(1)
	;;#ASMSTART
	v_dot2_f32_f16 v6, v70, v98, v6
	;;#ASMEND
	;;#ASMSTART
	v_dot2_f32_f16 v6, v71, v99, v6
	;;#ASMEND
	;;#ASMSTART
	v_dot2_f32_f16 v6, v72, v100, v6
	;;#ASMEND
	;;#ASMSTART
	v_dot2_f32_f16 v6, v73, v101, v6
	;;#ASMEND
	s_waitcnt lgkmcnt(0)
	;;#ASMSTART
	v_dot2_f32_f16 v7, v70, v102, v7
	;;#ASMEND
	;;#ASMSTART
	v_dot2_f32_f16 v7, v71, v103, v7
	;;#ASMEND
	;;#ASMSTART
	v_dot2_f32_f16 v7, v72, v104, v7
	;;#ASMEND
	;;#ASMSTART
	v_dot2_f32_f16 v7, v73, v105, v7
	;;#ASMEND
	ds_load_b128 v[70:73], v23 offset:9232
	ds_load_b128 v[74:77], v26 offset:16
	;; [unrolled: 1-line block ×9, first 2 shown]
	v_add_nc_u32_e32 v106, v110, v44
	s_waitcnt lgkmcnt(7)
	;;#ASMSTART
	v_dot2_f32_f16 v0, v70, v74, v0
	;;#ASMEND
	;;#ASMSTART
	v_dot2_f32_f16 v0, v71, v75, v0
	;;#ASMEND
	;;#ASMSTART
	v_dot2_f32_f16 v0, v72, v76, v0
	;;#ASMEND
	;;#ASMSTART
	v_dot2_f32_f16 v0, v73, v77, v0
	;;#ASMEND
	s_waitcnt lgkmcnt(6)
	;;#ASMSTART
	v_dot2_f32_f16 v1, v70, v78, v1
	;;#ASMEND
	;;#ASMSTART
	v_dot2_f32_f16 v1, v71, v79, v1
	;;#ASMEND
	;;#ASMSTART
	v_dot2_f32_f16 v1, v72, v80, v1
	;;#ASMEND
	;;#ASMSTART
	v_dot2_f32_f16 v1, v73, v81, v1
	;;#ASMEND
	;; [unrolled: 13-line block ×8, first 2 shown]
	ds_load_b128 v[70:73], v23 offset:9248
	ds_load_b128 v[74:77], v26 offset:32
	;; [unrolled: 1-line block ×9, first 2 shown]
	s_waitcnt lgkmcnt(7)
	;;#ASMSTART
	v_dot2_f32_f16 v0, v70, v74, v0
	;;#ASMEND
	;;#ASMSTART
	v_dot2_f32_f16 v0, v71, v75, v0
	;;#ASMEND
	;;#ASMSTART
	v_dot2_f32_f16 v0, v72, v76, v0
	;;#ASMEND
	;;#ASMSTART
	v_dot2_f32_f16 v0, v73, v77, v0
	;;#ASMEND
	s_waitcnt lgkmcnt(6)
	;;#ASMSTART
	v_dot2_f32_f16 v1, v70, v78, v1
	;;#ASMEND
	;;#ASMSTART
	v_dot2_f32_f16 v1, v71, v79, v1
	;;#ASMEND
	;;#ASMSTART
	v_dot2_f32_f16 v1, v72, v80, v1
	;;#ASMEND
	;;#ASMSTART
	v_dot2_f32_f16 v1, v73, v81, v1
	;;#ASMEND
	;; [unrolled: 13-line block ×8, first 2 shown]
	ds_load_b128 v[70:73], v23 offset:9264
	ds_load_b128 v[74:77], v26 offset:48
	;; [unrolled: 1-line block ×9, first 2 shown]
	s_waitcnt lgkmcnt(7)
	;;#ASMSTART
	v_dot2_f32_f16 v0, v70, v74, v0
	;;#ASMEND
	;;#ASMSTART
	v_dot2_f32_f16 v0, v71, v75, v0
	;;#ASMEND
	;;#ASMSTART
	v_dot2_f32_f16 v0, v72, v76, v0
	;;#ASMEND
	;;#ASMSTART
	v_dot2_f32_f16 v0, v73, v77, v0
	;;#ASMEND
	s_waitcnt lgkmcnt(6)
	;;#ASMSTART
	v_dot2_f32_f16 v1, v70, v78, v1
	;;#ASMEND
	;;#ASMSTART
	v_dot2_f32_f16 v1, v71, v79, v1
	;;#ASMEND
	;;#ASMSTART
	v_dot2_f32_f16 v1, v72, v80, v1
	;;#ASMEND
	;;#ASMSTART
	v_dot2_f32_f16 v1, v73, v81, v1
	;;#ASMEND
	s_waitcnt lgkmcnt(5)
	;;#ASMSTART
	v_dot2_f32_f16 v2, v70, v82, v2
	;;#ASMEND
	;;#ASMSTART
	v_dot2_f32_f16 v2, v71, v83, v2
	;;#ASMEND
	;;#ASMSTART
	v_dot2_f32_f16 v2, v72, v84, v2
	;;#ASMEND
	;;#ASMSTART
	v_dot2_f32_f16 v2, v73, v85, v2
	;;#ASMEND
	s_waitcnt lgkmcnt(4)
	;;#ASMSTART
	v_dot2_f32_f16 v3, v70, v86, v3
	;;#ASMEND
	;;#ASMSTART
	v_dot2_f32_f16 v3, v71, v87, v3
	;;#ASMEND
	;;#ASMSTART
	v_dot2_f32_f16 v3, v72, v88, v3
	;;#ASMEND
	;;#ASMSTART
	v_dot2_f32_f16 v3, v73, v89, v3
	;;#ASMEND
	s_waitcnt lgkmcnt(3)
	;;#ASMSTART
	v_dot2_f32_f16 v4, v70, v90, v4
	;;#ASMEND
	;;#ASMSTART
	v_dot2_f32_f16 v4, v71, v91, v4
	;;#ASMEND
	;;#ASMSTART
	v_dot2_f32_f16 v4, v72, v92, v4
	;;#ASMEND
	;;#ASMSTART
	v_dot2_f32_f16 v4, v73, v93, v4
	;;#ASMEND
	s_waitcnt lgkmcnt(2)
	;;#ASMSTART
	v_dot2_f32_f16 v5, v70, v94, v5
	;;#ASMEND
	;;#ASMSTART
	v_dot2_f32_f16 v5, v71, v95, v5
	;;#ASMEND
	;;#ASMSTART
	v_dot2_f32_f16 v5, v72, v96, v5
	;;#ASMEND
	;;#ASMSTART
	v_dot2_f32_f16 v5, v73, v97, v5
	;;#ASMEND
	s_waitcnt lgkmcnt(1)
	;;#ASMSTART
	v_dot2_f32_f16 v6, v70, v98, v6
	;;#ASMEND
	;;#ASMSTART
	v_dot2_f32_f16 v6, v71, v99, v6
	;;#ASMEND
	;;#ASMSTART
	v_dot2_f32_f16 v6, v72, v100, v6
	;;#ASMEND
	;;#ASMSTART
	v_dot2_f32_f16 v6, v73, v101, v6
	;;#ASMEND
	s_waitcnt lgkmcnt(0)
	;;#ASMSTART
	v_dot2_f32_f16 v7, v70, v102, v7
	;;#ASMEND
	;;#ASMSTART
	v_dot2_f32_f16 v7, v71, v103, v7
	;;#ASMEND
	;;#ASMSTART
	v_dot2_f32_f16 v7, v72, v104, v7
	;;#ASMEND
	;;#ASMSTART
	v_dot2_f32_f16 v7, v73, v105, v7
	;;#ASMEND
	ds_load_b128 v[70:73], v23 offset:9280
	ds_load_b128 v[74:77], v26 offset:64
	;; [unrolled: 1-line block ×9, first 2 shown]
	s_waitcnt lgkmcnt(7)
	;;#ASMSTART
	v_dot2_f32_f16 v0, v70, v74, v0
	;;#ASMEND
	;;#ASMSTART
	v_dot2_f32_f16 v0, v71, v75, v0
	;;#ASMEND
	;; [unrolled: 3-line block ×4, first 2 shown]
	s_waitcnt lgkmcnt(6)
	;;#ASMSTART
	v_dot2_f32_f16 v1, v70, v78, v1
	;;#ASMEND
	;;#ASMSTART
	v_dot2_f32_f16 v1, v71, v79, v1
	;;#ASMEND
	v_max_f32_e32 v79, v65, v65
	;;#ASMSTART
	v_dot2_f32_f16 v1, v72, v80, v1
	;;#ASMEND
	;;#ASMSTART
	v_dot2_f32_f16 v1, v73, v81, v1
	;;#ASMEND
	s_waitcnt lgkmcnt(5)
	;;#ASMSTART
	v_dot2_f32_f16 v2, v70, v82, v2
	;;#ASMEND
	;;#ASMSTART
	v_dot2_f32_f16 v2, v71, v83, v2
	;;#ASMEND
	;;#ASMSTART
	v_dot2_f32_f16 v2, v72, v84, v2
	;;#ASMEND
	;;#ASMSTART
	v_dot2_f32_f16 v2, v73, v85, v2
	;;#ASMEND
	s_waitcnt lgkmcnt(4)
	;;#ASMSTART
	v_dot2_f32_f16 v3, v70, v86, v3
	;;#ASMEND
	;;#ASMSTART
	v_dot2_f32_f16 v3, v71, v87, v3
	;;#ASMEND
	;; [unrolled: 13-line block ×4, first 2 shown]
	;;#ASMSTART
	v_dot2_f32_f16 v5, v72, v96, v5
	;;#ASMEND
	v_add_nc_u32_e32 v108, v110, v45
	;;#ASMSTART
	v_dot2_f32_f16 v5, v73, v97, v5
	;;#ASMEND
	s_waitcnt lgkmcnt(1)
	;;#ASMSTART
	v_dot2_f32_f16 v6, v70, v98, v6
	;;#ASMEND
	;;#ASMSTART
	v_dot2_f32_f16 v6, v71, v99, v6
	;;#ASMEND
	v_ashrrev_i32_e32 v107, 31, v106
	;;#ASMSTART
	v_dot2_f32_f16 v6, v72, v100, v6
	;;#ASMEND
	;;#ASMSTART
	v_dot2_f32_f16 v6, v73, v101, v6
	;;#ASMEND
	s_waitcnt lgkmcnt(0)
	;;#ASMSTART
	v_dot2_f32_f16 v7, v70, v102, v7
	;;#ASMEND
	v_add_nc_u32_e32 v70, v110, v46
	v_ashrrev_i32_e32 v109, 31, v108
	v_add_nc_u32_e32 v76, v110, v47
	v_lshlrev_b64 v[74:75], 1, v[106:107]
	;;#ASMSTART
	v_dot2_f32_f16 v7, v71, v103, v7
	;;#ASMEND
	v_ashrrev_i32_e32 v71, 31, v70
	;;#ASMSTART
	v_dot2_f32_f16 v7, v72, v104, v7
	;;#ASMEND
	;;#ASMSTART
	v_dot2_f32_f16 v7, v73, v105, v7
	;;#ASMEND
	v_lshlrev_b64 v[72:73], 1, v[108:109]
	v_ashrrev_i32_e32 v77, 31, v76
	v_add_co_u32 v74, s4, s42, v74
	v_lshlrev_b64 v[70:71], 1, v[70:71]
	v_add_co_ci_u32_e64 v75, s4, s43, v75, s4
	v_add_co_u32 v72, s4, s42, v72
	v_lshlrev_b64 v[76:77], 1, v[76:77]
	v_add_co_ci_u32_e64 v73, s4, s43, v73, s4
	v_add_co_u32 v70, s4, s42, v70
	s_delay_alu instid0(VALU_DEP_1) | instskip(NEXT) | instid1(VALU_DEP_4)
	v_add_co_ci_u32_e64 v71, s4, s43, v71, s4
	v_add_co_u32 v76, s4, s42, v76
	s_delay_alu instid0(VALU_DEP_1)
	v_add_co_ci_u32_e64 v77, s4, s43, v77, s4
	s_clause 0x3
	flat_load_u16 v74, v[74:75]
	flat_load_u16 v72, v[72:73]
	;; [unrolled: 1-line block ×4, first 2 shown]
	v_cmp_gt_i32_e64 s4, 32, v22
	v_max_f32_e32 v77, v64, v64
	v_max_f32_e32 v75, v63, v63
	v_dual_max_f32 v78, v67, v67 :: v_dual_max_f32 v81, v66, v66
	s_delay_alu instid0(VALU_DEP_4)
	v_cndmask_b32_e64 v73, v16, v22, s4
	v_max_f32_e32 v76, v62, v62
	v_cmp_gt_i32_e64 s4, 32, v21
	s_mul_hi_i32 s27, s35, s41
	s_mul_i32 s26, s35, s41
	v_lshlrev_b32_e32 v73, 2, v73
	s_lshl_b64 s[26:27], s[26:27], 2
	s_waitcnt vmcnt(0) lgkmcnt(0)
	s_add_u32 s26, s48, s26
	s_addc_u32 s27, s36, s27
	s_barrier
	buffer_gl0_inv
	v_cvt_f32_f16_e32 v74, v74
	v_cvt_f32_f16_e32 v72, v72
	;; [unrolled: 1-line block ×3, first 2 shown]
	v_max_f32_e32 v80, v68, v68
	v_cvt_f32_f16_e32 v71, v71
	v_add_f32_e32 v83, v1, v74
	v_max_f32_e32 v82, v69, v69
	v_dual_add_f32 v85, v5, v70 :: v_dual_add_f32 v84, v3, v72
	s_delay_alu instid0(VALU_DEP_3) | instskip(NEXT) | instid1(VALU_DEP_2)
	v_dual_add_f32 v1, 0x40051340, v83 :: v_dual_add_f32 v70, v4, v70
	v_dual_add_f32 v5, 0x40051340, v85 :: v_dual_add_f32 v74, v0, v74
	s_delay_alu instid0(VALU_DEP_3) | instskip(NEXT) | instid1(VALU_DEP_3)
	v_add_f32_e32 v3, 0x40051340, v84
	v_max_f32_e32 v1, v75, v1
	s_delay_alu instid0(VALU_DEP_3) | instskip(NEXT) | instid1(VALU_DEP_3)
	v_dual_max_f32 v5, v79, v5 :: v_dual_add_f32 v0, 0x40051340, v74
	v_max_f32_e32 v3, v77, v3
	ds_bpermute_b32 v75, v73, v1
	ds_bpermute_b32 v79, v73, v5
	v_max_f32_e32 v0, v76, v0
	ds_bpermute_b32 v77, v73, v3
	v_add_f32_e32 v86, v7, v71
	v_add_f32_e32 v71, v6, v71
	s_waitcnt lgkmcnt(2)
	v_max_f32_e32 v75, v75, v75
	ds_bpermute_b32 v76, v73, v0
	s_waitcnt lgkmcnt(2)
	v_max_f32_e32 v79, v79, v79
	s_waitcnt lgkmcnt(1)
	v_dual_max_f32 v77, v77, v77 :: v_dual_add_f32 v72, v2, v72
	v_add_f32_e32 v7, 0x40051340, v86
	v_dual_add_f32 v4, 0x40051340, v70 :: v_dual_max_f32 v1, v1, v75
	s_delay_alu instid0(VALU_DEP_3) | instskip(NEXT) | instid1(VALU_DEP_2)
	v_dual_max_f32 v3, v3, v77 :: v_dual_add_f32 v2, 0x40051340, v72
	v_dual_max_f32 v7, v81, v7 :: v_dual_max_f32 v4, v80, v4
	s_delay_alu instid0(VALU_DEP_2)
	v_dual_max_f32 v5, v5, v79 :: v_dual_max_f32 v2, v78, v2
	ds_bpermute_b32 v81, v73, v7
	v_add_f32_e32 v6, 0x40051340, v71
	ds_bpermute_b32 v80, v73, v4
	ds_bpermute_b32 v78, v73, v2
	s_waitcnt lgkmcnt(3)
	v_max_f32_e32 v76, v76, v76
	s_waitcnt lgkmcnt(2)
	s_delay_alu instid0(VALU_DEP_1)
	v_dual_max_f32 v0, v0, v76 :: v_dual_max_f32 v81, v81, v81
	v_max_f32_e32 v6, v82, v6
	v_cndmask_b32_e64 v82, v16, v21, s4
	v_cmp_gt_i32_e64 s4, 32, v20
	s_waitcnt lgkmcnt(0)
	v_dual_max_f32 v78, v78, v78 :: v_dual_max_f32 v7, v7, v81
	ds_bpermute_b32 v73, v73, v6
	v_lshlrev_b32_e32 v82, 2, v82
	v_max_f32_e32 v2, v2, v78
	ds_bpermute_b32 v76, v82, v3
	ds_bpermute_b32 v75, v82, v0
	;; [unrolled: 1-line block ×4, first 2 shown]
	s_waitcnt lgkmcnt(3)
	v_dual_max_f32 v73, v73, v73 :: v_dual_max_f32 v76, v76, v76
	s_delay_alu instid0(VALU_DEP_1)
	v_max_f32_e32 v6, v6, v73
	ds_bpermute_b32 v73, v82, v1
	s_waitcnt lgkmcnt(3)
	v_dual_max_f32 v80, v80, v80 :: v_dual_max_f32 v75, v75, v75
	s_waitcnt lgkmcnt(2)
	v_max_f32_e32 v77, v77, v77
	s_waitcnt lgkmcnt(0)
	s_delay_alu instid0(VALU_DEP_2)
	v_dual_max_f32 v73, v73, v73 :: v_dual_max_f32 v4, v4, v80
	ds_bpermute_b32 v80, v82, v7
	v_max_f32_e32 v1, v1, v73
	v_max_f32_e32 v3, v3, v76
	ds_bpermute_b32 v81, v82, v6
	ds_bpermute_b32 v79, v82, v4
	v_cndmask_b32_e64 v82, v16, v20, s4
	v_cmp_gt_i32_e64 s4, 32, v19
	s_delay_alu instid0(VALU_DEP_2) | instskip(SKIP_2) | instid1(VALU_DEP_1)
	v_lshlrev_b32_e32 v82, 2, v82
	s_waitcnt lgkmcnt(2)
	v_max_f32_e32 v80, v80, v80
	v_dual_max_f32 v78, v78, v78 :: v_dual_max_f32 v7, v7, v80
	s_waitcnt lgkmcnt(1)
	v_max_f32_e32 v81, v81, v81
	ds_bpermute_b32 v73, v82, v1
	v_max_f32_e32 v0, v0, v75
	s_waitcnt lgkmcnt(1)
	v_max_f32_e32 v79, v79, v79
	ds_bpermute_b32 v76, v82, v3
	v_max_f32_e32 v5, v5, v78
	ds_bpermute_b32 v80, v82, v7
	ds_bpermute_b32 v78, v82, v5
	s_waitcnt lgkmcnt(3)
	v_max_f32_e32 v73, v73, v73
	ds_bpermute_b32 v75, v82, v0
	v_max_f32_e32 v2, v2, v77
	s_waitcnt lgkmcnt(3)
	v_dual_max_f32 v76, v76, v76 :: v_dual_max_f32 v1, v1, v73
	s_waitcnt lgkmcnt(1)
	s_delay_alu instid0(VALU_DEP_1) | instskip(NEXT) | instid1(VALU_DEP_1)
	v_dual_max_f32 v3, v3, v76 :: v_dual_max_f32 v78, v78, v78
	v_dual_max_f32 v80, v80, v80 :: v_dual_max_f32 v5, v5, v78
	s_delay_alu instid0(VALU_DEP_1)
	v_max_f32_e32 v7, v7, v80
	s_waitcnt lgkmcnt(0)
	v_max_f32_e32 v75, v75, v75
	ds_bpermute_b32 v77, v82, v2
	v_max_f32_e32 v4, v4, v79
	s_waitcnt lgkmcnt(0)
	v_dual_max_f32 v0, v0, v75 :: v_dual_max_f32 v77, v77, v77
	ds_bpermute_b32 v79, v82, v4
	s_waitcnt lgkmcnt(0)
	v_dual_max_f32 v6, v6, v81 :: v_dual_max_f32 v79, v79, v79
	ds_bpermute_b32 v81, v82, v6
	v_cndmask_b32_e64 v82, v16, v19, s4
	v_cmp_gt_i32_e64 s4, 32, v18
	s_waitcnt lgkmcnt(0)
	s_delay_alu instid0(VALU_DEP_2)
	v_dual_max_f32 v81, v81, v81 :: v_dual_lshlrev_b32 v82, 2, v82
	ds_bpermute_b32 v73, v82, v1
	v_max_f32_e32 v4, v4, v79
	ds_bpermute_b32 v75, v82, v0
	v_max_f32_e32 v2, v2, v77
	ds_bpermute_b32 v76, v82, v3
	ds_bpermute_b32 v78, v82, v5
	;; [unrolled: 1-line block ×3, first 2 shown]
	s_waitcnt lgkmcnt(4)
	v_max_f32_e32 v73, v73, v73
	ds_bpermute_b32 v79, v82, v4
	s_waitcnt lgkmcnt(4)
	v_dual_max_f32 v75, v75, v75 :: v_dual_max_f32 v6, v6, v81
	ds_bpermute_b32 v77, v82, v2
	s_waitcnt lgkmcnt(3)
	v_dual_max_f32 v78, v78, v78 :: v_dual_max_f32 v1, v1, v73
	s_waitcnt lgkmcnt(2)
	s_delay_alu instid0(VALU_DEP_1) | instskip(NEXT) | instid1(VALU_DEP_1)
	v_dual_max_f32 v80, v80, v80 :: v_dual_max_f32 v5, v5, v78
	v_max_f32_e32 v7, v7, v80
	s_waitcnt lgkmcnt(1)
	v_max_f32_e32 v79, v79, v79
	ds_bpermute_b32 v81, v82, v6
	v_cndmask_b32_e64 v82, v16, v18, s4
	s_waitcnt lgkmcnt(1)
	v_dual_max_f32 v76, v76, v76 :: v_dual_max_f32 v77, v77, v77
	s_delay_alu instid0(VALU_DEP_2) | instskip(NEXT) | instid1(VALU_DEP_2)
	v_lshlrev_b32_e32 v82, 2, v82
	v_max_f32_e32 v2, v2, v77
	ds_bpermute_b32 v73, v82, v1
	v_max_f32_e32 v4, v4, v79
	ds_bpermute_b32 v77, v82, v2
	ds_bpermute_b32 v78, v82, v5
	;; [unrolled: 1-line block ×3, first 2 shown]
	s_waitcnt lgkmcnt(4)
	v_dual_max_f32 v81, v81, v81 :: v_dual_max_f32 v0, v0, v75
	v_max_f32_e32 v3, v3, v76
	ds_bpermute_b32 v75, v82, v0
	v_max_f32_e32 v6, v6, v81
	ds_bpermute_b32 v76, v82, v3
	s_waitcnt lgkmcnt(5)
	v_max_f32_e32 v73, v73, v73
	ds_bpermute_b32 v79, v82, v4
	s_waitcnt lgkmcnt(4)
	v_dual_max_f32 v77, v77, v77 :: v_dual_max_f32 v78, v78, v78
	s_waitcnt lgkmcnt(2)
	s_delay_alu instid0(VALU_DEP_1)
	v_dual_max_f32 v2, v2, v77 :: v_dual_max_f32 v75, v75, v75
	ds_bpermute_b32 v81, v82, v6
	s_waitcnt lgkmcnt(2)
	v_max_f32_e32 v76, v76, v76
	v_dual_max_f32 v80, v80, v80 :: v_dual_max_f32 v1, v1, v73
	v_max_f32_e32 v0, v0, v75
	s_waitcnt lgkmcnt(1)
	v_max_f32_e32 v79, v79, v79
	v_max_f32_e32 v3, v3, v76
	v_max_f32_e32 v5, v5, v78
	s_delay_alu instid0(VALU_DEP_3) | instskip(SKIP_3) | instid1(VALU_DEP_3)
	v_dual_sub_f32 v73, v74, v0 :: v_dual_max_f32 v4, v4, v79
	v_dual_sub_f32 v79, v62, v0 :: v_dual_sub_f32 v74, v83, v1
	v_sub_f32_e32 v75, v72, v2
	v_sub_f32_e32 v72, v84, v3
	v_cmp_ngt_f32_e64 s16, 0xc2ce8ed0, v79
	s_delay_alu instid0(VALU_DEP_4)
	v_cmp_ngt_f32_e64 s20, 0xc2ce8ed0, v74
	v_cmp_nlt_f32_e64 s13, 0x42b17218, v79
	s_waitcnt lgkmcnt(0)
	v_max_f32_e32 v81, v81, v81
	v_max_f32_e32 v7, v7, v80
	v_dual_sub_f32 v80, v67, v2 :: v_dual_sub_f32 v67, v68, v4
	v_sub_f32_e32 v68, v70, v4
	v_sub_f32_e32 v70, v85, v5
	v_max_f32_e32 v6, v6, v81
	v_dual_sub_f32 v81, v63, v1 :: v_dual_sub_f32 v78, v64, v3
	v_dual_sub_f32 v64, v65, v5 :: v_dual_sub_f32 v63, v66, v7
	s_delay_alu instid0(VALU_DEP_3) | instskip(SKIP_4) | instid1(VALU_DEP_3)
	v_sub_f32_e32 v62, v69, v6
	v_sub_f32_e32 v65, v71, v6
	v_dual_mul_f32 v66, 0x3fb8aa3b, v74 :: v_dual_mul_f32 v71, 0x3fb8aa3b, v73
	v_dual_sub_f32 v69, v86, v7 :: v_dual_mul_f32 v76, 0x3fb8aa3b, v72
	v_mul_f32_e32 v77, 0x3fb8aa3b, v75
	v_fma_f32 v86, 0x3fb8aa3b, v74, -v66
	v_rndne_f32_e32 v87, v66
	v_mul_f32_e32 v85, 0x3fb8aa3b, v65
	v_fma_f32 v88, 0x3fb8aa3b, v73, -v71
	v_rndne_f32_e32 v89, v71
	v_fma_f32 v90, 0x3fb8aa3b, v72, -v76
	v_sub_f32_e32 v66, v66, v87
	v_fma_f32 v92, 0x3fb8aa3b, v75, -v77
	v_rndne_f32_e32 v93, v77
	v_rndne_f32_e32 v101, v85
	v_dual_fmac_f32 v86, 0x32a5705f, v74 :: v_dual_sub_f32 v71, v71, v89
	v_dual_mul_f32 v82, 0x3fb8aa3b, v70 :: v_dual_mul_f32 v83, 0x3fb8aa3b, v68
	v_rndne_f32_e32 v91, v76
	v_fma_f32 v100, 0x3fb8aa3b, v65, -v85
	v_dual_fmac_f32 v90, 0x32a5705f, v72 :: v_dual_sub_f32 v77, v77, v93
	v_dual_fmac_f32 v92, 0x32a5705f, v75 :: v_dual_sub_f32 v85, v85, v101
	v_fmac_f32_e32 v88, 0x32a5705f, v73
	v_add_f32_e32 v66, v66, v86
	v_rndne_f32_e32 v97, v83
	s_delay_alu instid0(VALU_DEP_4) | instskip(NEXT) | instid1(VALU_DEP_4)
	v_dual_add_f32 v77, v77, v92 :: v_dual_mul_f32 v84, 0x3fb8aa3b, v69
	v_dual_add_f32 v71, v71, v88 :: v_dual_sub_f32 v76, v76, v91
	s_delay_alu instid0(VALU_DEP_4)
	v_exp_f32_e32 v66, v66
	v_fma_f32 v94, 0x3fb8aa3b, v70, -v82
	v_rndne_f32_e32 v95, v82
	v_fma_f32 v96, 0x3fb8aa3b, v68, -v83
	v_sub_f32_e32 v83, v83, v97
	v_fma_f32 v98, 0x3fb8aa3b, v69, -v84
	v_rndne_f32_e32 v99, v84
	v_cvt_i32_f32_e32 v87, v87
	v_add_f32_e32 v76, v76, v90
	v_exp_f32_e32 v71, v71
	v_cvt_i32_f32_e32 v89, v89
	v_fmac_f32_e32 v96, 0x32a5705f, v68
	v_fmac_f32_e32 v94, 0x32a5705f, v70
	;; [unrolled: 1-line block ×3, first 2 shown]
	v_sub_f32_e32 v84, v84, v99
	s_delay_alu instid0(VALU_DEP_4) | instskip(SKIP_3) | instid1(VALU_DEP_3)
	v_dual_fmac_f32 v100, 0x32a5705f, v65 :: v_dual_add_f32 v83, v83, v96
	v_sub_f32_e32 v82, v82, v95
	v_exp_f32_e32 v76, v76
	v_ldexp_f32 v66, v66, v87
	v_add_f32_e32 v85, v85, v100
	v_cvt_i32_f32_e32 v91, v91
	v_add_f32_e32 v82, v82, v94
	v_add_f32_e32 v84, v84, v98
	v_exp_f32_e32 v77, v77
	v_ldexp_f32 v71, v71, v89
	v_cndmask_b32_e64 v66, 0, v66, s20
	v_cmp_ngt_f32_e64 s20, 0xc2ce8ed0, v73
	v_cvt_i32_f32_e32 v93, v93
	v_exp_f32_e32 v82, v82
	v_exp_f32_e32 v84, v84
	v_ldexp_f32 v76, v76, v91
	v_cndmask_b32_e64 v71, 0, v71, s20
	v_cmp_ngt_f32_e64 s20, 0xc2ce8ed0, v72
	v_cvt_i32_f32_e32 v95, v95
	v_exp_f32_e32 v83, v83
	v_cvt_i32_f32_e32 v86, v99
	v_ldexp_f32 v77, v77, v93
	v_cndmask_b32_e64 v76, 0, v76, s20
	v_cmp_ngt_f32_e64 s20, 0xc2ce8ed0, v75
	v_cvt_i32_f32_e32 v97, v97
	v_ldexp_f32 v82, v82, v95
	v_ldexp_f32 v84, v84, v86
	v_exp_f32_e32 v85, v85
	v_cndmask_b32_e64 v86, 0, v77, s20
	v_cmp_ngt_f32_e64 s20, 0xc2ce8ed0, v70
	v_ldexp_f32 v83, v83, v97
	v_cvt_i32_f32_e32 v88, v101
	v_cmp_ngt_f32_e64 s18, 0xc2ce8ed0, v81
	v_cmp_nlt_f32_e64 s15, 0x42b17218, v81
	v_cndmask_b32_e64 v82, 0, v82, s20
	v_cmp_ngt_f32_e64 s20, 0xc2ce8ed0, v68
	v_cmp_ngt_f32_e64 s19, 0xc2ce8ed0, v80
	v_ldexp_f32 v85, v85, v88
	v_cmp_nlt_f32_e64 s17, 0x42b17218, v80
	v_cmp_ngt_f32_e64 s7, 0xc2ce8ed0, v78
	v_cndmask_b32_e64 v83, 0, v83, s20
	v_cmp_ngt_f32_e64 s20, 0xc2ce8ed0, v69
	v_cmp_nlt_f32_e64 s4, 0x42b17218, v78
	v_cmp_ngt_f32_e64 s10, 0xc2ce8ed0, v67
	v_cmp_nlt_f32_e64 s6, 0x42b17218, v67
	v_cmp_ngt_f32_e64 s12, 0xc2ce8ed0, v64
	v_cndmask_b32_e64 v84, 0, v84, s20
	v_cmp_ngt_f32_e64 s20, 0xc2ce8ed0, v65
	v_cmp_nlt_f32_e64 s8, 0x42b17218, v64
	v_cmp_ngt_f32_e64 s9, 0xc2ce8ed0, v62
	v_cmp_nlt_f32_e64 s5, 0x42b17218, v62
	v_cmp_ngt_f32_e64 s11, 0xc2ce8ed0, v63
	v_cndmask_b32_e64 v85, 0, v85, s20
	v_cmp_nlt_f32_e64 s20, 0x42b17218, v74
	s_delay_alu instid0(VALU_DEP_1) | instskip(SKIP_1) | instid1(VALU_DEP_1)
	v_cndmask_b32_e64 v74, 0x7f800000, v66, s20
	v_cmp_nlt_f32_e64 s20, 0x42b17218, v73
	v_cndmask_b32_e64 v77, 0x7f800000, v71, s20
	v_cmp_nlt_f32_e64 s20, 0x42b17218, v72
	s_delay_alu instid0(VALU_DEP_2) | instskip(NEXT) | instid1(VALU_DEP_2)
	v_cvt_f16_f32_e32 v87, v77
	v_cndmask_b32_e64 v72, 0x7f800000, v76, s20
	v_cmp_nlt_f32_e64 s20, 0x42b17218, v75
	s_delay_alu instid0(VALU_DEP_2) | instskip(NEXT) | instid1(VALU_DEP_2)
	v_cvt_f16_f32_e32 v66, v72
	;; [unrolled: 4-line block ×5, first 2 shown]
	v_cndmask_b32_e64 v70, 0x7f800000, v84, s20
	v_cmp_nlt_f32_e64 s20, 0x42b17218, v65
	v_cvt_f16_f32_e32 v65, v74
	s_delay_alu instid0(VALU_DEP_4) | instskip(NEXT) | instid1(VALU_DEP_4)
	v_pack_b32_f16 v84, v83, v68
	v_cvt_f16_f32_e32 v69, v70
	s_delay_alu instid0(VALU_DEP_4) | instskip(SKIP_2) | instid1(VALU_DEP_3)
	v_cndmask_b32_e64 v73, 0x7f800000, v85, s20
	v_cmp_nlt_f32_e64 s20, 0x42b17218, v63
	v_pack_b32_f16 v83, v86, v66
	v_cvt_f16_f32_e32 v82, v73
	s_delay_alu instid0(VALU_DEP_1)
	v_pack_b32_f16 v85, v82, v69
	v_pack_b32_f16 v82, v87, v65
	ds_store_b128 v52, v[82:85]
	s_and_saveexec_b32 s37, vcc_lo
	s_cbranch_execz .LBB33_29
; %bb.28:                               ;   in Loop: Header=BB33_23 Depth=1
	v_add_co_u32 v65, s21, s26, v12
	s_delay_alu instid0(VALU_DEP_1)
	v_add_co_ci_u32_e64 v66, s21, s27, v13, s21
	global_load_b128 v[82:85], v[65:66], off offset:64
	s_waitcnt vmcnt(0)
	ds_store_b128 v49, v[82:85]
.LBB33_29:                              ;   in Loop: Header=BB33_23 Depth=1
	s_or_b32 exec_lo, exec_lo, s37
	s_and_saveexec_b32 s37, s3
	s_cbranch_execz .LBB33_31
; %bb.30:                               ;   in Loop: Header=BB33_23 Depth=1
	v_add_co_u32 v65, s21, s26, v14
	s_delay_alu instid0(VALU_DEP_1) | instskip(NEXT) | instid1(VALU_DEP_2)
	v_add_co_ci_u32_e64 v66, s21, s27, v15, s21
	v_add_co_u32 v65, s21, v65, v53
	s_delay_alu instid0(VALU_DEP_1)
	v_add_co_ci_u32_e64 v66, s21, 0, v66, s21
	global_load_b128 v[82:85], v[65:66], off
	s_waitcnt vmcnt(0)
	ds_store_b128 v50, v[82:85]
.LBB33_31:                              ;   in Loop: Header=BB33_23 Depth=1
	s_or_b32 exec_lo, exec_lo, s37
	v_dual_mul_f32 v65, 0x3fb8aa3b, v79 :: v_dual_mul_f32 v66, 0x3fb8aa3b, v81
	s_waitcnt lgkmcnt(0)
	s_barrier
	buffer_gl0_inv
	v_fma_f32 v69, 0x3fb8aa3b, v79, -v65
	v_rndne_f32_e32 v82, v65
	v_mul_f32_e32 v68, 0x3fb8aa3b, v80
	v_fma_f32 v83, 0x3fb8aa3b, v81, -v66
	v_rndne_f32_e32 v84, v66
	v_fmac_f32_e32 v69, 0x32a5705f, v79
	v_sub_f32_e32 v65, v65, v82
	v_fma_f32 v85, 0x3fb8aa3b, v80, -v68
	v_rndne_f32_e32 v86, v68
	v_dual_sub_f32 v66, v66, v84 :: v_dual_fmac_f32 v83, 0x32a5705f, v81
	s_delay_alu instid0(VALU_DEP_4) | instskip(SKIP_1) | instid1(VALU_DEP_4)
	v_add_f32_e32 v65, v65, v69
	v_cvt_i32_f32_e32 v81, v84
	v_dual_sub_f32 v68, v68, v86 :: v_dual_fmac_f32 v85, 0x32a5705f, v80
	s_delay_alu instid0(VALU_DEP_4) | instskip(SKIP_2) | instid1(VALU_DEP_4)
	v_dual_add_f32 v66, v66, v83 :: v_dual_mul_f32 v69, 0x3fb8aa3b, v78
	v_cvt_i32_f32_e32 v80, v82
	v_cvt_i32_f32_e32 v82, v86
	v_add_f32_e32 v68, v68, v85
	s_delay_alu instid0(VALU_DEP_4) | instskip(SKIP_2) | instid1(VALU_DEP_3)
	v_exp_f32_e32 v66, v66
	v_fma_f32 v84, 0x3fb8aa3b, v78, -v69
	v_mul_f32_e32 v83, 0x3fb8aa3b, v64
	v_exp_f32_e32 v68, v68
	s_delay_alu instid0(VALU_DEP_2) | instskip(SKIP_2) | instid1(TRANS32_DEP_3)
	v_fmac_f32_e32 v84, 0x32a5705f, v78
	v_mul_f32_e32 v78, 0x3fb8aa3b, v63
	v_exp_f32_e32 v65, v65
	v_ldexp_f32 v66, v66, v81
	s_waitcnt_depctr 0xfff
	v_ldexp_f32 v68, v68, v82
	v_cndmask_b32_e64 v66, 0, v66, s18
	v_ldexp_f32 v65, v65, v80
	s_delay_alu instid0(VALU_DEP_3) | instskip(NEXT) | instid1(VALU_DEP_3)
	v_cndmask_b32_e64 v68, 0, v68, s19
	v_cndmask_b32_e64 v66, 0x7f800000, v66, s15
	v_mul_f32_e32 v79, 0x3fb8aa3b, v67
	v_rndne_f32_e32 v80, v69
	v_cndmask_b32_e64 v65, 0, v65, s16
	v_cndmask_b32_e64 v68, 0x7f800000, v68, s17
	v_fmac_f32_e32 v74, v60, v66
	v_fma_f32 v81, 0x3fb8aa3b, v67, -v79
	v_rndne_f32_e32 v82, v79
	v_cndmask_b32_e64 v65, 0x7f800000, v65, s13
	v_fmac_f32_e32 v76, v61, v68
	v_fma_f32 v61, 0x3fb8aa3b, v64, -v83
	v_fmac_f32_e32 v81, 0x32a5705f, v67
	v_rndne_f32_e32 v67, v83
	v_sub_f32_e32 v69, v69, v80
	s_delay_alu instid0(VALU_DEP_2) | instskip(NEXT) | instid1(VALU_DEP_2)
	v_dual_fmac_f32 v61, 0x32a5705f, v64 :: v_dual_sub_f32 v64, v83, v67
	v_dual_fmac_f32 v77, v59, v65 :: v_dual_add_f32 v60, v69, v84
	v_mul_f32_e32 v69, 0x3fb8aa3b, v62
	v_sub_f32_e32 v59, v79, v82
	s_delay_alu instid0(VALU_DEP_4)
	v_add_f32_e32 v61, v64, v61
	v_cvt_i32_f32_e32 v64, v80
	v_exp_f32_e32 v60, v60
	v_fma_f32 v79, 0x3fb8aa3b, v62, -v69
	v_fma_f32 v83, 0x3fb8aa3b, v63, -v78
	v_rndne_f32_e32 v84, v78
	v_exp_f32_e32 v61, v61
	v_cvt_i32_f32_e32 v67, v67
	v_fmac_f32_e32 v79, 0x32a5705f, v62
	v_fmac_f32_e32 v83, 0x32a5705f, v63
	v_sub_f32_e32 v63, v78, v84
	s_delay_alu instid0(TRANS32_DEP_2) | instskip(NEXT) | instid1(VALU_DEP_2)
	v_ldexp_f32 v60, v60, v64
	v_add_f32_e32 v63, v63, v83
	s_delay_alu instid0(TRANS32_DEP_1) | instskip(NEXT) | instid1(VALU_DEP_3)
	v_ldexp_f32 v61, v61, v67
	v_cndmask_b32_e64 v60, 0, v60, s7
	v_cvt_i32_f32_e32 v67, v84
	s_delay_alu instid0(VALU_DEP_4) | instskip(NEXT) | instid1(VALU_DEP_3)
	v_exp_f32_e32 v63, v63
	v_cndmask_b32_e64 v61, 0, v61, s12
	s_delay_alu instid0(VALU_DEP_3) | instskip(SKIP_2) | instid1(VALU_DEP_3)
	v_cndmask_b32_e64 v60, 0x7f800000, v60, s4
	v_add_f32_e32 v59, v59, v81
	v_rndne_f32_e32 v81, v69
	v_fmac_f32_e32 v72, v56, v60
	s_delay_alu instid0(VALU_DEP_3) | instskip(NEXT) | instid1(VALU_DEP_2)
	v_exp_f32_e32 v59, v59
	v_sub_f32_e32 v62, v69, v81
	v_cvt_i32_f32_e32 v69, v82
	v_cvt_i32_f32_e32 v64, v81
	v_ldexp_f32 v63, v63, v67
	s_delay_alu instid0(VALU_DEP_4)
	v_add_f32_e32 v62, v62, v79
	s_waitcnt_depctr 0xfff
	v_ldexp_f32 v59, v59, v69
	v_exp_f32_e32 v62, v62
	v_cndmask_b32_e64 v69, 0x7f800000, v61, s8
	v_cndmask_b32_e64 v61, 0, v63, s11
	v_cvt_f16_f32_e32 v63, v68
	v_cndmask_b32_e64 v59, 0, v59, s10
	s_delay_alu instid0(VALU_DEP_4) | instskip(NEXT) | instid1(VALU_DEP_4)
	v_fmac_f32_e32 v71, v58, v69
	v_cndmask_b32_e64 v79, 0x7f800000, v61, s20
	v_cvt_f16_f32_e32 v61, v65
	s_delay_alu instid0(VALU_DEP_4) | instskip(NEXT) | instid1(TRANS32_DEP_1)
	v_cndmask_b32_e64 v67, 0x7f800000, v59, s6
	v_ldexp_f32 v62, v62, v64
	v_pk_mul_f16 v68, v63, v39 op_sel_hi:[0,1]
	v_fmac_f32_e32 v70, v55, v79
	v_cvt_f16_f32_e32 v39, v60
	v_fmac_f32_e32 v75, v57, v67
	v_cndmask_b32_e64 v59, 0, v62, s9
	v_cvt_f16_f32_e32 v62, v66
	s_delay_alu instid0(VALU_DEP_2)
	v_cndmask_b32_e64 v78, 0x7f800000, v59, s5
	ds_load_2addr_b32 v[64:65], v51 offset1:20
	ds_load_b128 v[56:59], v48
	v_pk_mul_f16 v55, v62, v40 op_sel_hi:[0,1]
	v_cvt_f16_f32_e32 v40, v67
	v_cvt_f16_f32_e32 v67, v79
	v_fmac_f32_e32 v73, v54, v78
	v_pk_mul_f16 v54, v61, v41 op_sel_hi:[0,1]
	ds_load_b128 v[60:63], v48 offset:16
	v_cvt_f16_f32_e32 v41, v69
	v_cvt_f16_f32_e32 v66, v78
	v_pk_mul_f16 v69, v39, v38 op_sel_hi:[0,1]
	v_pk_mul_f16 v78, v40, v37 op_sel_hi:[0,1]
	;; [unrolled: 1-line block ×5, first 2 shown]
	ds_load_2addr_b32 v[66:67], v51 offset0:40 offset1:60
	ds_load_b128 v[34:37], v48 offset:32
	ds_load_b128 v[38:41], v48 offset:48
	s_waitcnt lgkmcnt(4)
	v_pk_fma_f16 v54, v64, v56, v54 op_sel_hi:[1,0,1]
	v_pk_fma_f16 v55, v64, v56, v55 op_sel:[0,1,0]
	v_pk_fma_f16 v56, v64, v57, v68 op_sel_hi:[1,0,1]
	v_pk_fma_f16 v57, v64, v57, v69 op_sel:[0,1,0]
	;; [unrolled: 2-line block ×4, first 2 shown]
	s_waitcnt lgkmcnt(3)
	v_pk_fma_f16 v64, v65, v60, v54 op_sel_hi:[1,0,1]
	v_pk_fma_f16 v60, v65, v60, v55 op_sel:[0,1,0]
	v_pk_fma_f16 v78, v65, v61, v56 op_sel_hi:[1,0,1]
	v_pk_fma_f16 v61, v65, v61, v57 op_sel:[0,1,0]
	v_pk_fma_f16 v68, v65, v62, v68 op_sel_hi:[1,0,1]
	v_pk_fma_f16 v62, v65, v62, v58 op_sel:[0,1,0]
	v_pk_fma_f16 v69, v65, v63, v69 op_sel_hi:[1,0,1]
	v_pk_fma_f16 v63, v65, v63, v59 op_sel:[0,1,0]
	ds_load_2addr_b32 v[58:59], v51 offset0:80 offset1:100
	ds_load_b128 v[54:57], v48 offset:64
	s_waitcnt lgkmcnt(3)
	v_pk_fma_f16 v64, v66, v34, v64 op_sel_hi:[1,0,1]
	v_pk_fma_f16 v60, v66, v34, v60 op_sel:[0,1,0]
	v_pk_fma_f16 v65, v66, v35, v78 op_sel_hi:[1,0,1]
	v_pk_fma_f16 v61, v66, v35, v61 op_sel:[0,1,0]
	v_pk_fma_f16 v68, v66, v36, v68 op_sel_hi:[1,0,1]
	v_pk_fma_f16 v62, v66, v36, v62 op_sel:[0,1,0]
	v_pk_fma_f16 v69, v66, v37, v69 op_sel_hi:[1,0,1]
	v_pk_fma_f16 v63, v66, v37, v63 op_sel:[0,1,0]
	ds_load_b128 v[34:37], v48 offset:80
	s_waitcnt lgkmcnt(3)
	v_pk_fma_f16 v64, v67, v38, v64 op_sel_hi:[1,0,1]
	v_pk_fma_f16 v60, v67, v38, v60 op_sel:[0,1,0]
	v_pk_fma_f16 v65, v67, v39, v65 op_sel_hi:[1,0,1]
	v_pk_fma_f16 v66, v67, v39, v61 op_sel:[0,1,0]
	v_pk_fma_f16 v68, v67, v40, v68 op_sel_hi:[1,0,1]
	v_pk_fma_f16 v78, v67, v40, v62 op_sel:[0,1,0]
	v_pk_fma_f16 v69, v67, v41, v69 op_sel_hi:[1,0,1]
	v_pk_fma_f16 v63, v67, v41, v63 op_sel:[0,1,0]
	ds_load_2addr_b32 v[61:62], v51 offset0:120 offset1:140
	ds_load_b128 v[38:41], v48 offset:96
	s_waitcnt lgkmcnt(3)
	v_pk_fma_f16 v64, v58, v54, v64 op_sel_hi:[1,0,1]
	v_pk_fma_f16 v60, v58, v54, v60 op_sel:[0,1,0]
	v_pk_fma_f16 v65, v58, v55, v65 op_sel_hi:[1,0,1]
	v_pk_fma_f16 v66, v58, v55, v66 op_sel:[0,1,0]
	v_pk_fma_f16 v67, v58, v56, v68 op_sel_hi:[1,0,1]
	v_pk_fma_f16 v68, v58, v56, v78 op_sel:[0,1,0]
	v_pk_fma_f16 v69, v58, v57, v69 op_sel_hi:[1,0,1]
	v_pk_fma_f16 v58, v58, v57, v63 op_sel:[0,1,0]
	ds_load_b128 v[54:57], v48 offset:112
	;; [unrolled: 21-line block ×3, first 2 shown]
	s_waitcnt lgkmcnt(3)
	v_pk_fma_f16 v79, v62, v54, v59 op_sel_hi:[1,0,1]
	v_pk_fma_f16 v54, v62, v54, v60 op_sel:[0,1,0]
	v_pk_fma_f16 v80, v62, v55, v65 op_sel_hi:[1,0,1]
	v_pk_fma_f16 v55, v62, v55, v66 op_sel:[0,1,0]
	ds_load_2addr_b32 v[65:66], v51 offset0:200 offset1:220
	ds_load_b128 v[58:61], v48 offset:160
	v_pk_fma_f16 v67, v62, v56, v67 op_sel_hi:[1,0,1]
	v_pk_fma_f16 v56, v62, v56, v68 op_sel:[0,1,0]
	v_pk_fma_f16 v68, v62, v57, v69 op_sel_hi:[1,0,1]
	v_pk_fma_f16 v57, v62, v57, v78 op_sel:[0,1,0]
	s_waitcnt lgkmcnt(3)
	v_pk_fma_f16 v62, v63, v34, v79 op_sel_hi:[1,0,1]
	v_pk_fma_f16 v54, v63, v34, v54 op_sel:[0,1,0]
	v_pk_fma_f16 v69, v63, v35, v80 op_sel_hi:[1,0,1]
	v_pk_fma_f16 v55, v63, v35, v55 op_sel:[0,1,0]
	;; [unrolled: 2-line block ×4, first 2 shown]
	ds_load_b128 v[34:37], v48 offset:176
	s_waitcnt lgkmcnt(3)
	v_pk_fma_f16 v62, v64, v38, v62 op_sel_hi:[1,0,1]
	v_pk_fma_f16 v54, v64, v38, v54 op_sel:[0,1,0]
	v_add_nc_u32_e32 v38, 0x200, v51
	v_pk_fma_f16 v69, v64, v39, v69 op_sel_hi:[1,0,1]
	v_pk_fma_f16 v55, v64, v39, v55 op_sel:[0,1,0]
	v_pk_fma_f16 v67, v64, v40, v67 op_sel_hi:[1,0,1]
	v_pk_fma_f16 v56, v64, v40, v56 op_sel:[0,1,0]
	;; [unrolled: 2-line block ×3, first 2 shown]
	s_waitcnt lgkmcnt(1)
	v_pk_fma_f16 v64, v65, v58, v62 op_sel_hi:[1,0,1]
	ds_load_2addr_b32 v[62:63], v38 offset0:112 offset1:132
	ds_load_b128 v[38:41], v48 offset:192
	v_pk_fma_f16 v58, v65, v58, v54 op_sel:[0,1,0]
	v_pk_fma_f16 v69, v65, v59, v69 op_sel_hi:[1,0,1]
	v_pk_fma_f16 v59, v65, v59, v55 op_sel:[0,1,0]
	v_pk_fma_f16 v67, v65, v60, v67 op_sel_hi:[1,0,1]
	;; [unrolled: 2-line block ×3, first 2 shown]
	v_pk_fma_f16 v61, v65, v61, v57 op_sel:[0,1,0]
	ds_load_b128 v[54:57], v48 offset:208
	v_add_nc_u32_e32 v79, 0x400, v51
	s_waitcnt lgkmcnt(3)
	v_pk_fma_f16 v64, v66, v34, v64 op_sel_hi:[1,0,1]
	v_pk_fma_f16 v65, v66, v34, v58 op_sel:[0,1,0]
	v_pk_fma_f16 v69, v66, v35, v69 op_sel_hi:[1,0,1]
	v_pk_fma_f16 v78, v66, v35, v59 op_sel:[0,1,0]
	v_pk_fma_f16 v67, v66, v36, v67 op_sel_hi:[1,0,1]
	v_pk_fma_f16 v60, v66, v36, v60 op_sel:[0,1,0]
	v_pk_fma_f16 v68, v66, v37, v68 op_sel_hi:[1,0,1]
	v_pk_fma_f16 v61, v66, v37, v61 op_sel:[0,1,0]
	ds_load_2addr_b32 v[58:59], v79 offset0:24 offset1:44
	ds_load_b128 v[34:37], v48 offset:224
	s_waitcnt lgkmcnt(3)
	v_pk_fma_f16 v64, v62, v38, v64 op_sel_hi:[1,0,1]
	v_pk_fma_f16 v65, v62, v38, v65 op_sel:[0,1,0]
	v_pk_fma_f16 v66, v62, v39, v69 op_sel_hi:[1,0,1]
	v_pk_fma_f16 v69, v62, v39, v78 op_sel:[0,1,0]
	v_pk_fma_f16 v67, v62, v40, v67 op_sel_hi:[1,0,1]
	v_pk_fma_f16 v60, v62, v40, v60 op_sel:[0,1,0]
	v_pk_fma_f16 v68, v62, v41, v68 op_sel_hi:[1,0,1]
	v_pk_fma_f16 v61, v62, v41, v61 op_sel:[0,1,0]
	ds_load_b128 v[38:41], v48 offset:240
	s_waitcnt lgkmcnt(3)
	v_pk_fma_f16 v62, v63, v54, v64 op_sel_hi:[1,0,1]
	v_pk_fma_f16 v64, v63, v54, v65 op_sel:[0,1,0]
	v_pk_fma_f16 v65, v63, v55, v66 op_sel_hi:[1,0,1]
	v_pk_fma_f16 v66, v63, v55, v69 op_sel:[0,1,0]
	v_pk_fma_f16 v67, v63, v56, v67 op_sel_hi:[1,0,1]
	v_pk_fma_f16 v69, v63, v56, v60 op_sel:[0,1,0]
	v_pk_fma_f16 v68, v63, v57, v68 op_sel_hi:[1,0,1]
	v_pk_fma_f16 v63, v63, v57, v61 op_sel:[0,1,0]
	ds_load_2addr_b32 v[60:61], v79 offset0:64 offset1:84
	ds_load_b128 v[54:57], v48 offset:256
	s_waitcnt lgkmcnt(3)
	v_pk_fma_f16 v62, v58, v34, v62 op_sel_hi:[1,0,1]
	v_pk_fma_f16 v64, v58, v34, v64 op_sel:[0,1,0]
	v_pk_fma_f16 v65, v58, v35, v65 op_sel_hi:[1,0,1]
	v_pk_fma_f16 v66, v58, v35, v66 op_sel:[0,1,0]
	v_pk_fma_f16 v67, v58, v36, v67 op_sel_hi:[1,0,1]
	v_pk_fma_f16 v69, v58, v36, v69 op_sel:[0,1,0]
	v_pk_fma_f16 v68, v58, v37, v68 op_sel_hi:[1,0,1]
	v_pk_fma_f16 v58, v58, v37, v63 op_sel:[0,1,0]
	ds_load_b128 v[34:37], v48 offset:272
	;; [unrolled: 21-line block ×4, first 2 shown]
	s_waitcnt lgkmcnt(3)
	v_pk_fma_f16 v78, v63, v54, v59 op_sel_hi:[1,0,1]
	v_pk_fma_f16 v54, v63, v54, v60 op_sel:[0,1,0]
	v_pk_fma_f16 v80, v63, v55, v61 op_sel_hi:[1,0,1]
	v_pk_fma_f16 v55, v63, v55, v66 op_sel:[0,1,0]
	v_pk_fma_f16 v81, v63, v56, v67 op_sel_hi:[1,0,1]
	ds_load_2addr_b32 v[66:67], v79 offset0:184 offset1:204
	ds_load_b128 v[58:61], v48 offset:352
	v_pk_fma_f16 v56, v63, v56, v69 op_sel:[0,1,0]
	v_pk_fma_f16 v68, v63, v57, v68 op_sel_hi:[1,0,1]
	v_pk_fma_f16 v62, v63, v57, v62 op_sel:[0,1,0]
	s_waitcnt lgkmcnt(3)
	v_pk_fma_f16 v63, v64, v34, v78 op_sel_hi:[1,0,1]
	v_pk_fma_f16 v34, v64, v34, v54 op_sel:[0,1,0]
	v_pk_fma_f16 v69, v64, v35, v80 op_sel_hi:[1,0,1]
	v_pk_fma_f16 v35, v64, v35, v55 op_sel:[0,1,0]
	;; [unrolled: 2-line block ×3, first 2 shown]
	v_pk_fma_f16 v68, v64, v37, v68 op_sel_hi:[1,0,1]
	ds_load_b128 v[54:57], v48 offset:368
	v_pk_fma_f16 v37, v64, v37, v62 op_sel:[0,1,0]
	s_waitcnt lgkmcnt(3)
	v_pk_fma_f16 v62, v65, v38, v63 op_sel_hi:[1,0,1]
	v_pk_fma_f16 v38, v65, v38, v34 op_sel:[0,1,0]
	v_pk_fma_f16 v64, v65, v39, v69 op_sel_hi:[1,0,1]
	v_pk_fma_f16 v39, v65, v39, v35 op_sel:[0,1,0]
	;; [unrolled: 2-line block ×4, first 2 shown]
	s_waitcnt lgkmcnt(1)
	v_pk_fma_f16 v65, v66, v58, v62 op_sel_hi:[1,0,1]
	ds_load_2addr_b32 v[62:63], v79 offset0:224 offset1:244
	ds_load_b128 v[34:37], v48 offset:384
	v_pk_fma_f16 v58, v66, v58, v38 op_sel:[0,1,0]
	v_pk_fma_f16 v64, v66, v59, v64 op_sel_hi:[1,0,1]
	v_pk_fma_f16 v59, v66, v59, v39 op_sel:[0,1,0]
	v_pk_fma_f16 v69, v66, v60, v69 op_sel_hi:[1,0,1]
	;; [unrolled: 2-line block ×3, first 2 shown]
	v_pk_fma_f16 v61, v66, v61, v41 op_sel:[0,1,0]
	ds_load_b128 v[38:41], v48 offset:400
	v_add_nc_u32_e32 v79, 0x800, v51
	s_waitcnt lgkmcnt(3)
	v_pk_fma_f16 v66, v67, v54, v65 op_sel_hi:[1,0,1]
	v_pk_fma_f16 v58, v67, v54, v58 op_sel:[0,1,0]
	v_pk_fma_f16 v78, v67, v55, v64 op_sel_hi:[1,0,1]
	v_pk_fma_f16 v59, v67, v55, v59 op_sel:[0,1,0]
	;; [unrolled: 2-line block ×4, first 2 shown]
	ds_load_2addr_b32 v[64:65], v79 offset0:8 offset1:28
	ds_load_b128 v[54:57], v48 offset:416
	s_waitcnt lgkmcnt(3)
	v_pk_fma_f16 v66, v62, v34, v66 op_sel_hi:[1,0,1]
	v_pk_fma_f16 v58, v62, v34, v58 op_sel:[0,1,0]
	v_pk_fma_f16 v67, v62, v35, v78 op_sel_hi:[1,0,1]
	v_pk_fma_f16 v59, v62, v35, v59 op_sel:[0,1,0]
	;; [unrolled: 2-line block ×4, first 2 shown]
	ds_load_b128 v[34:37], v48 offset:432
	s_waitcnt lgkmcnt(3)
	v_pk_fma_f16 v78, v63, v38, v66 op_sel_hi:[1,0,1]
	v_pk_fma_f16 v38, v63, v38, v58 op_sel:[0,1,0]
	v_pk_fma_f16 v80, v63, v39, v67 op_sel_hi:[1,0,1]
	v_pk_fma_f16 v39, v63, v39, v59 op_sel:[0,1,0]
	;; [unrolled: 2-line block ×3, first 2 shown]
	ds_load_2addr_b32 v[66:67], v79 offset0:48 offset1:68
	ds_load_b128 v[58:61], v48 offset:448
	v_pk_fma_f16 v68, v63, v41, v68 op_sel_hi:[1,0,1]
	v_pk_fma_f16 v62, v63, v41, v62 op_sel:[0,1,0]
	s_waitcnt lgkmcnt(3)
	v_pk_fma_f16 v63, v64, v54, v78 op_sel_hi:[1,0,1]
	v_pk_fma_f16 v54, v64, v54, v38 op_sel:[0,1,0]
	v_pk_fma_f16 v78, v64, v55, v80 op_sel_hi:[1,0,1]
	v_pk_fma_f16 v55, v64, v55, v39 op_sel:[0,1,0]
	;; [unrolled: 2-line block ×4, first 2 shown]
	ds_load_b128 v[38:41], v48 offset:464
	s_waitcnt lgkmcnt(3)
	v_pk_fma_f16 v62, v65, v34, v63 op_sel_hi:[1,0,1]
	v_pk_fma_f16 v34, v65, v34, v54 op_sel:[0,1,0]
	v_pk_fma_f16 v54, v65, v35, v78 op_sel_hi:[1,0,1]
	v_pk_fma_f16 v55, v65, v35, v55 op_sel:[0,1,0]
	;; [unrolled: 2-line block ×4, first 2 shown]
	s_waitcnt lgkmcnt(1)
	v_pk_fma_f16 v65, v66, v58, v62 op_sel_hi:[1,0,1]
	v_pk_fma_f16 v58, v66, v58, v34 op_sel:[0,1,0]
	ds_load_2addr_b32 v[62:63], v79 offset0:88 offset1:108
	ds_load_b128 v[34:37], v48 offset:480
	v_pk_fma_f16 v69, v66, v59, v54 op_sel_hi:[1,0,1]
	v_pk_fma_f16 v59, v66, v59, v55 op_sel:[0,1,0]
	v_pk_fma_f16 v64, v66, v60, v64 op_sel_hi:[1,0,1]
	v_pk_fma_f16 v60, v66, v60, v56 op_sel:[0,1,0]
	;; [unrolled: 2-line block ×3, first 2 shown]
	ds_load_b128 v[54:57], v48 offset:496
	s_waitcnt lgkmcnt(0)
	s_barrier
	buffer_gl0_inv
	s_load_b32 s4, s[22:23], 0x4
	v_pk_fma_f16 v65, v67, v38, v65 op_sel_hi:[1,0,1]
	v_pk_fma_f16 v38, v67, v38, v58 op_sel:[0,1,0]
	v_pk_fma_f16 v58, v67, v39, v69 op_sel_hi:[1,0,1]
	v_pk_fma_f16 v39, v67, v39, v59 op_sel:[0,1,0]
	;; [unrolled: 2-line block ×9, first 2 shown]
	v_pk_fma_f16 v39, v63, v55, v38 op_sel_hi:[1,0,1]
	s_waitcnt lgkmcnt(0)
	s_lshl_b32 s4, s4, 5
	v_pk_fma_f16 v38, v63, v55, v35 op_sel:[0,1,0]
	v_pk_fma_f16 v37, v63, v56, v58 op_sel_hi:[1,0,1]
	v_pk_fma_f16 v36, v63, v56, v36 op_sel:[0,1,0]
	v_pk_fma_f16 v35, v63, v57, v59 op_sel_hi:[1,0,1]
	v_pk_fma_f16 v34, v63, v57, v60 op_sel:[0,1,0]
	s_add_i32 s35, s4, s35
	s_delay_alu instid0(SALU_CYCLE_1)
	s_cmp_ge_i32 s35, s40
	s_cbranch_scc1 .LBB33_33
; %bb.32:                               ;   in Loop: Header=BB33_23 Depth=1
	v_dual_mov_b32 v62, v0 :: v_dual_mov_b32 v63, v1
	v_dual_mov_b32 v67, v2 :: v_dual_mov_b32 v64, v3
	;; [unrolled: 1-line block ×8, first 2 shown]
	s_branch .LBB33_23
.LBB33_33:
	v_mov_b32_e32 v10, v16
.LBB33_34:
	v_cmp_lt_i32_e32 vcc_lo, v22, v17
	s_cmp_lg_u64 s[24:25], 0
	s_cselect_b32 s3, -1, 0
	s_cmp_eq_u32 s14, 0
	v_cndmask_b32_e32 v8, v10, v22, vcc_lo
	v_cmp_lt_i32_e32 vcc_lo, v21, v17
	s_cselect_b32 s4, -1, 0
	s_delay_alu instid0(SALU_CYCLE_1) | instskip(SKIP_2) | instid1(VALU_DEP_2)
	s_and_b32 s3, s4, s3
	v_cndmask_b32_e32 v21, v10, v21, vcc_lo
	v_cmp_lt_i32_e32 vcc_lo, v20, v17
	v_lshlrev_b32_e32 v21, 2, v21
	v_lshlrev_b32_e32 v8, 2, v8
	ds_bpermute_b32 v9, v8, v77
	s_waitcnt lgkmcnt(0)
	v_add_f32_e32 v9, v77, v9
	ds_bpermute_b32 v11, v8, v74
	ds_bpermute_b32 v12, v8, v76
	;; [unrolled: 1-line block ×8, first 2 shown]
	v_cndmask_b32_e32 v20, v10, v20, vcc_lo
	v_cmp_lt_i32_e32 vcc_lo, v19, v17
	v_cndmask_b32_e32 v19, v10, v19, vcc_lo
	v_cmp_lt_i32_e32 vcc_lo, v18, v17
	s_delay_alu instid0(VALU_DEP_2)
	v_lshlrev_b32_e32 v19, 2, v19
	s_waitcnt lgkmcnt(6)
	v_dual_add_f32 v11, v74, v11 :: v_dual_add_f32 v12, v76, v12
	s_waitcnt lgkmcnt(4)
	v_dual_add_f32 v13, v72, v13 :: v_dual_add_f32 v14, v75, v14
	;; [unrolled: 2-line block ×3, first 2 shown]
	s_waitcnt lgkmcnt(1)
	v_add_f32_e32 v8, v70, v8
	ds_bpermute_b32 v23, v21, v11
	ds_bpermute_b32 v26, v21, v12
	;; [unrolled: 1-line block ×7, first 2 shown]
	s_waitcnt lgkmcnt(7)
	v_dual_add_f32 v9, v9, v22 :: v_dual_lshlrev_b32 v20, 2, v20
	s_waitcnt lgkmcnt(5)
	v_dual_add_f32 v11, v11, v23 :: v_dual_add_f32 v12, v12, v26
	s_waitcnt lgkmcnt(3)
	v_dual_add_f32 v13, v13, v42 :: v_dual_add_f32 v14, v14, v43
	s_waitcnt lgkmcnt(1)
	v_dual_add_f32 v15, v15, v44 :: v_dual_add_f32 v16, v16, v45
	s_waitcnt lgkmcnt(0)
	v_add_f32_e32 v8, v8, v21
	ds_bpermute_b32 v21, v20, v9
	ds_bpermute_b32 v22, v20, v11
	;; [unrolled: 1-line block ×8, first 2 shown]
	s_waitcnt lgkmcnt(7)
	v_add_f32_e32 v9, v9, v21
	s_waitcnt lgkmcnt(5)
	v_dual_add_f32 v11, v11, v22 :: v_dual_add_f32 v12, v12, v23
	s_waitcnt lgkmcnt(4)
	v_add_f32_e32 v13, v13, v26
	s_waitcnt lgkmcnt(2)
	v_dual_add_f32 v14, v14, v42 :: v_dual_add_f32 v15, v15, v43
	s_waitcnt lgkmcnt(1)
	v_add_f32_e32 v16, v16, v44
	s_waitcnt lgkmcnt(0)
	v_add_f32_e32 v8, v8, v20
	ds_bpermute_b32 v20, v19, v9
	ds_bpermute_b32 v21, v19, v11
	;; [unrolled: 1-line block ×8, first 2 shown]
	v_cndmask_b32_e32 v10, v10, v18, vcc_lo
	s_and_b32 vcc_lo, exec_lo, s3
	s_waitcnt lgkmcnt(7)
	s_delay_alu instid0(VALU_DEP_1)
	v_dual_add_f32 v9, v9, v20 :: v_dual_lshlrev_b32 v10, 2, v10
	s_waitcnt lgkmcnt(5)
	v_dual_add_f32 v11, v11, v21 :: v_dual_add_f32 v12, v12, v22
	s_waitcnt lgkmcnt(3)
	v_dual_add_f32 v13, v13, v23 :: v_dual_add_f32 v14, v14, v26
	;; [unrolled: 2-line block ×3, first 2 shown]
	s_waitcnt lgkmcnt(0)
	v_add_f32_e32 v17, v8, v19
	ds_bpermute_b32 v8, v10, v9
	ds_bpermute_b32 v18, v10, v11
	;; [unrolled: 1-line block ×8, first 2 shown]
	s_waitcnt lgkmcnt(6)
	v_dual_add_f32 v8, v9, v8 :: v_dual_add_f32 v9, v11, v18
	s_waitcnt lgkmcnt(4)
	v_dual_add_f32 v10, v12, v19 :: v_dual_add_f32 v11, v13, v20
	s_waitcnt lgkmcnt(2)
	v_dual_add_f32 v12, v14, v21 :: v_dual_add_f32 v13, v15, v22
	s_waitcnt lgkmcnt(0)
	v_dual_add_f32 v14, v16, v23 :: v_dual_add_f32 v15, v17, v26
	s_cbranch_vccz .LBB33_36
; %bb.35:
	s_ashr_i32 s35, s34, 31
	v_dual_mov_b32 v16, 0 :: v_dual_max_f32 v17, v1, v1
	s_lshl_b64 s[4:5], s[34:35], 2
	v_dual_max_f32 v20, v4, v4 :: v_dual_max_f32 v21, v5, v5
	s_add_u32 s4, s24, s4
	s_addc_u32 s5, s25, s5
	v_max_f32_e32 v19, v3, v3
	global_load_b64 v[42:43], v16, s[4:5]
	v_max_f32_e32 v16, v0, v0
	s_waitcnt vmcnt(0)
	v_dual_max_f32 v18, v2, v2 :: v_dual_max_f32 v23, v43, v43
	v_max_f32_e32 v22, v42, v42
	s_delay_alu instid0(VALU_DEP_2) | instskip(SKIP_2) | instid1(VALU_DEP_4)
	v_dual_max_f32 v26, v6, v6 :: v_dual_max_f32 v19, v19, v23
	v_max_f32_e32 v17, v17, v23
	v_max_f32_e32 v44, v7, v7
	v_dual_max_f32 v16, v16, v22 :: v_dual_max_f32 v21, v21, v23
	s_delay_alu instid0(VALU_DEP_4) | instskip(NEXT) | instid1(VALU_DEP_4)
	v_dual_max_f32 v20, v20, v22 :: v_dual_sub_f32 v49, v3, v19
	v_dual_sub_f32 v45, v1, v17 :: v_dual_max_f32 v18, v18, v22
	s_delay_alu instid0(VALU_DEP_4) | instskip(NEXT) | instid1(VALU_DEP_3)
	v_dual_max_f32 v23, v44, v23 :: v_dual_max_f32 v22, v26, v22
	v_sub_f32_e32 v51, v4, v20
	v_dual_sub_f32 v44, v42, v16 :: v_dual_sub_f32 v53, v5, v21
	s_delay_alu instid0(VALU_DEP_4) | instskip(NEXT) | instid1(VALU_DEP_4)
	v_dual_sub_f32 v26, v0, v16 :: v_dual_sub_f32 v47, v2, v18
	v_dual_sub_f32 v46, v43, v17 :: v_dual_sub_f32 v55, v6, v22
	v_sub_f32_e32 v56, v7, v23
	v_mov_b32_e32 v0, v16
	v_sub_f32_e32 v48, v42, v18
	v_dual_sub_f32 v50, v43, v19 :: v_dual_mov_b32 v1, v17
	v_dual_sub_f32 v52, v42, v20 :: v_dual_mov_b32 v3, v19
	;; [unrolled: 1-line block ×5, first 2 shown]
	v_mov_b32_e32 v4, v20
	v_dual_mov_b32 v6, v22 :: v_dual_mul_f32 v57, 0x3fb8aa3b, v51
	v_mul_f32_e32 v17, 0x3fb8aa3b, v44
	v_mul_f32_e32 v19, 0x3fb8aa3b, v46
	v_dual_mul_f32 v21, 0x3fb8aa3b, v48 :: v_dual_mul_f32 v16, 0x3fb8aa3b, v26
	v_mul_f32_e32 v59, 0x3fb8aa3b, v53
	s_delay_alu instid0(VALU_DEP_4)
	v_rndne_f32_e32 v68, v17
	v_mul_f32_e32 v22, 0x3fb8aa3b, v49
	v_fma_f32 v67, 0x3fb8aa3b, v44, -v17
	v_rndne_f32_e32 v72, v19
	v_mul_f32_e32 v60, 0x3fb8aa3b, v54
	v_fma_f32 v75, 0x3fb8aa3b, v48, -v21
	v_rndne_f32_e32 v76, v21
	v_dual_mul_f32 v62, 0x3fb8aa3b, v42 :: v_dual_sub_f32 v17, v17, v68
	v_fma_f32 v77, 0x3fb8aa3b, v49, -v22
	v_rndne_f32_e32 v78, v22
	s_delay_alu instid0(VALU_DEP_4)
	v_sub_f32_e32 v21, v21, v76
	v_fma_f32 v71, 0x3fb8aa3b, v46, -v19
	v_rndne_f32_e32 v92, v62
	v_sub_f32_e32 v19, v19, v72
	v_fma_f32 v87, 0x3fb8aa3b, v54, -v60
	v_dual_fmac_f32 v75, 0x32a5705f, v48 :: v_dual_sub_f32 v22, v22, v78
	v_fmac_f32_e32 v77, 0x32a5705f, v49
	v_fma_f32 v65, 0x3fb8aa3b, v26, -v16
	v_rndne_f32_e32 v66, v16
	v_rndne_f32_e32 v82, v57
	v_mul_f32_e32 v58, 0x3fb8aa3b, v52
	v_fma_f32 v91, 0x3fb8aa3b, v42, -v62
	v_dual_sub_f32 v62, v62, v92 :: v_dual_fmac_f32 v87, 0x32a5705f, v54
	v_add_f32_e32 v22, v22, v77
	v_dual_mul_f32 v18, 0x3fb8aa3b, v45 :: v_dual_mul_f32 v61, 0x3fb8aa3b, v55
	v_fma_f32 v81, 0x3fb8aa3b, v51, -v57
	v_dual_sub_f32 v16, v16, v66 :: v_dual_fmac_f32 v67, 0x32a5705f, v44
	v_sub_f32_e32 v57, v57, v82
	v_rndne_f32_e32 v84, v58
	v_fmac_f32_e32 v65, 0x32a5705f, v26
	v_exp_f32_e32 v22, v22
	v_fma_f32 v69, 0x3fb8aa3b, v45, -v18
	v_rndne_f32_e32 v70, v18
	v_fma_f32 v83, 0x3fb8aa3b, v52, -v58
	v_sub_f32_e32 v58, v58, v84
	v_cvt_i32_f32_e32 v78, v78
	v_dual_fmac_f32 v81, 0x32a5705f, v51 :: v_dual_add_f32 v16, v16, v65
	v_dual_fmac_f32 v69, 0x32a5705f, v45 :: v_dual_sub_f32 v18, v18, v70
	s_delay_alu instid0(TRANS32_DEP_1) | instid1(VALU_DEP_3)
	v_ldexp_f32 v22, v22, v78
	v_add_f32_e32 v17, v17, v67
	s_delay_alu instid0(VALU_DEP_4)
	v_exp_f32_e32 v16, v16
	v_fma_f32 v85, 0x3fb8aa3b, v53, -v59
	v_cvt_i32_f32_e32 v66, v66
	v_dual_fmac_f32 v83, 0x32a5705f, v52 :: v_dual_add_f32 v18, v18, v69
	v_exp_f32_e32 v17, v17
	v_mul_f32_e32 v23, 0x3fb8aa3b, v50
	v_rndne_f32_e32 v88, v60
	v_fma_f32 v89, 0x3fb8aa3b, v55, -v61
	v_cvt_i32_f32_e32 v68, v68
	v_dual_fmac_f32 v85, 0x32a5705f, v53 :: v_dual_add_f32 v58, v58, v83
	v_exp_f32_e32 v18, v18
	v_ldexp_f32 v16, v16, v66
	v_cmp_ngt_f32_e32 vcc_lo, 0xc2ce8ed0, v26
	v_dual_mul_f32 v20, 0x3fb8aa3b, v47 :: v_dual_mul_f32 v63, 0x3fb8aa3b, v56
	v_rndne_f32_e32 v80, v23
	v_mul_f32_e32 v64, 0x3fb8aa3b, v43
	v_rndne_f32_e32 v90, v61
	v_cvt_i32_f32_e32 v70, v70
	v_dual_fmac_f32 v71, 0x32a5705f, v46 :: v_dual_sub_f32 v60, v60, v88
	v_dual_fmac_f32 v89, 0x32a5705f, v55 :: v_dual_cndmask_b32 v16, 0, v16
	v_exp_f32_e32 v58, v58
	v_ldexp_f32 v17, v17, v68
	v_cmp_ngt_f32_e32 vcc_lo, 0xc2ce8ed0, v44
	v_fma_f32 v73, 0x3fb8aa3b, v47, -v20
	v_rndne_f32_e32 v74, v20
	v_fma_f32 v79, 0x3fb8aa3b, v50, -v23
	v_sub_f32_e32 v23, v23, v80
	v_fma_f32 v95, 0x3fb8aa3b, v43, -v64
	v_rndne_f32_e32 v96, v64
	v_cvt_i32_f32_e32 v84, v84
	v_dual_sub_f32 v61, v61, v90 :: v_dual_add_f32 v60, v60, v87
	v_ldexp_f32 v18, v18, v70
	v_cndmask_b32_e32 v17, 0, v17, vcc_lo
	v_cmp_ngt_f32_e32 vcc_lo, 0xc2ce8ed0, v45
	v_rndne_f32_e32 v86, v59
	v_fma_f32 v93, 0x3fb8aa3b, v56, -v63
	v_dual_fmac_f32 v73, 0x32a5705f, v47 :: v_dual_sub_f32 v20, v20, v74
	v_dual_fmac_f32 v79, 0x32a5705f, v50 :: v_dual_sub_f32 v64, v64, v96
	v_dual_fmac_f32 v95, 0x32a5705f, v43 :: v_dual_cndmask_b32 v18, 0, v18
	v_fmac_f32_e32 v91, 0x32a5705f, v42
	v_exp_f32_e32 v60, v60
	v_ldexp_f32 v58, v58, v84
	s_delay_alu instid0(VALU_DEP_3) | instskip(SKIP_4) | instid1(VALU_DEP_4)
	v_add_f32_e32 v64, v64, v95
	v_add_f32_e32 v19, v19, v71
	v_dual_sub_f32 v59, v59, v86 :: v_dual_add_f32 v20, v20, v73
	v_cvt_i32_f32_e32 v88, v88
	v_dual_fmac_f32 v93, 0x32a5705f, v56 :: v_dual_add_f32 v62, v62, v91
	v_exp_f32_e32 v19, v19
	v_cvt_i32_f32_e32 v72, v72
	v_exp_f32_e32 v20, v20
	v_ldexp_f32 v60, v60, v88
	v_add_f32_e32 v21, v21, v75
	v_exp_f32_e32 v62, v62
	v_cvt_i32_f32_e32 v74, v74
	v_cvt_i32_f32_e32 v92, v92
	v_exp_f32_e32 v64, v64
	v_exp_f32_e32 v21, v21
	v_ldexp_f32 v19, v19, v72
	v_cmp_ngt_f32_e32 vcc_lo, 0xc2ce8ed0, v46
	v_rndne_f32_e32 v94, v63
	v_cvt_i32_f32_e32 v76, v76
	v_cvt_i32_f32_e32 v96, v96
	v_ldexp_f32 v20, v20, v74
	v_ldexp_f32 v62, v62, v92
	v_add_f32_e32 v23, v23, v79
	v_cndmask_b32_e32 v19, 0, v19, vcc_lo
	v_cmp_ngt_f32_e32 vcc_lo, 0xc2ce8ed0, v47
	v_sub_f32_e32 v63, v63, v94
	v_ldexp_f32 v21, v21, v76
	v_exp_f32_e32 v23, v23
	v_ldexp_f32 v64, v64, v96
	v_dual_cndmask_b32 v20, 0, v20 :: v_dual_add_f32 v57, v57, v81
	v_cmp_ngt_f32_e32 vcc_lo, 0xc2ce8ed0, v48
	v_cvt_i32_f32_e32 v80, v80
	v_cvt_i32_f32_e32 v82, v82
	v_add_f32_e32 v59, v59, v85
	v_exp_f32_e32 v57, v57
	v_cndmask_b32_e32 v21, 0, v21, vcc_lo
	v_cmp_ngt_f32_e32 vcc_lo, 0xc2ce8ed0, v49
	v_ldexp_f32 v23, v23, v80
	v_exp_f32_e32 v59, v59
	v_cvt_i32_f32_e32 v86, v86
	v_dual_add_f32 v61, v61, v89 :: v_dual_cndmask_b32 v22, 0, v22
	v_cmp_ngt_f32_e32 vcc_lo, 0xc2ce8ed0, v50
	v_cvt_i32_f32_e32 v90, v90
	s_delay_alu instid0(TRANS32_DEP_2) | instskip(NEXT) | instid1(VALU_DEP_4)
	v_ldexp_f32 v57, v57, v82
	v_exp_f32_e32 v61, v61
	v_add_f32_e32 v63, v63, v93
	v_cndmask_b32_e32 v23, 0, v23, vcc_lo
	v_cmp_ngt_f32_e32 vcc_lo, 0xc2ce8ed0, v51
	v_ldexp_f32 v59, v59, v86
	v_cvt_i32_f32_e32 v94, v94
	v_exp_f32_e32 v63, v63
	v_cndmask_b32_e32 v57, 0, v57, vcc_lo
	v_cmp_ngt_f32_e32 vcc_lo, 0xc2ce8ed0, v52
	s_delay_alu instid0(TRANS32_DEP_2)
	v_ldexp_f32 v61, v61, v90
	v_cndmask_b32_e32 v58, 0, v58, vcc_lo
	v_cmp_ngt_f32_e32 vcc_lo, 0xc2ce8ed0, v53
	s_waitcnt_depctr 0xfff
	v_ldexp_f32 v63, v63, v94
	v_cndmask_b32_e32 v59, 0, v59, vcc_lo
	v_cmp_ngt_f32_e32 vcc_lo, 0xc2ce8ed0, v54
	v_cndmask_b32_e32 v60, 0, v60, vcc_lo
	v_cmp_ngt_f32_e32 vcc_lo, 0xc2ce8ed0, v55
	v_cndmask_b32_e32 v61, 0, v61, vcc_lo
	v_cmp_ngt_f32_e32 vcc_lo, 0xc2ce8ed0, v42
	v_cndmask_b32_e32 v62, 0, v62, vcc_lo
	v_cmp_ngt_f32_e32 vcc_lo, 0xc2ce8ed0, v56
	v_cndmask_b32_e32 v63, 0, v63, vcc_lo
	v_cmp_ngt_f32_e32 vcc_lo, 0xc2ce8ed0, v43
	v_cndmask_b32_e32 v64, 0, v64, vcc_lo
	v_cmp_nlt_f32_e32 vcc_lo, 0x42b17218, v26
	v_cndmask_b32_e32 v26, 0x7f800000, v16, vcc_lo
	v_cmp_nlt_f32_e32 vcc_lo, 0x42b17218, v44
	;; [unrolled: 2-line block ×5, first 2 shown]
	s_delay_alu instid0(VALU_DEP_2)
	v_fmac_f32_e32 v17, v9, v44
	v_cndmask_b32_e32 v45, 0x7f800000, v20, vcc_lo
	v_cmp_nlt_f32_e32 vcc_lo, 0x42b17218, v48
	v_fmac_f32_e32 v16, v8, v26
	v_cvt_f16_f32_e32 v8, v26
	v_cvt_f16_f32_e32 v9, v44
	v_cndmask_b32_e32 v18, 0x7f800000, v21, vcc_lo
	v_cmp_nlt_f32_e32 vcc_lo, 0x42b17218, v49
	s_delay_alu instid0(VALU_DEP_4)
	v_pk_mul_f16 v41, v41, v8 op_sel_hi:[1,0]
	v_mov_b32_e32 v8, v16
	v_pk_mul_f16 v40, v40, v9 op_sel_hi:[1,0]
	v_dual_mov_b32 v9, v17 :: v_dual_cndmask_b32 v46, 0x7f800000, v22
	v_cmp_nlt_f32_e32 vcc_lo, 0x42b17218, v50
	v_cndmask_b32_e32 v19, 0x7f800000, v23, vcc_lo
	v_cmp_nlt_f32_e32 vcc_lo, 0x42b17218, v51
	s_delay_alu instid0(VALU_DEP_2)
	v_fmac_f32_e32 v19, v11, v46
	v_cndmask_b32_e32 v47, 0x7f800000, v57, vcc_lo
	v_cmp_nlt_f32_e32 vcc_lo, 0x42b17218, v52
	v_fmac_f32_e32 v18, v10, v45
	v_cvt_f16_f32_e32 v10, v45
	v_cvt_f16_f32_e32 v11, v46
	v_cndmask_b32_e32 v20, 0x7f800000, v58, vcc_lo
	v_cmp_nlt_f32_e32 vcc_lo, 0x42b17218, v53
	s_delay_alu instid0(VALU_DEP_4)
	v_pk_mul_f16 v39, v39, v10 op_sel_hi:[1,0]
	v_mov_b32_e32 v10, v18
	v_pk_mul_f16 v38, v38, v11 op_sel_hi:[1,0]
	v_dual_mov_b32 v11, v19 :: v_dual_cndmask_b32 v48, 0x7f800000, v59
	v_cmp_nlt_f32_e32 vcc_lo, 0x42b17218, v54
	v_cndmask_b32_e32 v21, 0x7f800000, v60, vcc_lo
	v_cmp_nlt_f32_e32 vcc_lo, 0x42b17218, v55
	s_delay_alu instid0(VALU_DEP_2) | instskip(SKIP_1) | instid1(VALU_DEP_1)
	v_dual_fmac_f32 v21, v13, v48 :: v_dual_fmac_f32 v20, v12, v47
	v_cvt_f16_f32_e32 v12, v47
	v_pk_mul_f16 v37, v37, v12 op_sel_hi:[1,0]
	s_delay_alu instid0(VALU_DEP_3) | instskip(SKIP_3) | instid1(VALU_DEP_2)
	v_dual_mov_b32 v12, v20 :: v_dual_cndmask_b32 v49, 0x7f800000, v61
	v_cmp_nlt_f32_e32 vcc_lo, 0x42b17218, v42
	v_cndmask_b32_e32 v22, 0x7f800000, v62, vcc_lo
	v_cmp_nlt_f32_e32 vcc_lo, 0x42b17218, v56
	v_fmac_f32_e32 v22, v14, v49
	v_cvt_f16_f32_e32 v14, v49
	s_delay_alu instid0(VALU_DEP_1) | instskip(NEXT) | instid1(VALU_DEP_3)
	v_pk_mul_f16 v35, v35, v14 op_sel_hi:[1,0]
	v_mov_b32_e32 v14, v22
	v_cndmask_b32_e32 v42, 0x7f800000, v63, vcc_lo
	v_cmp_nlt_f32_e32 vcc_lo, 0x42b17218, v43
	v_cndmask_b32_e32 v23, 0x7f800000, v64, vcc_lo
	s_delay_alu instid0(VALU_DEP_1) | instskip(SKIP_2) | instid1(VALU_DEP_2)
	v_fmac_f32_e32 v23, v15, v42
	v_cvt_f16_f32_e32 v13, v48
	v_cvt_f16_f32_e32 v15, v42
	v_pk_mul_f16 v36, v36, v13 op_sel_hi:[1,0]
	s_delay_alu instid0(VALU_DEP_2)
	v_pk_mul_f16 v34, v34, v15 op_sel_hi:[1,0]
	v_mov_b32_e32 v13, v21
	v_mov_b32_e32 v15, v23
	s_branch .LBB33_37
.LBB33_36:
	s_delay_alu instid0(VALU_DEP_1)
	v_dual_mov_b32 v23, v15 :: v_dual_mov_b32 v22, v14
	v_dual_mov_b32 v21, v13 :: v_dual_mov_b32 v20, v12
	;; [unrolled: 1-line block ×4, first 2 shown]
.LBB33_37:
	v_lshlrev_b32_e32 v25, 2, v25
	s_mov_b32 s3, exec_lo
	s_delay_alu instid0(VALU_DEP_1) | instskip(NEXT) | instid1(VALU_DEP_1)
	v_add_nc_u32_e32 v26, s33, v25
	v_cmpx_gt_i32_e64 s38, v26
	s_cbranch_execz .LBB33_92
; %bb.38:
	s_load_b32 s1, s[0:1], 0xd4
	v_mov_b32_e32 v42, 1.0
	s_waitcnt lgkmcnt(0)
	s_cmp_lg_u32 s1, 1
	s_cselect_b32 s4, -1, 0
	s_cmp_eq_u32 s1, 1
	s_cselect_b32 s0, -1, 0
	s_and_b32 vcc_lo, exec_lo, s4
	s_cbranch_vccnz .LBB33_40
; %bb.39:
	v_div_scale_f32 v26, null, v8, v8, 1.0
	s_delay_alu instid0(VALU_DEP_1) | instskip(SKIP_2) | instid1(VALU_DEP_1)
	v_rcp_f32_e32 v42, v26
	s_waitcnt_depctr 0xfff
	v_fma_f32 v43, -v26, v42, 1.0
	v_fmac_f32_e32 v42, v43, v42
	v_div_scale_f32 v43, vcc_lo, 1.0, v8, 1.0
	s_delay_alu instid0(VALU_DEP_1) | instskip(NEXT) | instid1(VALU_DEP_1)
	v_mul_f32_e32 v44, v43, v42
	v_fma_f32 v45, -v26, v44, v43
	s_delay_alu instid0(VALU_DEP_1) | instskip(NEXT) | instid1(VALU_DEP_1)
	v_fmac_f32_e32 v44, v45, v42
	v_fma_f32 v26, -v26, v44, v43
	s_delay_alu instid0(VALU_DEP_1) | instskip(NEXT) | instid1(VALU_DEP_1)
	v_div_fmas_f32 v26, v26, v42, v44
	v_div_fixup_f32 v42, v26, v8, 1.0
.LBB33_40:
	s_mul_i32 s3, s44, s38
	s_delay_alu instid0(SALU_CYCLE_1) | instskip(NEXT) | instid1(SALU_CYCLE_1)
	s_add_i32 s3, s3, s33
	v_add_nc_u32_e32 v8, s3, v25
	s_delay_alu instid0(VALU_DEP_1) | instskip(NEXT) | instid1(VALU_DEP_1)
	v_mul_lo_u32 v8, v8, s39
	v_add_nc_u32_e32 v43, s34, v8
	s_delay_alu instid0(VALU_DEP_1)
	v_mad_u64_u32 v[25:26], null, s1, v43, s[14:15]
	s_and_saveexec_b32 s5, s2
	s_cbranch_execz .LBB33_42
; %bb.41:
	s_delay_alu instid0(VALU_DEP_1) | instskip(SKIP_3) | instid1(VALU_DEP_3)
	v_mad_u64_u32 v[43:44], null, v25, 40, v[24:25]
	v_lshrrev_b32_e32 v26, 16, v41
	v_cvt_f32_f16_e32 v41, v41
	v_mov_b32_e32 v44, 0
	v_cvt_f32_f16_e32 v26, v26
	s_delay_alu instid0(VALU_DEP_3) | instskip(NEXT) | instid1(VALU_DEP_3)
	v_mul_f32_e32 v41, v42, v41
	v_lshlrev_b64 v[43:44], 2, v[43:44]
	s_delay_alu instid0(VALU_DEP_3) | instskip(NEXT) | instid1(VALU_DEP_2)
	v_mul_f32_e32 v42, v42, v26
	v_add_co_u32 v43, vcc_lo, s28, v43
	s_delay_alu instid0(VALU_DEP_3)
	v_add_co_ci_u32_e32 v44, vcc_lo, s29, v44, vcc_lo
	global_store_b64 v[43:44], v[41:42], off
.LBB33_42:
	s_or_b32 exec_lo, exec_lo, s5
	v_cmp_eq_u32_e32 vcc_lo, 0, v33
	s_and_b32 s4, vcc_lo, s4
	s_delay_alu instid0(SALU_CYCLE_1)
	s_and_saveexec_b32 s5, s4
	s_cbranch_execz .LBB33_44
; %bb.43:
	v_ashrrev_i32_e32 v26, 31, v25
	v_mov_b32_e32 v41, v0
	v_mov_b32_e32 v42, v16
	s_delay_alu instid0(VALU_DEP_3) | instskip(NEXT) | instid1(VALU_DEP_1)
	v_lshlrev_b64 v[25:26], 3, v[25:26]
	v_add_co_u32 v25, vcc_lo, s30, v25
	s_delay_alu instid0(VALU_DEP_2)
	v_add_co_ci_u32_e32 v26, vcc_lo, s31, v26, vcc_lo
	global_store_b64 v[25:26], v[41:42], off
.LBB33_44:
	s_or_b32 exec_lo, exec_lo, s5
	v_cndmask_b32_e64 v25, 0, 1, s0
	v_mov_b32_e32 v0, 1.0
	s_and_not1_b32 vcc_lo, exec_lo, s0
	s_cbranch_vccnz .LBB33_46
; %bb.45:
	v_div_scale_f32 v0, null, v9, v9, 1.0
	s_delay_alu instid0(VALU_DEP_1) | instskip(SKIP_2) | instid1(VALU_DEP_1)
	v_rcp_f32_e32 v16, v0
	s_waitcnt_depctr 0xfff
	v_fma_f32 v26, -v0, v16, 1.0
	v_fmac_f32_e32 v16, v26, v16
	v_div_scale_f32 v26, vcc_lo, 1.0, v9, 1.0
	s_delay_alu instid0(VALU_DEP_1) | instskip(NEXT) | instid1(VALU_DEP_1)
	v_mul_f32_e32 v33, v26, v16
	v_fma_f32 v41, -v0, v33, v26
	s_delay_alu instid0(VALU_DEP_1) | instskip(NEXT) | instid1(VALU_DEP_1)
	v_fmac_f32_e32 v33, v41, v16
	v_fma_f32 v0, -v0, v33, v26
	s_delay_alu instid0(VALU_DEP_1) | instskip(NEXT) | instid1(VALU_DEP_1)
	v_div_fmas_f32 v0, v0, v16, v33
	v_div_fixup_f32 v0, v0, v9, 1.0
.LBB33_46:
	s_add_i32 s0, s34, 1
	s_delay_alu instid0(SALU_CYCLE_1) | instskip(NEXT) | instid1(VALU_DEP_1)
	v_add_nc_u32_e32 v16, s0, v8
	v_mad_u64_u32 v[8:9], null, s1, v16, s[14:15]
	s_and_saveexec_b32 s5, s2
	s_cbranch_execz .LBB33_48
; %bb.47:
	v_lshrrev_b32_e32 v9, 16, v40
	s_delay_alu instid0(VALU_DEP_2) | instskip(SKIP_1) | instid1(VALU_DEP_3)
	v_mad_u64_u32 v[41:42], null, v8, 40, v[24:25]
	v_cvt_f32_f16_e32 v16, v40
	v_cvt_f32_f16_e32 v9, v9
	s_delay_alu instid0(VALU_DEP_1) | instskip(NEXT) | instid1(VALU_DEP_1)
	v_dual_mov_b32 v42, 0 :: v_dual_mul_f32 v43, v0, v9
	v_lshlrev_b64 v[40:41], 2, v[41:42]
	s_delay_alu instid0(VALU_DEP_4) | instskip(NEXT) | instid1(VALU_DEP_2)
	v_mul_f32_e32 v42, v0, v16
	v_add_co_u32 v40, vcc_lo, s28, v40
	s_delay_alu instid0(VALU_DEP_3)
	v_add_co_ci_u32_e32 v41, vcc_lo, s29, v41, vcc_lo
	global_store_b64 v[40:41], v[42:43], off
.LBB33_48:
	s_or_b32 exec_lo, exec_lo, s5
	s_and_saveexec_b32 s5, s4
	s_cbranch_execz .LBB33_50
; %bb.49:
	s_delay_alu instid0(VALU_DEP_1) | instskip(SKIP_1) | instid1(VALU_DEP_2)
	v_ashrrev_i32_e32 v9, 31, v8
	v_mov_b32_e32 v16, v1
	v_lshlrev_b64 v[8:9], 3, v[8:9]
	s_delay_alu instid0(VALU_DEP_1) | instskip(NEXT) | instid1(VALU_DEP_2)
	v_add_co_u32 v8, vcc_lo, s30, v8
	v_add_co_ci_u32_e32 v9, vcc_lo, s31, v9, vcc_lo
	global_store_b64 v[8:9], v[16:17], off
.LBB33_50:
	s_or_b32 exec_lo, exec_lo, s5
	v_add_nc_u32_e32 v0, s33, v32
	s_delay_alu instid0(VALU_DEP_1)
	v_cmp_gt_i32_e32 vcc_lo, s38, v0
	s_and_b32 exec_lo, exec_lo, vcc_lo
	s_cbranch_execz .LBB33_92
; %bb.51:
	v_cmp_ne_u32_e32 vcc_lo, 1, v25
	v_mov_b32_e32 v8, 1.0
	s_cbranch_vccnz .LBB33_53
; %bb.52:
	v_div_scale_f32 v0, null, v10, v10, 1.0
	s_delay_alu instid0(VALU_DEP_1) | instskip(SKIP_2) | instid1(VALU_DEP_1)
	v_rcp_f32_e32 v1, v0
	s_waitcnt_depctr 0xfff
	v_fma_f32 v8, -v0, v1, 1.0
	v_fmac_f32_e32 v1, v8, v1
	v_div_scale_f32 v8, vcc_lo, 1.0, v10, 1.0
	s_delay_alu instid0(VALU_DEP_1) | instskip(NEXT) | instid1(VALU_DEP_1)
	v_mul_f32_e32 v9, v8, v1
	v_fma_f32 v16, -v0, v9, v8
	s_delay_alu instid0(VALU_DEP_1) | instskip(NEXT) | instid1(VALU_DEP_1)
	v_fmac_f32_e32 v9, v16, v1
	v_fma_f32 v0, -v0, v9, v8
	s_delay_alu instid0(VALU_DEP_1) | instskip(NEXT) | instid1(VALU_DEP_1)
	v_div_fmas_f32 v0, v0, v1, v9
	v_div_fixup_f32 v8, v0, v10, 1.0
.LBB33_53:
	v_add_nc_u32_e32 v0, s3, v32
	s_delay_alu instid0(VALU_DEP_1) | instskip(NEXT) | instid1(VALU_DEP_1)
	v_mad_u64_u32 v[9:10], null, v0, s39, s[34:35]
	v_mad_u64_u32 v[0:1], null, s1, v9, s[14:15]
	s_and_saveexec_b32 s5, s2
	s_cbranch_execz .LBB33_55
; %bb.54:
	v_lshrrev_b32_e32 v1, 16, v39
	s_delay_alu instid0(VALU_DEP_2) | instskip(SKIP_1) | instid1(VALU_DEP_3)
	v_mad_u64_u32 v[9:10], null, v0, 40, v[24:25]
	v_cvt_f32_f16_e32 v16, v39
	v_cvt_f32_f16_e32 v1, v1
	v_mov_b32_e32 v10, 0
	s_delay_alu instid0(VALU_DEP_3) | instskip(NEXT) | instid1(VALU_DEP_3)
	v_mul_f32_e32 v16, v8, v16
	v_mul_f32_e32 v17, v8, v1
	s_delay_alu instid0(VALU_DEP_3) | instskip(NEXT) | instid1(VALU_DEP_1)
	v_lshlrev_b64 v[9:10], 2, v[9:10]
	v_add_co_u32 v8, vcc_lo, s28, v9
	s_delay_alu instid0(VALU_DEP_2)
	v_add_co_ci_u32_e32 v9, vcc_lo, s29, v10, vcc_lo
	global_store_b64 v[8:9], v[16:17], off
.LBB33_55:
	s_or_b32 exec_lo, exec_lo, s5
	s_and_saveexec_b32 s5, s4
	s_cbranch_execz .LBB33_57
; %bb.56:
	s_delay_alu instid0(VALU_DEP_1) | instskip(SKIP_1) | instid1(VALU_DEP_2)
	v_ashrrev_i32_e32 v1, 31, v0
	v_mov_b32_e32 v17, v2
	v_lshlrev_b64 v[0:1], 3, v[0:1]
	s_delay_alu instid0(VALU_DEP_1) | instskip(NEXT) | instid1(VALU_DEP_2)
	v_add_co_u32 v0, vcc_lo, s30, v0
	v_add_co_ci_u32_e32 v1, vcc_lo, s31, v1, vcc_lo
	global_store_b64 v[0:1], v[17:18], off
.LBB33_57:
	s_or_b32 exec_lo, exec_lo, s5
	v_lshrrev_b32_e32 v0, 1, v31
	s_delay_alu instid0(VALU_DEP_1) | instskip(NEXT) | instid1(VALU_DEP_1)
	v_add_nc_u32_e32 v1, s33, v0
	v_cmp_gt_i32_e32 vcc_lo, s38, v1
	s_and_b32 exec_lo, exec_lo, vcc_lo
	s_cbranch_execz .LBB33_92
; %bb.58:
	v_cmp_ne_u32_e32 vcc_lo, 1, v25
	v_mov_b32_e32 v2, 1.0
	s_cbranch_vccnz .LBB33_60
; %bb.59:
	v_div_scale_f32 v1, null, v11, v11, 1.0
	s_delay_alu instid0(VALU_DEP_1) | instskip(SKIP_2) | instid1(VALU_DEP_1)
	v_rcp_f32_e32 v2, v1
	s_waitcnt_depctr 0xfff
	v_fma_f32 v8, -v1, v2, 1.0
	v_fmac_f32_e32 v2, v8, v2
	v_div_scale_f32 v8, vcc_lo, 1.0, v11, 1.0
	s_delay_alu instid0(VALU_DEP_1) | instskip(NEXT) | instid1(VALU_DEP_1)
	v_mul_f32_e32 v9, v8, v2
	v_fma_f32 v10, -v1, v9, v8
	s_delay_alu instid0(VALU_DEP_1) | instskip(NEXT) | instid1(VALU_DEP_1)
	v_fmac_f32_e32 v9, v10, v2
	v_fma_f32 v1, -v1, v9, v8
	s_delay_alu instid0(VALU_DEP_1) | instskip(NEXT) | instid1(VALU_DEP_1)
	v_div_fmas_f32 v1, v1, v2, v9
	v_div_fixup_f32 v2, v1, v11, 1.0
.LBB33_60:
	v_add_nc_u32_e32 v0, s3, v0
	s_delay_alu instid0(VALU_DEP_1) | instskip(NEXT) | instid1(VALU_DEP_1)
	v_mad_u64_u32 v[8:9], null, v0, s39, s[0:1]
	v_mad_u64_u32 v[0:1], null, s1, v8, s[14:15]
	s_and_saveexec_b32 s5, s2
	s_cbranch_execz .LBB33_62
; %bb.61:
	v_lshrrev_b32_e32 v1, 16, v38
	s_delay_alu instid0(VALU_DEP_2) | instskip(SKIP_1) | instid1(VALU_DEP_3)
	v_mad_u64_u32 v[8:9], null, v0, 40, v[24:25]
	v_cvt_f32_f16_e32 v10, v38
	v_cvt_f32_f16_e32 v11, v1
	v_mov_b32_e32 v9, 0
	s_delay_alu instid0(VALU_DEP_3) | instskip(NEXT) | instid1(VALU_DEP_3)
	v_mul_f32_e32 v1, v2, v10
	v_mul_f32_e32 v2, v2, v11
	s_delay_alu instid0(VALU_DEP_3) | instskip(NEXT) | instid1(VALU_DEP_1)
	v_lshlrev_b64 v[8:9], 2, v[8:9]
	v_add_co_u32 v8, vcc_lo, s28, v8
	s_delay_alu instid0(VALU_DEP_2)
	v_add_co_ci_u32_e32 v9, vcc_lo, s29, v9, vcc_lo
	global_store_b64 v[8:9], v[1:2], off
.LBB33_62:
	s_or_b32 exec_lo, exec_lo, s5
	s_and_saveexec_b32 s5, s4
	s_cbranch_execz .LBB33_64
; %bb.63:
	s_delay_alu instid0(VALU_DEP_1) | instskip(SKIP_1) | instid1(VALU_DEP_2)
	v_ashrrev_i32_e32 v1, 31, v0
	v_mov_b32_e32 v18, v3
	v_lshlrev_b64 v[0:1], 3, v[0:1]
	s_delay_alu instid0(VALU_DEP_1) | instskip(NEXT) | instid1(VALU_DEP_2)
	v_add_co_u32 v0, vcc_lo, s30, v0
	v_add_co_ci_u32_e32 v1, vcc_lo, s31, v1, vcc_lo
	global_store_b64 v[0:1], v[18:19], off
.LBB33_64:
	s_or_b32 exec_lo, exec_lo, s5
	v_lshrrev_b32_e32 v0, 1, v30
	s_delay_alu instid0(VALU_DEP_1) | instskip(NEXT) | instid1(VALU_DEP_1)
	v_add_nc_u32_e32 v1, s33, v0
	v_cmp_gt_i32_e32 vcc_lo, s38, v1
	s_and_b32 exec_lo, exec_lo, vcc_lo
	s_cbranch_execz .LBB33_92
; %bb.65:
	v_cmp_ne_u32_e32 vcc_lo, 1, v25
	v_mov_b32_e32 v2, 1.0
	s_cbranch_vccnz .LBB33_67
; %bb.66:
	v_div_scale_f32 v1, null, v12, v12, 1.0
	s_delay_alu instid0(VALU_DEP_1) | instskip(SKIP_2) | instid1(VALU_DEP_1)
	v_rcp_f32_e32 v2, v1
	s_waitcnt_depctr 0xfff
	v_fma_f32 v3, -v1, v2, 1.0
	v_fmac_f32_e32 v2, v3, v2
	v_div_scale_f32 v3, vcc_lo, 1.0, v12, 1.0
	s_delay_alu instid0(VALU_DEP_1) | instskip(NEXT) | instid1(VALU_DEP_1)
	v_mul_f32_e32 v8, v3, v2
	v_fma_f32 v9, -v1, v8, v3
	s_delay_alu instid0(VALU_DEP_1) | instskip(NEXT) | instid1(VALU_DEP_1)
	v_fmac_f32_e32 v8, v9, v2
	v_fma_f32 v1, -v1, v8, v3
	s_delay_alu instid0(VALU_DEP_1) | instskip(NEXT) | instid1(VALU_DEP_1)
	v_div_fmas_f32 v1, v1, v2, v8
	v_div_fixup_f32 v2, v1, v12, 1.0
.LBB33_67:
	v_add_nc_u32_e32 v0, s3, v0
	s_delay_alu instid0(VALU_DEP_1) | instskip(NEXT) | instid1(VALU_DEP_1)
	v_mad_u64_u32 v[8:9], null, v0, s39, s[34:35]
	v_mad_u64_u32 v[0:1], null, s1, v8, s[14:15]
	s_and_saveexec_b32 s5, s2
	s_cbranch_execz .LBB33_69
; %bb.68:
	v_lshrrev_b32_e32 v1, 16, v37
	s_delay_alu instid0(VALU_DEP_2) | instskip(SKIP_1) | instid1(VALU_DEP_3)
	v_mad_u64_u32 v[8:9], null, v0, 40, v[24:25]
	v_cvt_f32_f16_e32 v3, v37
	v_cvt_f32_f16_e32 v10, v1
	v_mov_b32_e32 v9, 0
	s_delay_alu instid0(VALU_DEP_3) | instskip(NEXT) | instid1(VALU_DEP_3)
	v_mul_f32_e32 v1, v2, v3
	v_mul_f32_e32 v2, v2, v10
	s_delay_alu instid0(VALU_DEP_3) | instskip(NEXT) | instid1(VALU_DEP_1)
	v_lshlrev_b64 v[8:9], 2, v[8:9]
	v_add_co_u32 v8, vcc_lo, s28, v8
	s_delay_alu instid0(VALU_DEP_2)
	v_add_co_ci_u32_e32 v9, vcc_lo, s29, v9, vcc_lo
	global_store_b64 v[8:9], v[1:2], off
.LBB33_69:
	s_or_b32 exec_lo, exec_lo, s5
	s_and_saveexec_b32 s5, s4
	s_cbranch_execz .LBB33_71
; %bb.70:
	s_delay_alu instid0(VALU_DEP_1) | instskip(SKIP_1) | instid1(VALU_DEP_2)
	v_ashrrev_i32_e32 v1, 31, v0
	v_mov_b32_e32 v19, v4
	v_lshlrev_b64 v[0:1], 3, v[0:1]
	s_delay_alu instid0(VALU_DEP_1) | instskip(NEXT) | instid1(VALU_DEP_2)
	v_add_co_u32 v0, vcc_lo, s30, v0
	v_add_co_ci_u32_e32 v1, vcc_lo, s31, v1, vcc_lo
	global_store_b64 v[0:1], v[19:20], off
.LBB33_71:
	s_or_b32 exec_lo, exec_lo, s5
	v_lshrrev_b32_e32 v0, 1, v29
	s_delay_alu instid0(VALU_DEP_1) | instskip(NEXT) | instid1(VALU_DEP_1)
	v_add_nc_u32_e32 v1, s33, v0
	v_cmp_gt_i32_e32 vcc_lo, s38, v1
	s_and_b32 exec_lo, exec_lo, vcc_lo
	s_cbranch_execz .LBB33_92
; %bb.72:
	v_cmp_ne_u32_e32 vcc_lo, 1, v25
	v_mov_b32_e32 v2, 1.0
	s_cbranch_vccnz .LBB33_74
; %bb.73:
	v_div_scale_f32 v1, null, v13, v13, 1.0
	s_delay_alu instid0(VALU_DEP_1) | instskip(SKIP_2) | instid1(VALU_DEP_1)
	v_rcp_f32_e32 v2, v1
	s_waitcnt_depctr 0xfff
	v_fma_f32 v3, -v1, v2, 1.0
	v_fmac_f32_e32 v2, v3, v2
	v_div_scale_f32 v3, vcc_lo, 1.0, v13, 1.0
	s_delay_alu instid0(VALU_DEP_1) | instskip(NEXT) | instid1(VALU_DEP_1)
	v_mul_f32_e32 v4, v3, v2
	v_fma_f32 v8, -v1, v4, v3
	s_delay_alu instid0(VALU_DEP_1) | instskip(NEXT) | instid1(VALU_DEP_1)
	v_fmac_f32_e32 v4, v8, v2
	v_fma_f32 v1, -v1, v4, v3
	s_delay_alu instid0(VALU_DEP_1) | instskip(NEXT) | instid1(VALU_DEP_1)
	v_div_fmas_f32 v1, v1, v2, v4
	v_div_fixup_f32 v2, v1, v13, 1.0
.LBB33_74:
	v_add_nc_u32_e32 v0, s3, v0
	s_delay_alu instid0(VALU_DEP_1) | instskip(NEXT) | instid1(VALU_DEP_1)
	v_mad_u64_u32 v[3:4], null, v0, s39, s[0:1]
	v_mad_u64_u32 v[0:1], null, s1, v3, s[14:15]
	s_and_saveexec_b32 s5, s2
	s_cbranch_execz .LBB33_76
; %bb.75:
	s_delay_alu instid0(VALU_DEP_1) | instskip(SKIP_3) | instid1(VALU_DEP_3)
	v_mad_u64_u32 v[3:4], null, v0, 40, v[24:25]
	v_lshrrev_b32_e32 v1, 16, v36
	v_cvt_f32_f16_e32 v8, v36
	v_mov_b32_e32 v4, 0
	v_cvt_f32_f16_e32 v9, v1
	s_delay_alu instid0(VALU_DEP_3) | instskip(NEXT) | instid1(VALU_DEP_3)
	v_mul_f32_e32 v1, v2, v8
	v_lshlrev_b64 v[3:4], 2, v[3:4]
	s_delay_alu instid0(VALU_DEP_3) | instskip(NEXT) | instid1(VALU_DEP_2)
	v_mul_f32_e32 v2, v2, v9
	v_add_co_u32 v3, vcc_lo, s28, v3
	s_delay_alu instid0(VALU_DEP_3)
	v_add_co_ci_u32_e32 v4, vcc_lo, s29, v4, vcc_lo
	global_store_b64 v[3:4], v[1:2], off
.LBB33_76:
	s_or_b32 exec_lo, exec_lo, s5
	s_and_saveexec_b32 s5, s4
	s_cbranch_execz .LBB33_78
; %bb.77:
	s_delay_alu instid0(VALU_DEP_1) | instskip(SKIP_1) | instid1(VALU_DEP_2)
	v_ashrrev_i32_e32 v1, 31, v0
	v_mov_b32_e32 v20, v5
	v_lshlrev_b64 v[0:1], 3, v[0:1]
	s_delay_alu instid0(VALU_DEP_1) | instskip(NEXT) | instid1(VALU_DEP_2)
	v_add_co_u32 v0, vcc_lo, s30, v0
	v_add_co_ci_u32_e32 v1, vcc_lo, s31, v1, vcc_lo
	global_store_b64 v[0:1], v[20:21], off
.LBB33_78:
	s_or_b32 exec_lo, exec_lo, s5
	v_lshrrev_b32_e32 v0, 1, v28
	s_delay_alu instid0(VALU_DEP_1) | instskip(NEXT) | instid1(VALU_DEP_1)
	v_add_nc_u32_e32 v1, s33, v0
	v_cmp_gt_i32_e32 vcc_lo, s38, v1
	s_and_b32 exec_lo, exec_lo, vcc_lo
	s_cbranch_execz .LBB33_92
; %bb.79:
	v_cmp_ne_u32_e32 vcc_lo, 1, v25
	v_mov_b32_e32 v2, 1.0
	s_cbranch_vccnz .LBB33_81
; %bb.80:
	v_div_scale_f32 v1, null, v14, v14, 1.0
	s_delay_alu instid0(VALU_DEP_1) | instskip(SKIP_2) | instid1(VALU_DEP_1)
	v_rcp_f32_e32 v2, v1
	s_waitcnt_depctr 0xfff
	v_fma_f32 v3, -v1, v2, 1.0
	v_fmac_f32_e32 v2, v3, v2
	v_div_scale_f32 v3, vcc_lo, 1.0, v14, 1.0
	s_delay_alu instid0(VALU_DEP_1) | instskip(NEXT) | instid1(VALU_DEP_1)
	v_mul_f32_e32 v4, v3, v2
	v_fma_f32 v5, -v1, v4, v3
	s_delay_alu instid0(VALU_DEP_1) | instskip(NEXT) | instid1(VALU_DEP_1)
	v_fmac_f32_e32 v4, v5, v2
	v_fma_f32 v1, -v1, v4, v3
	s_delay_alu instid0(VALU_DEP_1) | instskip(NEXT) | instid1(VALU_DEP_1)
	v_div_fmas_f32 v1, v1, v2, v4
	v_div_fixup_f32 v2, v1, v14, 1.0
.LBB33_81:
	v_add_nc_u32_e32 v0, s3, v0
	s_delay_alu instid0(VALU_DEP_1) | instskip(NEXT) | instid1(VALU_DEP_1)
	v_mad_u64_u32 v[3:4], null, v0, s39, s[34:35]
	v_mad_u64_u32 v[0:1], null, s1, v3, s[14:15]
	s_and_saveexec_b32 s5, s2
	s_cbranch_execz .LBB33_83
; %bb.82:
	s_delay_alu instid0(VALU_DEP_1) | instskip(SKIP_3) | instid1(VALU_DEP_3)
	v_mad_u64_u32 v[3:4], null, v0, 40, v[24:25]
	v_lshrrev_b32_e32 v1, 16, v35
	v_cvt_f32_f16_e32 v5, v35
	v_mov_b32_e32 v4, 0
	v_cvt_f32_f16_e32 v8, v1
	s_delay_alu instid0(VALU_DEP_3) | instskip(NEXT) | instid1(VALU_DEP_3)
	v_mul_f32_e32 v1, v2, v5
	v_lshlrev_b64 v[3:4], 2, v[3:4]
	s_delay_alu instid0(VALU_DEP_3) | instskip(NEXT) | instid1(VALU_DEP_2)
	v_mul_f32_e32 v2, v2, v8
	v_add_co_u32 v3, vcc_lo, s28, v3
	s_delay_alu instid0(VALU_DEP_3)
	v_add_co_ci_u32_e32 v4, vcc_lo, s29, v4, vcc_lo
	global_store_b64 v[3:4], v[1:2], off
.LBB33_83:
	s_or_b32 exec_lo, exec_lo, s5
	s_and_saveexec_b32 s5, s4
	s_cbranch_execz .LBB33_85
; %bb.84:
	s_delay_alu instid0(VALU_DEP_1) | instskip(SKIP_1) | instid1(VALU_DEP_2)
	v_ashrrev_i32_e32 v1, 31, v0
	v_mov_b32_e32 v21, v6
	v_lshlrev_b64 v[0:1], 3, v[0:1]
	s_delay_alu instid0(VALU_DEP_1) | instskip(NEXT) | instid1(VALU_DEP_2)
	v_add_co_u32 v0, vcc_lo, s30, v0
	v_add_co_ci_u32_e32 v1, vcc_lo, s31, v1, vcc_lo
	global_store_b64 v[0:1], v[21:22], off
.LBB33_85:
	s_or_b32 exec_lo, exec_lo, s5
	v_lshrrev_b32_e32 v0, 1, v27
	s_delay_alu instid0(VALU_DEP_1) | instskip(NEXT) | instid1(VALU_DEP_1)
	v_add_nc_u32_e32 v1, s33, v0
	v_cmp_gt_i32_e32 vcc_lo, s38, v1
	s_and_b32 exec_lo, exec_lo, vcc_lo
	s_cbranch_execz .LBB33_92
; %bb.86:
	v_cmp_ne_u32_e32 vcc_lo, 1, v25
	v_mov_b32_e32 v2, 1.0
	s_cbranch_vccnz .LBB33_88
; %bb.87:
	v_div_scale_f32 v1, null, v15, v15, 1.0
	s_delay_alu instid0(VALU_DEP_1) | instskip(SKIP_2) | instid1(VALU_DEP_1)
	v_rcp_f32_e32 v2, v1
	s_waitcnt_depctr 0xfff
	v_fma_f32 v3, -v1, v2, 1.0
	v_fmac_f32_e32 v2, v3, v2
	v_div_scale_f32 v3, vcc_lo, 1.0, v15, 1.0
	s_delay_alu instid0(VALU_DEP_1) | instskip(NEXT) | instid1(VALU_DEP_1)
	v_mul_f32_e32 v4, v3, v2
	v_fma_f32 v5, -v1, v4, v3
	s_delay_alu instid0(VALU_DEP_1) | instskip(NEXT) | instid1(VALU_DEP_1)
	v_fmac_f32_e32 v4, v5, v2
	v_fma_f32 v1, -v1, v4, v3
	s_delay_alu instid0(VALU_DEP_1) | instskip(NEXT) | instid1(VALU_DEP_1)
	v_div_fmas_f32 v1, v1, v2, v4
	v_div_fixup_f32 v2, v1, v15, 1.0
.LBB33_88:
	v_add_nc_u32_e32 v0, s3, v0
	s_delay_alu instid0(VALU_DEP_1) | instskip(NEXT) | instid1(VALU_DEP_1)
	v_mad_u64_u32 v[3:4], null, v0, s39, s[0:1]
	v_mad_u64_u32 v[0:1], null, s1, v3, s[14:15]
	s_and_saveexec_b32 s0, s2
	s_cbranch_execz .LBB33_90
; %bb.89:
	s_delay_alu instid0(VALU_DEP_1) | instskip(SKIP_3) | instid1(VALU_DEP_3)
	v_mad_u64_u32 v[3:4], null, v0, 40, v[24:25]
	v_lshrrev_b32_e32 v1, 16, v34
	v_cvt_f32_f16_e32 v5, v34
	v_mov_b32_e32 v4, 0
	v_cvt_f32_f16_e32 v6, v1
	s_delay_alu instid0(VALU_DEP_3) | instskip(NEXT) | instid1(VALU_DEP_3)
	v_mul_f32_e32 v1, v2, v5
	v_lshlrev_b64 v[3:4], 2, v[3:4]
	s_delay_alu instid0(VALU_DEP_3) | instskip(NEXT) | instid1(VALU_DEP_2)
	v_mul_f32_e32 v2, v2, v6
	v_add_co_u32 v3, vcc_lo, s28, v3
	s_delay_alu instid0(VALU_DEP_3)
	v_add_co_ci_u32_e32 v4, vcc_lo, s29, v4, vcc_lo
	global_store_b64 v[3:4], v[1:2], off
.LBB33_90:
	s_or_b32 exec_lo, exec_lo, s0
	s_delay_alu instid0(SALU_CYCLE_1)
	s_and_b32 exec_lo, exec_lo, s4
	s_cbranch_execz .LBB33_92
; %bb.91:
	s_delay_alu instid0(VALU_DEP_1) | instskip(SKIP_1) | instid1(VALU_DEP_2)
	v_ashrrev_i32_e32 v1, 31, v0
	v_mov_b32_e32 v22, v7
	v_lshlrev_b64 v[0:1], 3, v[0:1]
	s_delay_alu instid0(VALU_DEP_1) | instskip(NEXT) | instid1(VALU_DEP_2)
	v_add_co_u32 v0, vcc_lo, s30, v0
	v_add_co_ci_u32_e32 v1, vcc_lo, s31, v1, vcc_lo
	global_store_b64 v[0:1], v[22:23], off
.LBB33_92:
	s_nop 0
	s_sendmsg sendmsg(MSG_DEALLOC_VGPRS)
	s_endpgm
	.section	.rodata,"a",@progbits
	.p2align	6, 0x0
	.amdhsa_kernel _ZL15flash_attn_tileILi40ELi40ELi32ELi2ELb0EEvPKcS1_S1_S1_S1_PKiPfP15HIP_vector_typeIfLj2EEffffjfiS5_IjLj3EEiiiiiiiiiiiliiliiiiil
		.amdhsa_group_segment_fixed_size 12384
		.amdhsa_private_segment_fixed_size 0
		.amdhsa_kernarg_size 464
		.amdhsa_user_sgpr_count 13
		.amdhsa_user_sgpr_dispatch_ptr 0
		.amdhsa_user_sgpr_queue_ptr 0
		.amdhsa_user_sgpr_kernarg_segment_ptr 1
		.amdhsa_user_sgpr_dispatch_id 0
		.amdhsa_user_sgpr_private_segment_size 0
		.amdhsa_wavefront_size32 1
		.amdhsa_uses_dynamic_stack 0
		.amdhsa_enable_private_segment 0
		.amdhsa_system_sgpr_workgroup_id_x 1
		.amdhsa_system_sgpr_workgroup_id_y 1
		.amdhsa_system_sgpr_workgroup_id_z 1
		.amdhsa_system_sgpr_workgroup_info 0
		.amdhsa_system_vgpr_workitem_id 1
		.amdhsa_next_free_vgpr 111
		.amdhsa_next_free_sgpr 52
		.amdhsa_reserve_vcc 1
		.amdhsa_float_round_mode_32 0
		.amdhsa_float_round_mode_16_64 0
		.amdhsa_float_denorm_mode_32 3
		.amdhsa_float_denorm_mode_16_64 3
		.amdhsa_dx10_clamp 1
		.amdhsa_ieee_mode 1
		.amdhsa_fp16_overflow 0
		.amdhsa_workgroup_processor_mode 1
		.amdhsa_memory_ordered 1
		.amdhsa_forward_progress 0
		.amdhsa_shared_vgpr_count 0
		.amdhsa_exception_fp_ieee_invalid_op 0
		.amdhsa_exception_fp_denorm_src 0
		.amdhsa_exception_fp_ieee_div_zero 0
		.amdhsa_exception_fp_ieee_overflow 0
		.amdhsa_exception_fp_ieee_underflow 0
		.amdhsa_exception_fp_ieee_inexact 0
		.amdhsa_exception_int_div_zero 0
	.end_amdhsa_kernel
	.section	.text._ZL15flash_attn_tileILi40ELi40ELi32ELi2ELb0EEvPKcS1_S1_S1_S1_PKiPfP15HIP_vector_typeIfLj2EEffffjfiS5_IjLj3EEiiiiiiiiiiiliiliiiiil,"axG",@progbits,_ZL15flash_attn_tileILi40ELi40ELi32ELi2ELb0EEvPKcS1_S1_S1_S1_PKiPfP15HIP_vector_typeIfLj2EEffffjfiS5_IjLj3EEiiiiiiiiiiiliiliiiiil,comdat
.Lfunc_end33:
	.size	_ZL15flash_attn_tileILi40ELi40ELi32ELi2ELb0EEvPKcS1_S1_S1_S1_PKiPfP15HIP_vector_typeIfLj2EEffffjfiS5_IjLj3EEiiiiiiiiiiiliiliiiiil, .Lfunc_end33-_ZL15flash_attn_tileILi40ELi40ELi32ELi2ELb0EEvPKcS1_S1_S1_S1_PKiPfP15HIP_vector_typeIfLj2EEffffjfiS5_IjLj3EEiiiiiiiiiiiliiliiiiil
                                        ; -- End function
	.section	.AMDGPU.csdata,"",@progbits
; Kernel info:
; codeLenInByte = 18204
; NumSgprs: 54
; NumVgprs: 111
; ScratchSize: 0
; MemoryBound: 0
; FloatMode: 240
; IeeeMode: 1
; LDSByteSize: 12384 bytes/workgroup (compile time only)
; SGPRBlocks: 6
; VGPRBlocks: 13
; NumSGPRsForWavesPerEU: 54
; NumVGPRsForWavesPerEU: 111
; Occupancy: 12
; WaveLimiterHint : 1
; COMPUTE_PGM_RSRC2:SCRATCH_EN: 0
; COMPUTE_PGM_RSRC2:USER_SGPR: 13
; COMPUTE_PGM_RSRC2:TRAP_HANDLER: 0
; COMPUTE_PGM_RSRC2:TGID_X_EN: 1
; COMPUTE_PGM_RSRC2:TGID_Y_EN: 1
; COMPUTE_PGM_RSRC2:TGID_Z_EN: 1
; COMPUTE_PGM_RSRC2:TIDIG_COMP_CNT: 1
	.section	.text._ZL25flash_attn_mask_to_KV_maxILi32EEvPK7__half2Piiii,"axG",@progbits,_ZL25flash_attn_mask_to_KV_maxILi32EEvPK7__half2Piiii,comdat
	.globl	_ZL25flash_attn_mask_to_KV_maxILi32EEvPK7__half2Piiii ; -- Begin function _ZL25flash_attn_mask_to_KV_maxILi32EEvPK7__half2Piiii
	.p2align	8
	.type	_ZL25flash_attn_mask_to_KV_maxILi32EEvPK7__half2Piiii,@function
_ZL25flash_attn_mask_to_KV_maxILi32EEvPK7__half2Piiii: ; @_ZL25flash_attn_mask_to_KV_maxILi32EEvPK7__half2Piiii
; %bb.0:
	s_load_b128 s[4:7], s[0:1], 0x0
	s_mov_b32 s2, exec_lo
	v_cmpx_gt_u32_e32 32, v0
	s_cbranch_execz .LBB34_2
; %bb.1:
	v_dual_mov_b32 v2, 1 :: v_dual_lshlrev_b32 v1, 2, v0
	ds_store_b32 v1, v2
.LBB34_2:
	s_or_b32 exec_lo, exec_lo, s2
	s_clause 0x1
	s_load_b128 s[8:11], s[0:1], 0x10
	s_load_b32 s1, s[0:1], 0x20
	v_dual_mov_b32 v2, 0 :: v_dual_and_b32 v1, 31, v0
	v_lshrrev_b32_e32 v5, 3, v0
	s_waitcnt lgkmcnt(0)
	s_barrier
	s_delay_alu instid0(VALU_DEP_2) | instskip(SKIP_4) | instid1(SALU_CYCLE_1)
	v_lshlrev_b32_e32 v6, 2, v1
	buffer_gl0_inv
	s_mul_i32 s0, s14, s9
	s_mul_i32 s2, s15, s10
	s_lshl_b32 s0, s0, 5
	s_add_i32 s2, s2, s0
	v_cmp_eq_u32_e64 s0, 0, v1
	s_ashr_i32 s3, s2, 31
	s_delay_alu instid0(SALU_CYCLE_1) | instskip(NEXT) | instid1(SALU_CYCLE_1)
	s_lshl_b64 s[10:11], s[2:3], 2
	s_add_u32 s3, s4, s10
	s_addc_u32 s4, s5, s11
	s_lshl_b32 s5, s8, 8
	s_branch .LBB34_4
.LBB34_3:                               ;   in Loop: Header=BB34_4 Depth=1
	s_or_b32 exec_lo, exec_lo, s10
	s_waitcnt lgkmcnt(0)
	s_barrier
	buffer_gl0_inv
	ds_load_b32 v1, v6
	s_waitcnt lgkmcnt(0)
	s_barrier
	buffer_gl0_inv
	;;#ASMSTART
	;;#ASMEND
	v_cmp_ne_u32_e32 vcc_lo, 0, v1
	s_cmp_lg_u32 vcc_lo, exec_lo
	s_cselect_b32 s8, -1, 0
	s_delay_alu instid0(SALU_CYCLE_1)
	s_and_b32 vcc_lo, exec_lo, s8
	s_cbranch_vccnz .LBB34_132
.LBB34_4:                               ; =>This Inner Loop Header: Depth=1
	s_mov_b32 s2, s5
	s_addk_i32 s5, 0xff00
	s_delay_alu instid0(SALU_CYCLE_1)
	s_cmp_lt_i32 s5, 0
	s_cbranch_scc1 .LBB34_131
; %bb.5:                                ;   in Loop: Header=BB34_4 Depth=1
	s_lshr_b32 s8, s5, 1
	s_mov_b32 s10, 0
	v_add_nc_u32_e32 v1, s8, v0
	s_delay_alu instid0(VALU_DEP_1) | instskip(NEXT) | instid1(VALU_DEP_1)
	v_lshlrev_b64 v[3:4], 2, v[1:2]
	v_add_co_u32 v3, vcc_lo, s3, v3
	s_delay_alu instid0(VALU_DEP_2) | instskip(SKIP_4) | instid1(VALU_DEP_2)
	v_add_co_ci_u32_e32 v4, vcc_lo, s4, v4, vcc_lo
	global_load_b32 v3, v[3:4], off
	s_waitcnt vmcnt(0)
	v_lshrrev_b32_e32 v4, 16, v3
	v_cmp_class_f16_e64 s8, v3, 0x204
	v_and_b32_e32 v4, 0x7fff, v4
	s_delay_alu instid0(VALU_DEP_1) | instskip(NEXT) | instid1(VALU_DEP_3)
	v_cmp_eq_f16_e32 vcc_lo, 0x7c00, v4
	s_and_b32 s11, s8, vcc_lo
	s_delay_alu instid0(SALU_CYCLE_1)
	s_and_saveexec_b32 s8, s11
	s_cbranch_execz .LBB34_129
; %bb.6:                                ;   in Loop: Header=BB34_4 Depth=1
	v_add_nc_u32_e32 v3, s9, v1
	s_mov_b32 s11, 0
	s_delay_alu instid0(VALU_DEP_1) | instskip(NEXT) | instid1(VALU_DEP_1)
	v_ashrrev_i32_e32 v4, 31, v3
	v_lshlrev_b64 v[7:8], 2, v[3:4]
	s_delay_alu instid0(VALU_DEP_1) | instskip(NEXT) | instid1(VALU_DEP_2)
	v_add_co_u32 v7, vcc_lo, s3, v7
	v_add_co_ci_u32_e32 v8, vcc_lo, s4, v8, vcc_lo
	global_load_b32 v1, v[7:8], off
	s_waitcnt vmcnt(0)
	v_cmp_class_f16_e64 s12, v1, 0x204
	s_delay_alu instid0(VALU_DEP_1)
	s_and_saveexec_b32 s10, s12
	s_cbranch_execz .LBB34_128
; %bb.7:                                ;   in Loop: Header=BB34_4 Depth=1
	v_lshrrev_b32_e32 v1, 16, v1
	s_mov_b32 s12, 0
	s_delay_alu instid0(VALU_DEP_1) | instskip(NEXT) | instid1(VALU_DEP_1)
	v_cmp_class_f16_e64 s13, v1, 0x204
	s_and_saveexec_b32 s11, s13
	s_cbranch_execz .LBB34_127
; %bb.8:                                ;   in Loop: Header=BB34_4 Depth=1
	v_add_nc_u32_e32 v3, s9, v3
	s_mov_b32 s13, 0
	s_delay_alu instid0(VALU_DEP_1) | instskip(NEXT) | instid1(VALU_DEP_1)
	v_ashrrev_i32_e32 v4, 31, v3
	v_lshlrev_b64 v[7:8], 2, v[3:4]
	s_delay_alu instid0(VALU_DEP_1) | instskip(NEXT) | instid1(VALU_DEP_2)
	v_add_co_u32 v7, vcc_lo, s3, v7
	v_add_co_ci_u32_e32 v8, vcc_lo, s4, v8, vcc_lo
	global_load_b32 v1, v[7:8], off
	s_waitcnt vmcnt(0)
	v_cmp_class_f16_e64 s16, v1, 0x204
	s_delay_alu instid0(VALU_DEP_1)
	s_and_saveexec_b32 s12, s16
	s_cbranch_execz .LBB34_126
; %bb.9:                                ;   in Loop: Header=BB34_4 Depth=1
	v_lshrrev_b32_e32 v1, 16, v1
	s_mov_b32 s16, 0
	s_delay_alu instid0(VALU_DEP_1) | instskip(NEXT) | instid1(VALU_DEP_1)
	v_cmp_class_f16_e64 s17, v1, 0x204
	s_and_saveexec_b32 s13, s17
	s_cbranch_execz .LBB34_125
; %bb.10:                               ;   in Loop: Header=BB34_4 Depth=1
	v_add_nc_u32_e32 v3, s9, v3
	s_mov_b32 s17, 0
	s_delay_alu instid0(VALU_DEP_1) | instskip(NEXT) | instid1(VALU_DEP_1)
	v_ashrrev_i32_e32 v4, 31, v3
	v_lshlrev_b64 v[7:8], 2, v[3:4]
	s_delay_alu instid0(VALU_DEP_1) | instskip(NEXT) | instid1(VALU_DEP_2)
	v_add_co_u32 v7, vcc_lo, s3, v7
	v_add_co_ci_u32_e32 v8, vcc_lo, s4, v8, vcc_lo
	global_load_b32 v1, v[7:8], off
	s_waitcnt vmcnt(0)
	v_cmp_class_f16_e64 s18, v1, 0x204
	s_delay_alu instid0(VALU_DEP_1)
	s_and_saveexec_b32 s16, s18
	s_cbranch_execz .LBB34_124
; %bb.11:                               ;   in Loop: Header=BB34_4 Depth=1
	v_lshrrev_b32_e32 v1, 16, v1
	s_mov_b32 s18, 0
	s_delay_alu instid0(VALU_DEP_1) | instskip(NEXT) | instid1(VALU_DEP_1)
	v_cmp_class_f16_e64 s19, v1, 0x204
	s_and_saveexec_b32 s17, s19
	s_cbranch_execz .LBB34_123
; %bb.12:                               ;   in Loop: Header=BB34_4 Depth=1
	v_add_nc_u32_e32 v3, s9, v3
	s_mov_b32 s19, 0
	s_delay_alu instid0(VALU_DEP_1) | instskip(NEXT) | instid1(VALU_DEP_1)
	v_ashrrev_i32_e32 v4, 31, v3
	v_lshlrev_b64 v[7:8], 2, v[3:4]
	s_delay_alu instid0(VALU_DEP_1) | instskip(NEXT) | instid1(VALU_DEP_2)
	v_add_co_u32 v7, vcc_lo, s3, v7
	v_add_co_ci_u32_e32 v8, vcc_lo, s4, v8, vcc_lo
	global_load_b32 v1, v[7:8], off
	s_waitcnt vmcnt(0)
	v_cmp_class_f16_e64 s20, v1, 0x204
	s_delay_alu instid0(VALU_DEP_1)
	s_and_saveexec_b32 s18, s20
	s_cbranch_execz .LBB34_122
; %bb.13:                               ;   in Loop: Header=BB34_4 Depth=1
	v_lshrrev_b32_e32 v1, 16, v1
	s_mov_b32 s20, 0
	s_delay_alu instid0(VALU_DEP_1) | instskip(NEXT) | instid1(VALU_DEP_1)
	v_cmp_class_f16_e64 s21, v1, 0x204
	s_and_saveexec_b32 s19, s21
	s_cbranch_execz .LBB34_121
; %bb.14:                               ;   in Loop: Header=BB34_4 Depth=1
	v_add_nc_u32_e32 v3, s9, v3
	s_mov_b32 s21, 0
	s_delay_alu instid0(VALU_DEP_1) | instskip(NEXT) | instid1(VALU_DEP_1)
	v_ashrrev_i32_e32 v4, 31, v3
	v_lshlrev_b64 v[7:8], 2, v[3:4]
	s_delay_alu instid0(VALU_DEP_1) | instskip(NEXT) | instid1(VALU_DEP_2)
	v_add_co_u32 v7, vcc_lo, s3, v7
	v_add_co_ci_u32_e32 v8, vcc_lo, s4, v8, vcc_lo
	global_load_b32 v1, v[7:8], off
	s_waitcnt vmcnt(0)
	v_cmp_class_f16_e64 s22, v1, 0x204
	s_delay_alu instid0(VALU_DEP_1)
	s_and_saveexec_b32 s20, s22
	s_cbranch_execz .LBB34_120
; %bb.15:                               ;   in Loop: Header=BB34_4 Depth=1
	v_lshrrev_b32_e32 v1, 16, v1
	s_mov_b32 s22, 0
	s_delay_alu instid0(VALU_DEP_1) | instskip(NEXT) | instid1(VALU_DEP_1)
	v_cmp_class_f16_e64 s23, v1, 0x204
	s_and_saveexec_b32 s21, s23
	s_cbranch_execz .LBB34_119
; %bb.16:                               ;   in Loop: Header=BB34_4 Depth=1
	v_add_nc_u32_e32 v3, s9, v3
	s_mov_b32 s23, 0
	s_delay_alu instid0(VALU_DEP_1) | instskip(NEXT) | instid1(VALU_DEP_1)
	v_ashrrev_i32_e32 v4, 31, v3
	v_lshlrev_b64 v[7:8], 2, v[3:4]
	s_delay_alu instid0(VALU_DEP_1) | instskip(NEXT) | instid1(VALU_DEP_2)
	v_add_co_u32 v7, vcc_lo, s3, v7
	v_add_co_ci_u32_e32 v8, vcc_lo, s4, v8, vcc_lo
	global_load_b32 v1, v[7:8], off
	s_waitcnt vmcnt(0)
	v_cmp_class_f16_e64 s24, v1, 0x204
	s_delay_alu instid0(VALU_DEP_1)
	s_and_saveexec_b32 s22, s24
	s_cbranch_execz .LBB34_118
; %bb.17:                               ;   in Loop: Header=BB34_4 Depth=1
	v_lshrrev_b32_e32 v1, 16, v1
	s_mov_b32 s24, 0
	s_delay_alu instid0(VALU_DEP_1) | instskip(NEXT) | instid1(VALU_DEP_1)
	v_cmp_class_f16_e64 s25, v1, 0x204
	s_and_saveexec_b32 s23, s25
	s_cbranch_execz .LBB34_117
; %bb.18:                               ;   in Loop: Header=BB34_4 Depth=1
	v_add_nc_u32_e32 v3, s9, v3
	s_mov_b32 s25, 0
	s_delay_alu instid0(VALU_DEP_1) | instskip(NEXT) | instid1(VALU_DEP_1)
	v_ashrrev_i32_e32 v4, 31, v3
	v_lshlrev_b64 v[7:8], 2, v[3:4]
	s_delay_alu instid0(VALU_DEP_1) | instskip(NEXT) | instid1(VALU_DEP_2)
	v_add_co_u32 v7, vcc_lo, s3, v7
	v_add_co_ci_u32_e32 v8, vcc_lo, s4, v8, vcc_lo
	global_load_b32 v1, v[7:8], off
	s_waitcnt vmcnt(0)
	v_cmp_class_f16_e64 s26, v1, 0x204
	s_delay_alu instid0(VALU_DEP_1)
	s_and_saveexec_b32 s24, s26
	s_cbranch_execz .LBB34_116
; %bb.19:                               ;   in Loop: Header=BB34_4 Depth=1
	v_lshrrev_b32_e32 v1, 16, v1
	s_mov_b32 s26, 0
	s_delay_alu instid0(VALU_DEP_1) | instskip(NEXT) | instid1(VALU_DEP_1)
	v_cmp_class_f16_e64 s27, v1, 0x204
	s_and_saveexec_b32 s25, s27
	s_cbranch_execz .LBB34_115
; %bb.20:                               ;   in Loop: Header=BB34_4 Depth=1
	v_add_nc_u32_e32 v3, s9, v3
	s_mov_b32 s27, 0
	s_delay_alu instid0(VALU_DEP_1) | instskip(NEXT) | instid1(VALU_DEP_1)
	v_ashrrev_i32_e32 v4, 31, v3
	v_lshlrev_b64 v[7:8], 2, v[3:4]
	s_delay_alu instid0(VALU_DEP_1) | instskip(NEXT) | instid1(VALU_DEP_2)
	v_add_co_u32 v7, vcc_lo, s3, v7
	v_add_co_ci_u32_e32 v8, vcc_lo, s4, v8, vcc_lo
	global_load_b32 v1, v[7:8], off
	s_waitcnt vmcnt(0)
	v_cmp_class_f16_e64 s28, v1, 0x204
	s_delay_alu instid0(VALU_DEP_1)
	s_and_saveexec_b32 s26, s28
	s_cbranch_execz .LBB34_114
; %bb.21:                               ;   in Loop: Header=BB34_4 Depth=1
	v_lshrrev_b32_e32 v1, 16, v1
	s_mov_b32 s28, 0
	s_delay_alu instid0(VALU_DEP_1) | instskip(NEXT) | instid1(VALU_DEP_1)
	v_cmp_class_f16_e64 s29, v1, 0x204
	s_and_saveexec_b32 s27, s29
	s_cbranch_execz .LBB34_113
; %bb.22:                               ;   in Loop: Header=BB34_4 Depth=1
	v_add_nc_u32_e32 v3, s9, v3
	s_mov_b32 s29, 0
	s_delay_alu instid0(VALU_DEP_1) | instskip(NEXT) | instid1(VALU_DEP_1)
	v_ashrrev_i32_e32 v4, 31, v3
	v_lshlrev_b64 v[7:8], 2, v[3:4]
	s_delay_alu instid0(VALU_DEP_1) | instskip(NEXT) | instid1(VALU_DEP_2)
	v_add_co_u32 v7, vcc_lo, s3, v7
	v_add_co_ci_u32_e32 v8, vcc_lo, s4, v8, vcc_lo
	global_load_b32 v1, v[7:8], off
	s_waitcnt vmcnt(0)
	v_cmp_class_f16_e64 s30, v1, 0x204
	s_delay_alu instid0(VALU_DEP_1)
	s_and_saveexec_b32 s28, s30
	s_cbranch_execz .LBB34_112
; %bb.23:                               ;   in Loop: Header=BB34_4 Depth=1
	v_lshrrev_b32_e32 v1, 16, v1
	s_mov_b32 s30, 0
	s_delay_alu instid0(VALU_DEP_1) | instskip(NEXT) | instid1(VALU_DEP_1)
	v_cmp_class_f16_e64 s31, v1, 0x204
	s_and_saveexec_b32 s29, s31
	s_cbranch_execz .LBB34_111
; %bb.24:                               ;   in Loop: Header=BB34_4 Depth=1
	v_add_nc_u32_e32 v3, s9, v3
	s_mov_b32 s31, 0
	s_delay_alu instid0(VALU_DEP_1) | instskip(NEXT) | instid1(VALU_DEP_1)
	v_ashrrev_i32_e32 v4, 31, v3
	v_lshlrev_b64 v[7:8], 2, v[3:4]
	s_delay_alu instid0(VALU_DEP_1) | instskip(NEXT) | instid1(VALU_DEP_2)
	v_add_co_u32 v7, vcc_lo, s3, v7
	v_add_co_ci_u32_e32 v8, vcc_lo, s4, v8, vcc_lo
	global_load_b32 v1, v[7:8], off
	s_waitcnt vmcnt(0)
	v_cmp_class_f16_e64 s33, v1, 0x204
	s_delay_alu instid0(VALU_DEP_1)
	s_and_saveexec_b32 s30, s33
	s_cbranch_execz .LBB34_110
; %bb.25:                               ;   in Loop: Header=BB34_4 Depth=1
	v_lshrrev_b32_e32 v1, 16, v1
	s_mov_b32 s33, 0
	s_delay_alu instid0(VALU_DEP_1) | instskip(NEXT) | instid1(VALU_DEP_1)
	v_cmp_class_f16_e64 s34, v1, 0x204
	s_and_saveexec_b32 s31, s34
	s_cbranch_execz .LBB34_109
; %bb.26:                               ;   in Loop: Header=BB34_4 Depth=1
	v_add_nc_u32_e32 v3, s9, v3
	s_mov_b32 s34, 0
	s_delay_alu instid0(VALU_DEP_1) | instskip(NEXT) | instid1(VALU_DEP_1)
	v_ashrrev_i32_e32 v4, 31, v3
	v_lshlrev_b64 v[7:8], 2, v[3:4]
	s_delay_alu instid0(VALU_DEP_1) | instskip(NEXT) | instid1(VALU_DEP_2)
	v_add_co_u32 v7, vcc_lo, s3, v7
	v_add_co_ci_u32_e32 v8, vcc_lo, s4, v8, vcc_lo
	global_load_b32 v1, v[7:8], off
	s_waitcnt vmcnt(0)
	v_cmp_class_f16_e64 s35, v1, 0x204
	s_delay_alu instid0(VALU_DEP_1)
	s_and_saveexec_b32 s33, s35
	s_cbranch_execz .LBB34_108
; %bb.27:                               ;   in Loop: Header=BB34_4 Depth=1
	v_lshrrev_b32_e32 v1, 16, v1
	s_mov_b32 s35, 0
	s_delay_alu instid0(VALU_DEP_1) | instskip(NEXT) | instid1(VALU_DEP_1)
	v_cmp_class_f16_e64 s36, v1, 0x204
	s_and_saveexec_b32 s34, s36
	s_cbranch_execz .LBB34_107
; %bb.28:                               ;   in Loop: Header=BB34_4 Depth=1
	v_add_nc_u32_e32 v3, s9, v3
	s_mov_b32 s36, 0
	s_delay_alu instid0(VALU_DEP_1) | instskip(NEXT) | instid1(VALU_DEP_1)
	v_ashrrev_i32_e32 v4, 31, v3
	v_lshlrev_b64 v[7:8], 2, v[3:4]
	s_delay_alu instid0(VALU_DEP_1) | instskip(NEXT) | instid1(VALU_DEP_2)
	v_add_co_u32 v7, vcc_lo, s3, v7
	v_add_co_ci_u32_e32 v8, vcc_lo, s4, v8, vcc_lo
	global_load_b32 v1, v[7:8], off
	s_waitcnt vmcnt(0)
	v_cmp_class_f16_e64 s37, v1, 0x204
	s_delay_alu instid0(VALU_DEP_1)
	s_and_saveexec_b32 s35, s37
	s_cbranch_execz .LBB34_106
; %bb.29:                               ;   in Loop: Header=BB34_4 Depth=1
	v_lshrrev_b32_e32 v1, 16, v1
	s_mov_b32 s37, 0
	s_delay_alu instid0(VALU_DEP_1) | instskip(NEXT) | instid1(VALU_DEP_1)
	v_cmp_class_f16_e64 s38, v1, 0x204
	s_and_saveexec_b32 s36, s38
	s_cbranch_execz .LBB34_105
; %bb.30:                               ;   in Loop: Header=BB34_4 Depth=1
	v_add_nc_u32_e32 v3, s9, v3
	s_mov_b32 s38, 0
	s_delay_alu instid0(VALU_DEP_1) | instskip(NEXT) | instid1(VALU_DEP_1)
	v_ashrrev_i32_e32 v4, 31, v3
	v_lshlrev_b64 v[7:8], 2, v[3:4]
	s_delay_alu instid0(VALU_DEP_1) | instskip(NEXT) | instid1(VALU_DEP_2)
	v_add_co_u32 v7, vcc_lo, s3, v7
	v_add_co_ci_u32_e32 v8, vcc_lo, s4, v8, vcc_lo
	global_load_b32 v1, v[7:8], off
	s_waitcnt vmcnt(0)
	v_cmp_class_f16_e64 s39, v1, 0x204
	s_delay_alu instid0(VALU_DEP_1)
	s_and_saveexec_b32 s37, s39
	s_cbranch_execz .LBB34_104
; %bb.31:                               ;   in Loop: Header=BB34_4 Depth=1
	v_lshrrev_b32_e32 v1, 16, v1
	s_mov_b32 s39, 0
	s_delay_alu instid0(VALU_DEP_1) | instskip(NEXT) | instid1(VALU_DEP_1)
	v_cmp_class_f16_e64 s40, v1, 0x204
	s_and_saveexec_b32 s38, s40
	s_cbranch_execz .LBB34_103
; %bb.32:                               ;   in Loop: Header=BB34_4 Depth=1
	v_add_nc_u32_e32 v3, s9, v3
	s_mov_b32 s40, 0
	s_delay_alu instid0(VALU_DEP_1) | instskip(NEXT) | instid1(VALU_DEP_1)
	v_ashrrev_i32_e32 v4, 31, v3
	v_lshlrev_b64 v[7:8], 2, v[3:4]
	s_delay_alu instid0(VALU_DEP_1) | instskip(NEXT) | instid1(VALU_DEP_2)
	v_add_co_u32 v7, vcc_lo, s3, v7
	v_add_co_ci_u32_e32 v8, vcc_lo, s4, v8, vcc_lo
	global_load_b32 v1, v[7:8], off
	s_waitcnt vmcnt(0)
	v_cmp_class_f16_e64 s41, v1, 0x204
	s_delay_alu instid0(VALU_DEP_1)
	s_and_saveexec_b32 s39, s41
	s_cbranch_execz .LBB34_102
; %bb.33:                               ;   in Loop: Header=BB34_4 Depth=1
	v_lshrrev_b32_e32 v1, 16, v1
	s_mov_b32 s41, 0
	s_delay_alu instid0(VALU_DEP_1) | instskip(NEXT) | instid1(VALU_DEP_1)
	v_cmp_class_f16_e64 s42, v1, 0x204
	s_and_saveexec_b32 s40, s42
	s_cbranch_execz .LBB34_101
; %bb.34:                               ;   in Loop: Header=BB34_4 Depth=1
	v_add_nc_u32_e32 v3, s9, v3
	s_mov_b32 s42, 0
	s_delay_alu instid0(VALU_DEP_1) | instskip(NEXT) | instid1(VALU_DEP_1)
	v_ashrrev_i32_e32 v4, 31, v3
	v_lshlrev_b64 v[7:8], 2, v[3:4]
	s_delay_alu instid0(VALU_DEP_1) | instskip(NEXT) | instid1(VALU_DEP_2)
	v_add_co_u32 v7, vcc_lo, s3, v7
	v_add_co_ci_u32_e32 v8, vcc_lo, s4, v8, vcc_lo
	global_load_b32 v1, v[7:8], off
	s_waitcnt vmcnt(0)
	v_cmp_class_f16_e64 s43, v1, 0x204
	s_delay_alu instid0(VALU_DEP_1)
	s_and_saveexec_b32 s41, s43
	s_cbranch_execz .LBB34_100
; %bb.35:                               ;   in Loop: Header=BB34_4 Depth=1
	v_lshrrev_b32_e32 v1, 16, v1
	s_mov_b32 s43, 0
	s_delay_alu instid0(VALU_DEP_1) | instskip(NEXT) | instid1(VALU_DEP_1)
	v_cmp_class_f16_e64 s44, v1, 0x204
	s_and_saveexec_b32 s42, s44
	s_cbranch_execz .LBB34_99
; %bb.36:                               ;   in Loop: Header=BB34_4 Depth=1
	v_add_nc_u32_e32 v3, s9, v3
	s_mov_b32 s44, 0
	s_delay_alu instid0(VALU_DEP_1) | instskip(NEXT) | instid1(VALU_DEP_1)
	v_ashrrev_i32_e32 v4, 31, v3
	v_lshlrev_b64 v[7:8], 2, v[3:4]
	s_delay_alu instid0(VALU_DEP_1) | instskip(NEXT) | instid1(VALU_DEP_2)
	v_add_co_u32 v7, vcc_lo, s3, v7
	v_add_co_ci_u32_e32 v8, vcc_lo, s4, v8, vcc_lo
	global_load_b32 v1, v[7:8], off
	s_waitcnt vmcnt(0)
	v_cmp_class_f16_e64 s45, v1, 0x204
	s_delay_alu instid0(VALU_DEP_1)
	s_and_saveexec_b32 s43, s45
	s_cbranch_execz .LBB34_98
; %bb.37:                               ;   in Loop: Header=BB34_4 Depth=1
	v_lshrrev_b32_e32 v1, 16, v1
	s_mov_b32 s45, 0
	s_delay_alu instid0(VALU_DEP_1) | instskip(NEXT) | instid1(VALU_DEP_1)
	v_cmp_class_f16_e64 s46, v1, 0x204
	s_and_saveexec_b32 s44, s46
	s_cbranch_execz .LBB34_97
; %bb.38:                               ;   in Loop: Header=BB34_4 Depth=1
	v_add_nc_u32_e32 v3, s9, v3
	s_mov_b32 s46, 0
	s_delay_alu instid0(VALU_DEP_1) | instskip(NEXT) | instid1(VALU_DEP_1)
	v_ashrrev_i32_e32 v4, 31, v3
	v_lshlrev_b64 v[7:8], 2, v[3:4]
	s_delay_alu instid0(VALU_DEP_1) | instskip(NEXT) | instid1(VALU_DEP_2)
	v_add_co_u32 v7, vcc_lo, s3, v7
	v_add_co_ci_u32_e32 v8, vcc_lo, s4, v8, vcc_lo
	global_load_b32 v1, v[7:8], off
	s_waitcnt vmcnt(0)
	v_cmp_class_f16_e64 s47, v1, 0x204
	s_delay_alu instid0(VALU_DEP_1)
	s_and_saveexec_b32 s45, s47
	s_cbranch_execz .LBB34_96
; %bb.39:                               ;   in Loop: Header=BB34_4 Depth=1
	v_lshrrev_b32_e32 v1, 16, v1
	s_mov_b32 s47, 0
	s_delay_alu instid0(VALU_DEP_1) | instskip(NEXT) | instid1(VALU_DEP_1)
	v_cmp_class_f16_e64 s48, v1, 0x204
	s_and_saveexec_b32 s46, s48
	s_cbranch_execz .LBB34_95
; %bb.40:                               ;   in Loop: Header=BB34_4 Depth=1
	v_add_nc_u32_e32 v3, s9, v3
	s_mov_b32 s48, 0
	s_delay_alu instid0(VALU_DEP_1) | instskip(NEXT) | instid1(VALU_DEP_1)
	v_ashrrev_i32_e32 v4, 31, v3
	v_lshlrev_b64 v[7:8], 2, v[3:4]
	s_delay_alu instid0(VALU_DEP_1) | instskip(NEXT) | instid1(VALU_DEP_2)
	v_add_co_u32 v7, vcc_lo, s3, v7
	v_add_co_ci_u32_e32 v8, vcc_lo, s4, v8, vcc_lo
	global_load_b32 v1, v[7:8], off
	s_waitcnt vmcnt(0)
	v_cmp_class_f16_e64 s49, v1, 0x204
	s_delay_alu instid0(VALU_DEP_1)
	s_and_saveexec_b32 s47, s49
	s_cbranch_execz .LBB34_94
; %bb.41:                               ;   in Loop: Header=BB34_4 Depth=1
	v_lshrrev_b32_e32 v1, 16, v1
	s_mov_b32 s49, 0
	s_delay_alu instid0(VALU_DEP_1) | instskip(NEXT) | instid1(VALU_DEP_1)
	v_cmp_class_f16_e64 s50, v1, 0x204
	s_and_saveexec_b32 s48, s50
	s_cbranch_execz .LBB34_93
; %bb.42:                               ;   in Loop: Header=BB34_4 Depth=1
	v_add_nc_u32_e32 v3, s9, v3
	s_mov_b32 s50, 0
	s_delay_alu instid0(VALU_DEP_1) | instskip(NEXT) | instid1(VALU_DEP_1)
	v_ashrrev_i32_e32 v4, 31, v3
	v_lshlrev_b64 v[7:8], 2, v[3:4]
	s_delay_alu instid0(VALU_DEP_1) | instskip(NEXT) | instid1(VALU_DEP_2)
	v_add_co_u32 v7, vcc_lo, s3, v7
	v_add_co_ci_u32_e32 v8, vcc_lo, s4, v8, vcc_lo
	global_load_b32 v1, v[7:8], off
	s_waitcnt vmcnt(0)
	v_cmp_class_f16_e64 s51, v1, 0x204
	s_delay_alu instid0(VALU_DEP_1)
	s_and_saveexec_b32 s49, s51
	s_cbranch_execz .LBB34_92
; %bb.43:                               ;   in Loop: Header=BB34_4 Depth=1
	v_lshrrev_b32_e32 v1, 16, v1
	s_mov_b32 s51, 0
	s_delay_alu instid0(VALU_DEP_1) | instskip(NEXT) | instid1(VALU_DEP_1)
	v_cmp_class_f16_e64 s52, v1, 0x204
	s_and_saveexec_b32 s50, s52
	s_cbranch_execz .LBB34_91
; %bb.44:                               ;   in Loop: Header=BB34_4 Depth=1
	v_add_nc_u32_e32 v3, s9, v3
	s_mov_b32 s52, 0
	s_delay_alu instid0(VALU_DEP_1) | instskip(NEXT) | instid1(VALU_DEP_1)
	v_ashrrev_i32_e32 v4, 31, v3
	v_lshlrev_b64 v[7:8], 2, v[3:4]
	s_delay_alu instid0(VALU_DEP_1) | instskip(NEXT) | instid1(VALU_DEP_2)
	v_add_co_u32 v7, vcc_lo, s3, v7
	v_add_co_ci_u32_e32 v8, vcc_lo, s4, v8, vcc_lo
	global_load_b32 v1, v[7:8], off
	s_waitcnt vmcnt(0)
	v_cmp_class_f16_e64 s53, v1, 0x204
	s_delay_alu instid0(VALU_DEP_1)
	s_and_saveexec_b32 s51, s53
	s_cbranch_execz .LBB34_90
; %bb.45:                               ;   in Loop: Header=BB34_4 Depth=1
	v_lshrrev_b32_e32 v1, 16, v1
	s_mov_b32 s53, 0
	s_delay_alu instid0(VALU_DEP_1) | instskip(NEXT) | instid1(VALU_DEP_1)
	v_cmp_class_f16_e64 s54, v1, 0x204
	s_and_saveexec_b32 s52, s54
	s_cbranch_execz .LBB34_89
; %bb.46:                               ;   in Loop: Header=BB34_4 Depth=1
	v_add_nc_u32_e32 v3, s9, v3
	s_mov_b32 s54, 0
	s_delay_alu instid0(VALU_DEP_1) | instskip(NEXT) | instid1(VALU_DEP_1)
	v_ashrrev_i32_e32 v4, 31, v3
	v_lshlrev_b64 v[7:8], 2, v[3:4]
	s_delay_alu instid0(VALU_DEP_1) | instskip(NEXT) | instid1(VALU_DEP_2)
	v_add_co_u32 v7, vcc_lo, s3, v7
	v_add_co_ci_u32_e32 v8, vcc_lo, s4, v8, vcc_lo
	global_load_b32 v1, v[7:8], off
	s_waitcnt vmcnt(0)
	v_cmp_class_f16_e64 s55, v1, 0x204
	s_delay_alu instid0(VALU_DEP_1)
	s_and_saveexec_b32 s53, s55
	s_cbranch_execz .LBB34_88
; %bb.47:                               ;   in Loop: Header=BB34_4 Depth=1
	v_lshrrev_b32_e32 v1, 16, v1
	s_mov_b32 s55, 0
	s_delay_alu instid0(VALU_DEP_1) | instskip(NEXT) | instid1(VALU_DEP_1)
	v_cmp_class_f16_e64 s56, v1, 0x204
	s_and_saveexec_b32 s54, s56
	s_cbranch_execz .LBB34_87
; %bb.48:                               ;   in Loop: Header=BB34_4 Depth=1
	v_add_nc_u32_e32 v3, s9, v3
	s_mov_b32 s56, 0
	s_delay_alu instid0(VALU_DEP_1) | instskip(NEXT) | instid1(VALU_DEP_1)
	v_ashrrev_i32_e32 v4, 31, v3
	v_lshlrev_b64 v[7:8], 2, v[3:4]
	s_delay_alu instid0(VALU_DEP_1) | instskip(NEXT) | instid1(VALU_DEP_2)
	v_add_co_u32 v7, vcc_lo, s3, v7
	v_add_co_ci_u32_e32 v8, vcc_lo, s4, v8, vcc_lo
	global_load_b32 v1, v[7:8], off
	s_waitcnt vmcnt(0)
	v_cmp_class_f16_e64 s57, v1, 0x204
	s_delay_alu instid0(VALU_DEP_1)
	s_and_saveexec_b32 s55, s57
	s_cbranch_execz .LBB34_86
; %bb.49:                               ;   in Loop: Header=BB34_4 Depth=1
	v_lshrrev_b32_e32 v1, 16, v1
	s_mov_b32 s57, 0
	s_delay_alu instid0(VALU_DEP_1) | instskip(NEXT) | instid1(VALU_DEP_1)
	v_cmp_class_f16_e64 s58, v1, 0x204
	s_and_saveexec_b32 s56, s58
	s_cbranch_execz .LBB34_85
; %bb.50:                               ;   in Loop: Header=BB34_4 Depth=1
	v_add_nc_u32_e32 v3, s9, v3
	s_mov_b32 s58, 0
	s_delay_alu instid0(VALU_DEP_1) | instskip(NEXT) | instid1(VALU_DEP_1)
	v_ashrrev_i32_e32 v4, 31, v3
	v_lshlrev_b64 v[7:8], 2, v[3:4]
	s_delay_alu instid0(VALU_DEP_1) | instskip(NEXT) | instid1(VALU_DEP_2)
	v_add_co_u32 v7, vcc_lo, s3, v7
	v_add_co_ci_u32_e32 v8, vcc_lo, s4, v8, vcc_lo
	global_load_b32 v1, v[7:8], off
	s_waitcnt vmcnt(0)
	v_cmp_class_f16_e64 s59, v1, 0x204
	s_delay_alu instid0(VALU_DEP_1)
	s_and_saveexec_b32 s57, s59
	s_cbranch_execz .LBB34_84
; %bb.51:                               ;   in Loop: Header=BB34_4 Depth=1
	v_lshrrev_b32_e32 v1, 16, v1
	s_mov_b32 s59, 0
	s_delay_alu instid0(VALU_DEP_1) | instskip(NEXT) | instid1(VALU_DEP_1)
	v_cmp_class_f16_e64 s60, v1, 0x204
	s_and_saveexec_b32 s58, s60
	s_cbranch_execz .LBB34_83
; %bb.52:                               ;   in Loop: Header=BB34_4 Depth=1
	v_add_nc_u32_e32 v3, s9, v3
	s_mov_b32 s60, 0
	s_delay_alu instid0(VALU_DEP_1) | instskip(NEXT) | instid1(VALU_DEP_1)
	v_ashrrev_i32_e32 v4, 31, v3
	v_lshlrev_b64 v[7:8], 2, v[3:4]
	s_delay_alu instid0(VALU_DEP_1) | instskip(NEXT) | instid1(VALU_DEP_2)
	v_add_co_u32 v7, vcc_lo, s3, v7
	v_add_co_ci_u32_e32 v8, vcc_lo, s4, v8, vcc_lo
	global_load_b32 v1, v[7:8], off
	s_waitcnt vmcnt(0)
	v_cmp_class_f16_e64 s61, v1, 0x204
	s_delay_alu instid0(VALU_DEP_1)
	s_and_saveexec_b32 s59, s61
	s_cbranch_execz .LBB34_82
; %bb.53:                               ;   in Loop: Header=BB34_4 Depth=1
	v_lshrrev_b32_e32 v1, 16, v1
	s_mov_b32 s61, 0
	s_delay_alu instid0(VALU_DEP_1) | instskip(NEXT) | instid1(VALU_DEP_1)
	v_cmp_class_f16_e64 s62, v1, 0x204
	s_and_saveexec_b32 s60, s62
	s_cbranch_execz .LBB34_81
; %bb.54:                               ;   in Loop: Header=BB34_4 Depth=1
	v_add_nc_u32_e32 v3, s9, v3
	s_mov_b32 s62, 0
	s_delay_alu instid0(VALU_DEP_1) | instskip(NEXT) | instid1(VALU_DEP_1)
	v_ashrrev_i32_e32 v4, 31, v3
	v_lshlrev_b64 v[7:8], 2, v[3:4]
	s_delay_alu instid0(VALU_DEP_1) | instskip(NEXT) | instid1(VALU_DEP_2)
	v_add_co_u32 v7, vcc_lo, s3, v7
	v_add_co_ci_u32_e32 v8, vcc_lo, s4, v8, vcc_lo
	global_load_b32 v1, v[7:8], off
	s_waitcnt vmcnt(0)
	v_cmp_class_f16_e64 s63, v1, 0x204
	s_delay_alu instid0(VALU_DEP_1)
	s_and_saveexec_b32 s61, s63
	s_cbranch_execz .LBB34_80
; %bb.55:                               ;   in Loop: Header=BB34_4 Depth=1
	v_lshrrev_b32_e32 v1, 16, v1
	s_mov_b32 s63, 0
	s_delay_alu instid0(VALU_DEP_1) | instskip(NEXT) | instid1(VALU_DEP_1)
	v_cmp_class_f16_e64 s64, v1, 0x204
	s_and_saveexec_b32 s62, s64
	s_cbranch_execz .LBB34_79
; %bb.56:                               ;   in Loop: Header=BB34_4 Depth=1
	v_add_nc_u32_e32 v3, s9, v3
	s_mov_b32 s64, 0
	s_delay_alu instid0(VALU_DEP_1) | instskip(NEXT) | instid1(VALU_DEP_1)
	v_ashrrev_i32_e32 v4, 31, v3
	v_lshlrev_b64 v[7:8], 2, v[3:4]
	s_delay_alu instid0(VALU_DEP_1) | instskip(NEXT) | instid1(VALU_DEP_2)
	v_add_co_u32 v7, vcc_lo, s3, v7
	v_add_co_ci_u32_e32 v8, vcc_lo, s4, v8, vcc_lo
	global_load_b32 v1, v[7:8], off
	s_waitcnt vmcnt(0)
	v_cmp_class_f16_e64 s65, v1, 0x204
	s_delay_alu instid0(VALU_DEP_1)
	s_and_saveexec_b32 s63, s65
	s_cbranch_execz .LBB34_78
; %bb.57:                               ;   in Loop: Header=BB34_4 Depth=1
	v_lshrrev_b32_e32 v1, 16, v1
	s_mov_b32 s65, 0
	s_delay_alu instid0(VALU_DEP_1) | instskip(NEXT) | instid1(VALU_DEP_1)
	v_cmp_class_f16_e64 s66, v1, 0x204
	s_and_saveexec_b32 s64, s66
	s_cbranch_execz .LBB34_77
; %bb.58:                               ;   in Loop: Header=BB34_4 Depth=1
	v_add_nc_u32_e32 v3, s9, v3
	s_mov_b32 s66, 0
	s_delay_alu instid0(VALU_DEP_1) | instskip(NEXT) | instid1(VALU_DEP_1)
	v_ashrrev_i32_e32 v4, 31, v3
	v_lshlrev_b64 v[7:8], 2, v[3:4]
	s_delay_alu instid0(VALU_DEP_1) | instskip(NEXT) | instid1(VALU_DEP_2)
	v_add_co_u32 v7, vcc_lo, s3, v7
	v_add_co_ci_u32_e32 v8, vcc_lo, s4, v8, vcc_lo
	global_load_b32 v1, v[7:8], off
	s_waitcnt vmcnt(0)
	v_cmp_class_f16_e64 s67, v1, 0x204
	s_delay_alu instid0(VALU_DEP_1)
	s_and_saveexec_b32 s65, s67
	s_cbranch_execz .LBB34_76
; %bb.59:                               ;   in Loop: Header=BB34_4 Depth=1
	v_lshrrev_b32_e32 v1, 16, v1
	s_mov_b32 s67, 0
	s_delay_alu instid0(VALU_DEP_1) | instskip(NEXT) | instid1(VALU_DEP_1)
	v_cmp_class_f16_e64 s68, v1, 0x204
	s_and_saveexec_b32 s66, s68
	s_cbranch_execz .LBB34_75
; %bb.60:                               ;   in Loop: Header=BB34_4 Depth=1
	v_add_nc_u32_e32 v3, s9, v3
	s_mov_b32 s68, 0
	s_delay_alu instid0(VALU_DEP_1) | instskip(NEXT) | instid1(VALU_DEP_1)
	v_ashrrev_i32_e32 v4, 31, v3
	v_lshlrev_b64 v[7:8], 2, v[3:4]
	s_delay_alu instid0(VALU_DEP_1) | instskip(NEXT) | instid1(VALU_DEP_2)
	v_add_co_u32 v7, vcc_lo, s3, v7
	v_add_co_ci_u32_e32 v8, vcc_lo, s4, v8, vcc_lo
	global_load_b32 v1, v[7:8], off
	s_waitcnt vmcnt(0)
	v_cmp_class_f16_e64 s69, v1, 0x204
	s_delay_alu instid0(VALU_DEP_1)
	s_and_saveexec_b32 s67, s69
	s_cbranch_execz .LBB34_74
; %bb.61:                               ;   in Loop: Header=BB34_4 Depth=1
	v_lshrrev_b32_e32 v1, 16, v1
	s_mov_b32 s69, 0
	s_delay_alu instid0(VALU_DEP_1) | instskip(NEXT) | instid1(VALU_DEP_1)
	v_cmp_class_f16_e64 s70, v1, 0x204
	s_and_saveexec_b32 s68, s70
	s_cbranch_execz .LBB34_73
; %bb.62:                               ;   in Loop: Header=BB34_4 Depth=1
	v_add_nc_u32_e32 v3, s9, v3
	s_mov_b32 s70, 0
	s_delay_alu instid0(VALU_DEP_1) | instskip(NEXT) | instid1(VALU_DEP_1)
	v_ashrrev_i32_e32 v4, 31, v3
	v_lshlrev_b64 v[7:8], 2, v[3:4]
	s_delay_alu instid0(VALU_DEP_1) | instskip(NEXT) | instid1(VALU_DEP_2)
	v_add_co_u32 v7, vcc_lo, s3, v7
	v_add_co_ci_u32_e32 v8, vcc_lo, s4, v8, vcc_lo
	global_load_b32 v1, v[7:8], off
	s_waitcnt vmcnt(0)
	v_cmp_class_f16_e64 s71, v1, 0x204
	s_delay_alu instid0(VALU_DEP_1)
	s_and_saveexec_b32 s69, s71
	s_cbranch_execz .LBB34_72
; %bb.63:                               ;   in Loop: Header=BB34_4 Depth=1
	v_lshrrev_b32_e32 v1, 16, v1
	s_mov_b32 s71, 0
	s_delay_alu instid0(VALU_DEP_1) | instskip(NEXT) | instid1(VALU_DEP_1)
	v_cmp_class_f16_e64 s72, v1, 0x204
	s_and_saveexec_b32 s70, s72
	s_cbranch_execz .LBB34_71
; %bb.64:                               ;   in Loop: Header=BB34_4 Depth=1
	v_add_nc_u32_e32 v3, s9, v3
	s_mov_b32 s72, 0
	s_delay_alu instid0(VALU_DEP_1) | instskip(NEXT) | instid1(VALU_DEP_1)
	v_ashrrev_i32_e32 v4, 31, v3
	v_lshlrev_b64 v[7:8], 2, v[3:4]
	s_delay_alu instid0(VALU_DEP_1) | instskip(NEXT) | instid1(VALU_DEP_2)
	v_add_co_u32 v7, vcc_lo, s3, v7
	v_add_co_ci_u32_e32 v8, vcc_lo, s4, v8, vcc_lo
	global_load_b32 v1, v[7:8], off
	s_waitcnt vmcnt(0)
	v_cmp_class_f16_e64 s73, v1, 0x204
	s_delay_alu instid0(VALU_DEP_1)
	s_and_saveexec_b32 s71, s73
	s_cbranch_execz .LBB34_70
; %bb.65:                               ;   in Loop: Header=BB34_4 Depth=1
	v_lshrrev_b32_e32 v1, 16, v1
	s_mov_b32 s73, 0
	s_delay_alu instid0(VALU_DEP_1) | instskip(NEXT) | instid1(VALU_DEP_1)
	v_cmp_class_f16_e64 s74, v1, 0x204
	s_and_saveexec_b32 s72, s74
	s_cbranch_execz .LBB34_69
; %bb.66:                               ;   in Loop: Header=BB34_4 Depth=1
	v_add_nc_u32_e32 v3, s9, v3
	s_delay_alu instid0(VALU_DEP_1) | instskip(NEXT) | instid1(VALU_DEP_1)
	v_ashrrev_i32_e32 v4, 31, v3
	v_lshlrev_b64 v[3:4], 2, v[3:4]
	s_delay_alu instid0(VALU_DEP_1) | instskip(NEXT) | instid1(VALU_DEP_2)
	v_add_co_u32 v3, vcc_lo, s3, v3
	v_add_co_ci_u32_e32 v4, vcc_lo, s4, v4, vcc_lo
	global_load_b32 v1, v[3:4], off
	s_waitcnt vmcnt(0)
	v_cmp_class_f16_e64 s75, v1, 0x204
	s_delay_alu instid0(VALU_DEP_1)
	s_and_saveexec_b32 s74, s75
; %bb.67:                               ;   in Loop: Header=BB34_4 Depth=1
	v_lshrrev_b32_e32 v1, 16, v1
	s_delay_alu instid0(VALU_DEP_1) | instskip(NEXT) | instid1(VALU_DEP_1)
	v_cmp_class_f16_e64 s73, v1, 0x204
	s_and_b32 s73, s73, exec_lo
; %bb.68:                               ;   in Loop: Header=BB34_4 Depth=1
	s_or_b32 exec_lo, exec_lo, s74
	s_delay_alu instid0(SALU_CYCLE_1)
	s_and_b32 s73, s73, exec_lo
.LBB34_69:                              ;   in Loop: Header=BB34_4 Depth=1
	s_or_b32 exec_lo, exec_lo, s72
	s_delay_alu instid0(SALU_CYCLE_1)
	s_and_b32 s72, s73, exec_lo
.LBB34_70:                              ;   in Loop: Header=BB34_4 Depth=1
	s_or_b32 exec_lo, exec_lo, s71
	s_delay_alu instid0(SALU_CYCLE_1)
	s_and_b32 s71, s72, exec_lo
.LBB34_71:                              ;   in Loop: Header=BB34_4 Depth=1
	s_or_b32 exec_lo, exec_lo, s70
	s_delay_alu instid0(SALU_CYCLE_1)
	s_and_b32 s70, s71, exec_lo
.LBB34_72:                              ;   in Loop: Header=BB34_4 Depth=1
	s_or_b32 exec_lo, exec_lo, s69
	s_delay_alu instid0(SALU_CYCLE_1)
	s_and_b32 s69, s70, exec_lo
.LBB34_73:                              ;   in Loop: Header=BB34_4 Depth=1
	s_or_b32 exec_lo, exec_lo, s68
	s_delay_alu instid0(SALU_CYCLE_1)
	s_and_b32 s68, s69, exec_lo
.LBB34_74:                              ;   in Loop: Header=BB34_4 Depth=1
	s_or_b32 exec_lo, exec_lo, s67
	s_delay_alu instid0(SALU_CYCLE_1)
	s_and_b32 s67, s68, exec_lo
.LBB34_75:                              ;   in Loop: Header=BB34_4 Depth=1
	s_or_b32 exec_lo, exec_lo, s66
	s_delay_alu instid0(SALU_CYCLE_1)
	s_and_b32 s66, s67, exec_lo
.LBB34_76:                              ;   in Loop: Header=BB34_4 Depth=1
	s_or_b32 exec_lo, exec_lo, s65
	s_delay_alu instid0(SALU_CYCLE_1)
	s_and_b32 s65, s66, exec_lo
.LBB34_77:                              ;   in Loop: Header=BB34_4 Depth=1
	s_or_b32 exec_lo, exec_lo, s64
	s_delay_alu instid0(SALU_CYCLE_1)
	s_and_b32 s64, s65, exec_lo
.LBB34_78:                              ;   in Loop: Header=BB34_4 Depth=1
	s_or_b32 exec_lo, exec_lo, s63
	s_delay_alu instid0(SALU_CYCLE_1)
	s_and_b32 s63, s64, exec_lo
.LBB34_79:                              ;   in Loop: Header=BB34_4 Depth=1
	s_or_b32 exec_lo, exec_lo, s62
	s_delay_alu instid0(SALU_CYCLE_1)
	s_and_b32 s62, s63, exec_lo
.LBB34_80:                              ;   in Loop: Header=BB34_4 Depth=1
	s_or_b32 exec_lo, exec_lo, s61
	s_delay_alu instid0(SALU_CYCLE_1)
	s_and_b32 s61, s62, exec_lo
.LBB34_81:                              ;   in Loop: Header=BB34_4 Depth=1
	s_or_b32 exec_lo, exec_lo, s60
	s_delay_alu instid0(SALU_CYCLE_1)
	s_and_b32 s60, s61, exec_lo
.LBB34_82:                              ;   in Loop: Header=BB34_4 Depth=1
	s_or_b32 exec_lo, exec_lo, s59
	s_delay_alu instid0(SALU_CYCLE_1)
	s_and_b32 s59, s60, exec_lo
.LBB34_83:                              ;   in Loop: Header=BB34_4 Depth=1
	s_or_b32 exec_lo, exec_lo, s58
	s_delay_alu instid0(SALU_CYCLE_1)
	s_and_b32 s58, s59, exec_lo
.LBB34_84:                              ;   in Loop: Header=BB34_4 Depth=1
	s_or_b32 exec_lo, exec_lo, s57
	s_delay_alu instid0(SALU_CYCLE_1)
	s_and_b32 s57, s58, exec_lo
.LBB34_85:                              ;   in Loop: Header=BB34_4 Depth=1
	s_or_b32 exec_lo, exec_lo, s56
	s_delay_alu instid0(SALU_CYCLE_1)
	s_and_b32 s56, s57, exec_lo
.LBB34_86:                              ;   in Loop: Header=BB34_4 Depth=1
	s_or_b32 exec_lo, exec_lo, s55
	s_delay_alu instid0(SALU_CYCLE_1)
	s_and_b32 s55, s56, exec_lo
.LBB34_87:                              ;   in Loop: Header=BB34_4 Depth=1
	s_or_b32 exec_lo, exec_lo, s54
	s_delay_alu instid0(SALU_CYCLE_1)
	s_and_b32 s54, s55, exec_lo
.LBB34_88:                              ;   in Loop: Header=BB34_4 Depth=1
	s_or_b32 exec_lo, exec_lo, s53
	s_delay_alu instid0(SALU_CYCLE_1)
	s_and_b32 s53, s54, exec_lo
.LBB34_89:                              ;   in Loop: Header=BB34_4 Depth=1
	s_or_b32 exec_lo, exec_lo, s52
	s_delay_alu instid0(SALU_CYCLE_1)
	s_and_b32 s52, s53, exec_lo
.LBB34_90:                              ;   in Loop: Header=BB34_4 Depth=1
	s_or_b32 exec_lo, exec_lo, s51
	s_delay_alu instid0(SALU_CYCLE_1)
	s_and_b32 s51, s52, exec_lo
.LBB34_91:                              ;   in Loop: Header=BB34_4 Depth=1
	s_or_b32 exec_lo, exec_lo, s50
	s_delay_alu instid0(SALU_CYCLE_1)
	s_and_b32 s50, s51, exec_lo
.LBB34_92:                              ;   in Loop: Header=BB34_4 Depth=1
	s_or_b32 exec_lo, exec_lo, s49
	s_delay_alu instid0(SALU_CYCLE_1)
	s_and_b32 s49, s50, exec_lo
.LBB34_93:                              ;   in Loop: Header=BB34_4 Depth=1
	s_or_b32 exec_lo, exec_lo, s48
	s_delay_alu instid0(SALU_CYCLE_1)
	s_and_b32 s48, s49, exec_lo
.LBB34_94:                              ;   in Loop: Header=BB34_4 Depth=1
	s_or_b32 exec_lo, exec_lo, s47
	s_delay_alu instid0(SALU_CYCLE_1)
	s_and_b32 s47, s48, exec_lo
.LBB34_95:                              ;   in Loop: Header=BB34_4 Depth=1
	s_or_b32 exec_lo, exec_lo, s46
	s_delay_alu instid0(SALU_CYCLE_1)
	s_and_b32 s46, s47, exec_lo
.LBB34_96:                              ;   in Loop: Header=BB34_4 Depth=1
	s_or_b32 exec_lo, exec_lo, s45
	s_delay_alu instid0(SALU_CYCLE_1)
	s_and_b32 s45, s46, exec_lo
.LBB34_97:                              ;   in Loop: Header=BB34_4 Depth=1
	s_or_b32 exec_lo, exec_lo, s44
	s_delay_alu instid0(SALU_CYCLE_1)
	s_and_b32 s44, s45, exec_lo
.LBB34_98:                              ;   in Loop: Header=BB34_4 Depth=1
	s_or_b32 exec_lo, exec_lo, s43
	s_delay_alu instid0(SALU_CYCLE_1)
	s_and_b32 s43, s44, exec_lo
.LBB34_99:                              ;   in Loop: Header=BB34_4 Depth=1
	s_or_b32 exec_lo, exec_lo, s42
	s_delay_alu instid0(SALU_CYCLE_1)
	s_and_b32 s42, s43, exec_lo
.LBB34_100:                             ;   in Loop: Header=BB34_4 Depth=1
	s_or_b32 exec_lo, exec_lo, s41
	s_delay_alu instid0(SALU_CYCLE_1)
	s_and_b32 s41, s42, exec_lo
.LBB34_101:                             ;   in Loop: Header=BB34_4 Depth=1
	s_or_b32 exec_lo, exec_lo, s40
	s_delay_alu instid0(SALU_CYCLE_1)
	s_and_b32 s40, s41, exec_lo
.LBB34_102:                             ;   in Loop: Header=BB34_4 Depth=1
	s_or_b32 exec_lo, exec_lo, s39
	s_delay_alu instid0(SALU_CYCLE_1)
	s_and_b32 s39, s40, exec_lo
.LBB34_103:                             ;   in Loop: Header=BB34_4 Depth=1
	s_or_b32 exec_lo, exec_lo, s38
	s_delay_alu instid0(SALU_CYCLE_1)
	s_and_b32 s38, s39, exec_lo
.LBB34_104:                             ;   in Loop: Header=BB34_4 Depth=1
	s_or_b32 exec_lo, exec_lo, s37
	s_delay_alu instid0(SALU_CYCLE_1)
	s_and_b32 s37, s38, exec_lo
.LBB34_105:                             ;   in Loop: Header=BB34_4 Depth=1
	s_or_b32 exec_lo, exec_lo, s36
	s_delay_alu instid0(SALU_CYCLE_1)
	s_and_b32 s36, s37, exec_lo
.LBB34_106:                             ;   in Loop: Header=BB34_4 Depth=1
	s_or_b32 exec_lo, exec_lo, s35
	s_delay_alu instid0(SALU_CYCLE_1)
	s_and_b32 s35, s36, exec_lo
.LBB34_107:                             ;   in Loop: Header=BB34_4 Depth=1
	s_or_b32 exec_lo, exec_lo, s34
	s_delay_alu instid0(SALU_CYCLE_1)
	s_and_b32 s34, s35, exec_lo
.LBB34_108:                             ;   in Loop: Header=BB34_4 Depth=1
	s_or_b32 exec_lo, exec_lo, s33
	s_delay_alu instid0(SALU_CYCLE_1)
	s_and_b32 s33, s34, exec_lo
.LBB34_109:                             ;   in Loop: Header=BB34_4 Depth=1
	s_or_b32 exec_lo, exec_lo, s31
	s_delay_alu instid0(SALU_CYCLE_1)
	s_and_b32 s31, s33, exec_lo
.LBB34_110:                             ;   in Loop: Header=BB34_4 Depth=1
	s_or_b32 exec_lo, exec_lo, s30
	s_delay_alu instid0(SALU_CYCLE_1)
	s_and_b32 s30, s31, exec_lo
.LBB34_111:                             ;   in Loop: Header=BB34_4 Depth=1
	s_or_b32 exec_lo, exec_lo, s29
	s_delay_alu instid0(SALU_CYCLE_1)
	s_and_b32 s29, s30, exec_lo
.LBB34_112:                             ;   in Loop: Header=BB34_4 Depth=1
	s_or_b32 exec_lo, exec_lo, s28
	s_delay_alu instid0(SALU_CYCLE_1)
	s_and_b32 s28, s29, exec_lo
.LBB34_113:                             ;   in Loop: Header=BB34_4 Depth=1
	s_or_b32 exec_lo, exec_lo, s27
	s_delay_alu instid0(SALU_CYCLE_1)
	s_and_b32 s27, s28, exec_lo
.LBB34_114:                             ;   in Loop: Header=BB34_4 Depth=1
	s_or_b32 exec_lo, exec_lo, s26
	s_delay_alu instid0(SALU_CYCLE_1)
	s_and_b32 s26, s27, exec_lo
.LBB34_115:                             ;   in Loop: Header=BB34_4 Depth=1
	s_or_b32 exec_lo, exec_lo, s25
	s_delay_alu instid0(SALU_CYCLE_1)
	s_and_b32 s25, s26, exec_lo
.LBB34_116:                             ;   in Loop: Header=BB34_4 Depth=1
	s_or_b32 exec_lo, exec_lo, s24
	s_delay_alu instid0(SALU_CYCLE_1)
	s_and_b32 s24, s25, exec_lo
.LBB34_117:                             ;   in Loop: Header=BB34_4 Depth=1
	s_or_b32 exec_lo, exec_lo, s23
	s_delay_alu instid0(SALU_CYCLE_1)
	s_and_b32 s23, s24, exec_lo
.LBB34_118:                             ;   in Loop: Header=BB34_4 Depth=1
	s_or_b32 exec_lo, exec_lo, s22
	s_delay_alu instid0(SALU_CYCLE_1)
	s_and_b32 s22, s23, exec_lo
.LBB34_119:                             ;   in Loop: Header=BB34_4 Depth=1
	s_or_b32 exec_lo, exec_lo, s21
	s_delay_alu instid0(SALU_CYCLE_1)
	s_and_b32 s21, s22, exec_lo
.LBB34_120:                             ;   in Loop: Header=BB34_4 Depth=1
	s_or_b32 exec_lo, exec_lo, s20
	s_delay_alu instid0(SALU_CYCLE_1)
	s_and_b32 s20, s21, exec_lo
.LBB34_121:                             ;   in Loop: Header=BB34_4 Depth=1
	s_or_b32 exec_lo, exec_lo, s19
	s_delay_alu instid0(SALU_CYCLE_1)
	s_and_b32 s19, s20, exec_lo
.LBB34_122:                             ;   in Loop: Header=BB34_4 Depth=1
	s_or_b32 exec_lo, exec_lo, s18
	s_delay_alu instid0(SALU_CYCLE_1)
	s_and_b32 s18, s19, exec_lo
.LBB34_123:                             ;   in Loop: Header=BB34_4 Depth=1
	s_or_b32 exec_lo, exec_lo, s17
	s_delay_alu instid0(SALU_CYCLE_1)
	s_and_b32 s17, s18, exec_lo
.LBB34_124:                             ;   in Loop: Header=BB34_4 Depth=1
	s_or_b32 exec_lo, exec_lo, s16
	s_delay_alu instid0(SALU_CYCLE_1)
	s_and_b32 s16, s17, exec_lo
.LBB34_125:                             ;   in Loop: Header=BB34_4 Depth=1
	s_or_b32 exec_lo, exec_lo, s13
	s_delay_alu instid0(SALU_CYCLE_1)
	s_and_b32 s13, s16, exec_lo
.LBB34_126:                             ;   in Loop: Header=BB34_4 Depth=1
	s_or_b32 exec_lo, exec_lo, s12
	s_delay_alu instid0(SALU_CYCLE_1)
	s_and_b32 s12, s13, exec_lo
.LBB34_127:                             ;   in Loop: Header=BB34_4 Depth=1
	s_or_b32 exec_lo, exec_lo, s11
	s_delay_alu instid0(SALU_CYCLE_1)
	s_and_b32 s11, s12, exec_lo
.LBB34_128:                             ;   in Loop: Header=BB34_4 Depth=1
	s_or_b32 exec_lo, exec_lo, s10
	s_delay_alu instid0(SALU_CYCLE_1)
	s_and_b32 s10, s11, exec_lo
.LBB34_129:                             ;   in Loop: Header=BB34_4 Depth=1
	s_or_b32 exec_lo, exec_lo, s8
	v_cndmask_b32_e64 v1, 0, 1, s10
	;;#ASMSTART
	;;#ASMEND
	s_delay_alu instid0(VALU_DEP_1)
	v_cmp_ne_u32_e32 vcc_lo, 0, v1
	s_mov_b32 s8, exec_lo
	s_and_saveexec_b32 s10, s0
	s_cbranch_execz .LBB34_3
; %bb.130:                              ;   in Loop: Header=BB34_4 Depth=1
	s_cmp_eq_u32 vcc_lo, s8
	s_cselect_b32 s8, -1, 0
	s_delay_alu instid0(SALU_CYCLE_1)
	v_cndmask_b32_e64 v1, 0, 1, s8
	ds_store_b32 v5, v1
	s_branch .LBB34_3
.LBB34_131:                             ;   in Loop: Header=BB34_4 Depth=1
                                        ; implicit-def: $sgpr5
	s_cbranch_execz .LBB34_4
.LBB34_132:
	s_mov_b32 s0, exec_lo
	v_cmpx_eq_u32_e32 0, v0
	s_cbranch_execz .LBB34_134
; %bb.133:
	s_mul_i32 s0, s1, s15
	v_dual_mov_b32 v0, 0 :: v_dual_mov_b32 v1, s2
	s_add_i32 s0, s0, s14
	s_delay_alu instid0(SALU_CYCLE_1) | instskip(NEXT) | instid1(SALU_CYCLE_1)
	s_ashr_i32 s1, s0, 31
	s_lshl_b64 s[0:1], s[0:1], 2
	s_delay_alu instid0(SALU_CYCLE_1)
	s_add_u32 s0, s6, s0
	s_addc_u32 s1, s7, s1
	global_store_b32 v0, v1, s[0:1]
.LBB34_134:
	s_nop 0
	s_sendmsg sendmsg(MSG_DEALLOC_VGPRS)
	s_endpgm
	.section	.rodata,"a",@progbits
	.p2align	6, 0x0
	.amdhsa_kernel _ZL25flash_attn_mask_to_KV_maxILi32EEvPK7__half2Piiii
		.amdhsa_group_segment_fixed_size 128
		.amdhsa_private_segment_fixed_size 0
		.amdhsa_kernarg_size 288
		.amdhsa_user_sgpr_count 14
		.amdhsa_user_sgpr_dispatch_ptr 0
		.amdhsa_user_sgpr_queue_ptr 0
		.amdhsa_user_sgpr_kernarg_segment_ptr 1
		.amdhsa_user_sgpr_dispatch_id 0
		.amdhsa_user_sgpr_private_segment_size 0
		.amdhsa_wavefront_size32 1
		.amdhsa_uses_dynamic_stack 0
		.amdhsa_enable_private_segment 0
		.amdhsa_system_sgpr_workgroup_id_x 1
		.amdhsa_system_sgpr_workgroup_id_y 1
		.amdhsa_system_sgpr_workgroup_id_z 0
		.amdhsa_system_sgpr_workgroup_info 0
		.amdhsa_system_vgpr_workitem_id 0
		.amdhsa_next_free_vgpr 9
		.amdhsa_next_free_sgpr 76
		.amdhsa_reserve_vcc 1
		.amdhsa_float_round_mode_32 0
		.amdhsa_float_round_mode_16_64 0
		.amdhsa_float_denorm_mode_32 3
		.amdhsa_float_denorm_mode_16_64 3
		.amdhsa_dx10_clamp 1
		.amdhsa_ieee_mode 1
		.amdhsa_fp16_overflow 0
		.amdhsa_workgroup_processor_mode 1
		.amdhsa_memory_ordered 1
		.amdhsa_forward_progress 0
		.amdhsa_shared_vgpr_count 0
		.amdhsa_exception_fp_ieee_invalid_op 0
		.amdhsa_exception_fp_denorm_src 0
		.amdhsa_exception_fp_ieee_div_zero 0
		.amdhsa_exception_fp_ieee_overflow 0
		.amdhsa_exception_fp_ieee_underflow 0
		.amdhsa_exception_fp_ieee_inexact 0
		.amdhsa_exception_int_div_zero 0
	.end_amdhsa_kernel
	.section	.text._ZL25flash_attn_mask_to_KV_maxILi32EEvPK7__half2Piiii,"axG",@progbits,_ZL25flash_attn_mask_to_KV_maxILi32EEvPK7__half2Piiii,comdat
.Lfunc_end34:
	.size	_ZL25flash_attn_mask_to_KV_maxILi32EEvPK7__half2Piiii, .Lfunc_end34-_ZL25flash_attn_mask_to_KV_maxILi32EEvPK7__half2Piiii
                                        ; -- End function
	.section	.AMDGPU.csdata,"",@progbits
; Kernel info:
; codeLenInByte = 4544
; NumSgprs: 78
; NumVgprs: 9
; ScratchSize: 0
; MemoryBound: 0
; FloatMode: 240
; IeeeMode: 1
; LDSByteSize: 128 bytes/workgroup (compile time only)
; SGPRBlocks: 9
; VGPRBlocks: 1
; NumSGPRsForWavesPerEU: 78
; NumVGPRsForWavesPerEU: 9
; Occupancy: 16
; WaveLimiterHint : 0
; COMPUTE_PGM_RSRC2:SCRATCH_EN: 0
; COMPUTE_PGM_RSRC2:USER_SGPR: 14
; COMPUTE_PGM_RSRC2:TRAP_HANDLER: 0
; COMPUTE_PGM_RSRC2:TGID_X_EN: 1
; COMPUTE_PGM_RSRC2:TGID_Y_EN: 1
; COMPUTE_PGM_RSRC2:TGID_Z_EN: 0
; COMPUTE_PGM_RSRC2:TIDIG_COMP_CNT: 0
	.section	.text._ZL33flash_attn_stream_k_fixup_uniformILi40ELi32ELi2EEvPfPK15HIP_vector_typeIfLj2EEiiiiiiS1_IjLj3EES5_S5_,"axG",@progbits,_ZL33flash_attn_stream_k_fixup_uniformILi40ELi32ELi2EEvPfPK15HIP_vector_typeIfLj2EEiiiiiiS1_IjLj3EES5_S5_,comdat
	.globl	_ZL33flash_attn_stream_k_fixup_uniformILi40ELi32ELi2EEvPfPK15HIP_vector_typeIfLj2EEiiiiiiS1_IjLj3EES5_S5_ ; -- Begin function _ZL33flash_attn_stream_k_fixup_uniformILi40ELi32ELi2EEvPfPK15HIP_vector_typeIfLj2EEiiiiiiS1_IjLj3EES5_S5_
	.p2align	8
	.type	_ZL33flash_attn_stream_k_fixup_uniformILi40ELi32ELi2EEvPfPK15HIP_vector_typeIfLj2EEiiiiiiS1_IjLj3EES5_S5_,@function
_ZL33flash_attn_stream_k_fixup_uniformILi40ELi32ELi2EEvPfPK15HIP_vector_typeIfLj2EEiiiiiiS1_IjLj3EES5_S5_: ; @_ZL33flash_attn_stream_k_fixup_uniformILi40ELi32ELi2EEvPfPK15HIP_vector_typeIfLj2EEiiiiiiS1_IjLj3EES5_S5_
; %bb.0:
	s_clause 0x1
	s_load_b256 s[4:11], s[0:1], 0x1c
	s_load_b128 s[16:19], s[0:1], 0x3c
	s_waitcnt lgkmcnt(0)
	s_mul_hi_u32 s2, s7, s13
	s_delay_alu instid0(SALU_CYCLE_1) | instskip(NEXT) | instid1(SALU_CYCLE_1)
	s_add_i32 s2, s13, s2
	s_lshr_b32 s2, s2, s8
	s_delay_alu instid0(SALU_CYCLE_1) | instskip(SKIP_2) | instid1(SALU_CYCLE_1)
	s_mul_i32 s3, s2, s9
	s_load_b64 s[8:9], s[0:1], 0x10
	s_sub_i32 s3, s13, s3
	s_mul_hi_u32 s7, s3, s10
	s_delay_alu instid0(SALU_CYCLE_1) | instskip(NEXT) | instid1(SALU_CYCLE_1)
	s_add_i32 s7, s3, s7
	s_lshr_b32 s7, s7, s11
	s_delay_alu instid0(SALU_CYCLE_1) | instskip(NEXT) | instid1(SALU_CYCLE_1)
	s_mul_i32 s10, s7, s16
	s_sub_i32 s3, s3, s10
	s_delay_alu instid0(SALU_CYCLE_1) | instskip(NEXT) | instid1(SALU_CYCLE_1)
	s_mul_hi_u32 s10, s3, s17
	s_add_i32 s10, s3, s10
	s_delay_alu instid0(SALU_CYCLE_1) | instskip(NEXT) | instid1(SALU_CYCLE_1)
	s_lshr_b32 s11, s10, s18
	s_mul_i32 s10, s11, s19
	s_lshl_b32 s11, s11, 1
	s_sub_i32 s10, s3, s10
	s_delay_alu instid0(SALU_CYCLE_1) | instskip(NEXT) | instid1(SALU_CYCLE_1)
	s_lshl_b32 s3, s10, 5
	s_add_i32 s3, s3, s14
	s_waitcnt lgkmcnt(0)
	s_cmp_lt_i32 s3, s8
	s_cselect_b32 s3, -1, 0
	s_add_i32 s11, s11, s15
	s_delay_alu instid0(SALU_CYCLE_1) | instskip(SKIP_1) | instid1(SALU_CYCLE_1)
	s_cmp_lt_i32 s11, s5
	s_cselect_b32 s12, -1, 0
	s_and_b32 s3, s3, s12
	s_delay_alu instid0(SALU_CYCLE_1)
	s_and_not1_b32 vcc_lo, exec_lo, s3
	s_cbranch_vccnz .LBB35_6
; %bb.1:
	s_mul_i32 s8, s2, s8
	s_mul_i32 s7, s7, s5
	s_add_i32 s8, s8, s14
	s_add_i32 s5, s11, s7
	s_mul_i32 s8, s8, s9
	s_load_b128 s[0:3], s[0:1], 0x0
	s_mul_i32 s7, s9, s10
	s_add_i32 s5, s5, s8
	s_mulk_i32 s7, 0x500
	s_mul_i32 s5, s5, 40
	s_lshl_b32 s9, s14, 1
	v_add3_u32 v1, s5, s7, v0
	s_mul_i32 s5, s13, s6
	s_delay_alu instid0(SALU_CYCLE_1) | instskip(NEXT) | instid1(VALU_DEP_1)
	s_add_i32 s10, s5, s6
	v_ashrrev_i32_e32 v2, 31, v1
	s_delay_alu instid0(VALU_DEP_1) | instskip(SKIP_1) | instid1(VALU_DEP_1)
	v_lshlrev_b64 v[1:2], 2, v[1:2]
	s_waitcnt lgkmcnt(0)
	v_add_co_u32 v1, vcc_lo, s0, v1
	s_delay_alu instid0(VALU_DEP_2) | instskip(SKIP_4) | instid1(SALU_CYCLE_1)
	v_add_co_ci_u32_e32 v2, vcc_lo, s1, v2, vcc_lo
	s_add_i32 s0, s9, s15
	s_lshl_b32 s1, s10, 6
	global_load_b32 v5, v[1:2], off
	s_add_i32 s0, s0, s1
	s_sub_i32 s0, s0, 64
	s_delay_alu instid0(SALU_CYCLE_1) | instskip(NEXT) | instid1(SALU_CYCLE_1)
	s_ashr_i32 s1, s0, 31
	s_lshl_b64 s[0:1], s[0:1], 3
	s_delay_alu instid0(SALU_CYCLE_1)
	s_add_u32 s0, s2, s0
	s_addc_u32 s1, s3, s1
	s_add_i32 s7, s10, -2
	s_load_b32 s11, s[0:1], 0x4
	s_cmp_lt_i32 s7, s5
	s_cbranch_scc1 .LBB35_4
; %bb.2:
	s_load_b32 s12, s[0:1], 0x0
	s_lshl_b32 s16, s4, 8
	s_mulk_i32 s14, 0x50
	s_ashr_i32 s17, s16, 31
	s_waitcnt lgkmcnt(0)
	v_mov_b32_e32 v6, s11
	s_lshl_b64 s[0:1], s[16:17], 2
	s_delay_alu instid0(SALU_CYCLE_1)
	s_add_u32 s7, s2, s0
	s_addc_u32 s8, s3, s1
	s_add_i32 s13, s13, 1
	s_lshl_b32 s4, s4, 6
	s_mul_i32 s0, s6, s13
	s_mul_i32 s6, s15, 40
	s_lshl_b32 s1, s0, 6
	s_mulk_i32 s0, 0xa00
	s_add_i32 s6, s6, s14
	s_add_i32 s1, s15, s1
	;; [unrolled: 1-line block ×4, first 2 shown]
	v_add3_u32 v3, s6, v0, 0xffffec00
	v_mov_b32_e32 v0, s12
	s_add_i32 s0, s0, s9
	s_add_i32 s4, s10, -1
	s_addk_i32 s0, 0xff80
.LBB35_3:                               ; =>This Inner Loop Header: Depth=1
	s_delay_alu instid0(VALU_DEP_2) | instskip(SKIP_1) | instid1(SALU_CYCLE_1)
	v_ashrrev_i32_e32 v4, 31, v3
	s_ashr_i32 s1, s0, 31
	s_lshl_b64 s[10:11], s[0:1], 3
	s_delay_alu instid0(SALU_CYCLE_1) | instskip(NEXT) | instid1(VALU_DEP_1)
	s_add_u32 s10, s2, s10
	v_lshlrev_b64 v[7:8], 2, v[3:4]
	s_addc_u32 s11, s3, s11
	s_add_i32 s4, s4, -1
	s_sub_i32 s0, s0, 64
	s_cmp_le_i32 s4, s5
	s_load_b64 s[10:11], s[10:11], 0x0
	v_add_co_u32 v7, vcc_lo, s7, v7
	v_add_co_ci_u32_e32 v8, vcc_lo, s8, v8, vcc_lo
	global_load_b32 v4, v[7:8], off
	v_max_f32_e32 v7, v0, v0
	s_waitcnt lgkmcnt(0)
	v_max_f32_e64 v8, s10, s10
	s_delay_alu instid0(VALU_DEP_1) | instskip(NEXT) | instid1(VALU_DEP_1)
	v_max_f32_e32 v7, v7, v8
	v_sub_f32_e32 v8, s10, v7
	s_delay_alu instid0(VALU_DEP_1) | instskip(NEXT) | instid1(VALU_DEP_1)
	v_dual_sub_f32 v0, v0, v7 :: v_dual_mul_f32 v9, 0x3fb8aa3b, v8
	v_fma_f32 v10, 0x3fb8aa3b, v8, -v9
	v_rndne_f32_e32 v11, v9
	s_delay_alu instid0(VALU_DEP_3) | instskip(NEXT) | instid1(VALU_DEP_2)
	v_mul_f32_e32 v12, 0x3fb8aa3b, v0
	v_dual_fmac_f32 v10, 0x32a5705f, v8 :: v_dual_sub_f32 v9, v9, v11
	v_cvt_i32_f32_e32 v11, v11
	s_delay_alu instid0(VALU_DEP_3) | instskip(SKIP_1) | instid1(VALU_DEP_4)
	v_fma_f32 v13, 0x3fb8aa3b, v0, -v12
	v_rndne_f32_e32 v14, v12
	v_add_f32_e32 v9, v9, v10
	v_cmp_ngt_f32_e32 vcc_lo, 0xc2ce8ed0, v8
	s_delay_alu instid0(VALU_DEP_3) | instskip(NEXT) | instid1(VALU_DEP_3)
	v_sub_f32_e32 v10, v12, v14
	v_exp_f32_e32 v9, v9
	s_waitcnt_depctr 0xfff
	v_ldexp_f32 v9, v9, v11
	v_cvt_i32_f32_e32 v11, v14
	s_delay_alu instid0(VALU_DEP_2) | instskip(SKIP_1) | instid1(VALU_DEP_2)
	v_cndmask_b32_e32 v9, 0, v9, vcc_lo
	v_cmp_nlt_f32_e32 vcc_lo, 0x42b17218, v8
	v_cndmask_b32_e32 v9, 0x7f800000, v9, vcc_lo
	v_cmp_ngt_f32_e32 vcc_lo, 0xc2ce8ed0, v0
	v_fmac_f32_e32 v13, 0x32a5705f, v0
	s_delay_alu instid0(VALU_DEP_1) | instskip(NEXT) | instid1(VALU_DEP_1)
	v_add_f32_e32 v10, v10, v13
	v_exp_f32_e32 v10, v10
	s_waitcnt_depctr 0xfff
	v_ldexp_f32 v10, v10, v11
	s_delay_alu instid0(VALU_DEP_1)
	v_dual_mov_b32 v11, v6 :: v_dual_cndmask_b32 v10, 0, v10
	v_cmp_le_f32_e32 vcc_lo, 0xc1a00000, v8
	s_waitcnt vmcnt(1)
	v_dual_cndmask_b32 v8, 0, v9 :: v_dual_mov_b32 v9, v5
	v_cmp_nlt_f32_e32 vcc_lo, 0x42b17218, v0
	v_cndmask_b32_e32 v5, 0x7f800000, v10, vcc_lo
	s_delay_alu instid0(VALU_DEP_3) | instskip(SKIP_2) | instid1(VALU_DEP_3)
	v_mul_f32_e32 v10, s11, v8
	v_cmp_le_f32_e32 vcc_lo, 0xc1a00000, v0
	v_mov_b32_e32 v0, v7
	v_mov_b32_e32 v6, v10
	s_waitcnt vmcnt(0)
	v_dual_cndmask_b32 v12, 0, v5 :: v_dual_mul_f32 v5, v4, v8
	s_delay_alu instid0(VALU_DEP_1) | instskip(NEXT) | instid1(VALU_DEP_2)
	v_dual_fmac_f32 v6, v11, v12 :: v_dual_add_nc_u32 v3, 0xfffff600, v3
	v_fmac_f32_e32 v5, v9, v12
	s_cbranch_scc0 .LBB35_3
	s_branch .LBB35_5
.LBB35_4:
	s_waitcnt lgkmcnt(0)
	v_mov_b32_e32 v6, s11
.LBB35_5:
	s_waitcnt vmcnt(0)
	s_delay_alu instid0(VALU_DEP_1) | instskip(NEXT) | instid1(VALU_DEP_1)
	v_div_scale_f32 v0, null, v6, v6, v5
	v_rcp_f32_e32 v3, v0
	s_waitcnt_depctr 0xfff
	v_fma_f32 v4, -v0, v3, 1.0
	s_delay_alu instid0(VALU_DEP_1) | instskip(SKIP_1) | instid1(VALU_DEP_1)
	v_fmac_f32_e32 v3, v4, v3
	v_div_scale_f32 v4, vcc_lo, v5, v6, v5
	v_mul_f32_e32 v7, v4, v3
	s_delay_alu instid0(VALU_DEP_1) | instskip(NEXT) | instid1(VALU_DEP_1)
	v_fma_f32 v8, -v0, v7, v4
	v_fmac_f32_e32 v7, v8, v3
	s_delay_alu instid0(VALU_DEP_1) | instskip(NEXT) | instid1(VALU_DEP_1)
	v_fma_f32 v0, -v0, v7, v4
	v_div_fmas_f32 v0, v0, v3, v7
	s_delay_alu instid0(VALU_DEP_1)
	v_div_fixup_f32 v0, v0, v6, v5
	global_store_b32 v[1:2], v0, off
.LBB35_6:
	s_nop 0
	s_sendmsg sendmsg(MSG_DEALLOC_VGPRS)
	s_endpgm
	.section	.rodata,"a",@progbits
	.p2align	6, 0x0
	.amdhsa_kernel _ZL33flash_attn_stream_k_fixup_uniformILi40ELi32ELi2EEvPfPK15HIP_vector_typeIfLj2EEiiiiiiS1_IjLj3EES5_S5_
		.amdhsa_group_segment_fixed_size 0
		.amdhsa_private_segment_fixed_size 0
		.amdhsa_kernarg_size 76
		.amdhsa_user_sgpr_count 13
		.amdhsa_user_sgpr_dispatch_ptr 0
		.amdhsa_user_sgpr_queue_ptr 0
		.amdhsa_user_sgpr_kernarg_segment_ptr 1
		.amdhsa_user_sgpr_dispatch_id 0
		.amdhsa_user_sgpr_private_segment_size 0
		.amdhsa_wavefront_size32 1
		.amdhsa_uses_dynamic_stack 0
		.amdhsa_enable_private_segment 0
		.amdhsa_system_sgpr_workgroup_id_x 1
		.amdhsa_system_sgpr_workgroup_id_y 1
		.amdhsa_system_sgpr_workgroup_id_z 1
		.amdhsa_system_sgpr_workgroup_info 0
		.amdhsa_system_vgpr_workitem_id 0
		.amdhsa_next_free_vgpr 15
		.amdhsa_next_free_sgpr 20
		.amdhsa_reserve_vcc 1
		.amdhsa_float_round_mode_32 0
		.amdhsa_float_round_mode_16_64 0
		.amdhsa_float_denorm_mode_32 3
		.amdhsa_float_denorm_mode_16_64 3
		.amdhsa_dx10_clamp 1
		.amdhsa_ieee_mode 1
		.amdhsa_fp16_overflow 0
		.amdhsa_workgroup_processor_mode 1
		.amdhsa_memory_ordered 1
		.amdhsa_forward_progress 0
		.amdhsa_shared_vgpr_count 0
		.amdhsa_exception_fp_ieee_invalid_op 0
		.amdhsa_exception_fp_denorm_src 0
		.amdhsa_exception_fp_ieee_div_zero 0
		.amdhsa_exception_fp_ieee_overflow 0
		.amdhsa_exception_fp_ieee_underflow 0
		.amdhsa_exception_fp_ieee_inexact 0
		.amdhsa_exception_int_div_zero 0
	.end_amdhsa_kernel
	.section	.text._ZL33flash_attn_stream_k_fixup_uniformILi40ELi32ELi2EEvPfPK15HIP_vector_typeIfLj2EEiiiiiiS1_IjLj3EES5_S5_,"axG",@progbits,_ZL33flash_attn_stream_k_fixup_uniformILi40ELi32ELi2EEvPfPK15HIP_vector_typeIfLj2EEiiiiiiS1_IjLj3EES5_S5_,comdat
.Lfunc_end35:
	.size	_ZL33flash_attn_stream_k_fixup_uniformILi40ELi32ELi2EEvPfPK15HIP_vector_typeIfLj2EEiiiiiiS1_IjLj3EES5_S5_, .Lfunc_end35-_ZL33flash_attn_stream_k_fixup_uniformILi40ELi32ELi2EEvPfPK15HIP_vector_typeIfLj2EEiiiiiiS1_IjLj3EES5_S5_
                                        ; -- End function
	.section	.AMDGPU.csdata,"",@progbits
; Kernel info:
; codeLenInByte = 988
; NumSgprs: 22
; NumVgprs: 15
; ScratchSize: 0
; MemoryBound: 0
; FloatMode: 240
; IeeeMode: 1
; LDSByteSize: 0 bytes/workgroup (compile time only)
; SGPRBlocks: 2
; VGPRBlocks: 1
; NumSGPRsForWavesPerEU: 22
; NumVGPRsForWavesPerEU: 15
; Occupancy: 16
; WaveLimiterHint : 0
; COMPUTE_PGM_RSRC2:SCRATCH_EN: 0
; COMPUTE_PGM_RSRC2:USER_SGPR: 13
; COMPUTE_PGM_RSRC2:TRAP_HANDLER: 0
; COMPUTE_PGM_RSRC2:TGID_X_EN: 1
; COMPUTE_PGM_RSRC2:TGID_Y_EN: 1
; COMPUTE_PGM_RSRC2:TGID_Z_EN: 1
; COMPUTE_PGM_RSRC2:TIDIG_COMP_CNT: 0
	.section	.text._ZL33flash_attn_stream_k_fixup_generalILi40ELi32ELi2EEvPfPK15HIP_vector_typeIfLj2EEiiiiS1_IjLj3EES5_S5_S5_,"axG",@progbits,_ZL33flash_attn_stream_k_fixup_generalILi40ELi32ELi2EEvPfPK15HIP_vector_typeIfLj2EEiiiiS1_IjLj3EES5_S5_S5_,comdat
	.globl	_ZL33flash_attn_stream_k_fixup_generalILi40ELi32ELi2EEvPfPK15HIP_vector_typeIfLj2EEiiiiS1_IjLj3EES5_S5_S5_ ; -- Begin function _ZL33flash_attn_stream_k_fixup_generalILi40ELi32ELi2EEvPfPK15HIP_vector_typeIfLj2EEiiiiS1_IjLj3EES5_S5_S5_
	.p2align	8
	.type	_ZL33flash_attn_stream_k_fixup_generalILi40ELi32ELi2EEvPfPK15HIP_vector_typeIfLj2EEiiiiS1_IjLj3EES5_S5_S5_,@function
_ZL33flash_attn_stream_k_fixup_generalILi40ELi32ELi2EEvPfPK15HIP_vector_typeIfLj2EEiiiiS1_IjLj3EES5_S5_S5_: ; @_ZL33flash_attn_stream_k_fixup_generalILi40ELi32ELi2EEvPfPK15HIP_vector_typeIfLj2EEiiiiS1_IjLj3EES5_S5_S5_
; %bb.0:
	s_clause 0x1
	s_load_b128 s[4:7], s[0:1], 0x10
	s_load_b32 s20, s[0:1], 0x50
	s_mov_b32 s2, 0
	s_waitcnt lgkmcnt(0)
	s_mul_hi_i32 s3, s7, s13
	s_mul_i32 s12, s7, s13
	s_cmp_lg_u64 s[2:3], 0
	s_cbranch_scc0 .LBB36_21
; %bb.1:
	v_cvt_f32_ubyte0_e32 v1, 0
	v_cvt_f32_u32_e32 v2, s20
	s_sub_u32 s10, 0, s20
	s_subb_u32 s11, 0, 0
	s_delay_alu instid0(VALU_DEP_1) | instskip(NEXT) | instid1(VALU_DEP_1)
	v_fmamk_f32 v1, v1, 0x4f800000, v2
	v_rcp_f32_e32 v1, v1
	s_waitcnt_depctr 0xfff
	v_mul_f32_e32 v1, 0x5f7ffffc, v1
	s_delay_alu instid0(VALU_DEP_1) | instskip(NEXT) | instid1(VALU_DEP_1)
	v_mul_f32_e32 v2, 0x2f800000, v1
	v_trunc_f32_e32 v2, v2
	s_delay_alu instid0(VALU_DEP_1) | instskip(SKIP_1) | instid1(VALU_DEP_2)
	v_fmamk_f32 v1, v2, 0xcf800000, v1
	v_cvt_u32_f32_e32 v2, v2
	v_cvt_u32_f32_e32 v1, v1
	s_delay_alu instid0(VALU_DEP_2) | instskip(NEXT) | instid1(VALU_DEP_2)
	v_readfirstlane_b32 s8, v2
	v_readfirstlane_b32 s9, v1
	s_delay_alu instid0(VALU_DEP_2) | instskip(NEXT) | instid1(VALU_DEP_1)
	s_mul_i32 s16, s10, s8
	s_mul_hi_u32 s18, s10, s9
	s_mul_i32 s17, s11, s9
	s_add_i32 s16, s18, s16
	s_mul_i32 s19, s10, s9
	s_add_i32 s16, s16, s17
	s_mul_hi_u32 s18, s9, s19
	s_mul_hi_u32 s21, s8, s19
	s_mul_i32 s17, s8, s19
	s_mul_hi_u32 s19, s9, s16
	s_mul_i32 s9, s9, s16
	s_mul_hi_u32 s22, s8, s16
	s_add_u32 s9, s18, s9
	s_addc_u32 s18, 0, s19
	s_add_u32 s9, s9, s17
	s_mul_i32 s16, s8, s16
	s_addc_u32 s9, s18, s21
	s_addc_u32 s17, s22, 0
	s_add_u32 s9, s9, s16
	s_addc_u32 s16, 0, s17
	v_add_co_u32 v1, s9, v1, s9
	s_delay_alu instid0(VALU_DEP_1) | instskip(SKIP_1) | instid1(VALU_DEP_1)
	s_cmp_lg_u32 s9, 0
	s_addc_u32 s8, s8, s16
	v_readfirstlane_b32 s9, v1
	s_mul_i32 s16, s10, s8
	s_delay_alu instid0(VALU_DEP_1)
	s_mul_hi_u32 s17, s10, s9
	s_mul_i32 s11, s11, s9
	s_add_i32 s16, s17, s16
	s_mul_i32 s10, s10, s9
	s_add_i32 s16, s16, s11
	s_mul_hi_u32 s17, s8, s10
	s_mul_i32 s18, s8, s10
	s_mul_hi_u32 s10, s9, s10
	s_mul_hi_u32 s19, s9, s16
	s_mul_i32 s9, s9, s16
	s_mul_hi_u32 s11, s8, s16
	s_add_u32 s9, s10, s9
	s_addc_u32 s10, 0, s19
	s_add_u32 s9, s9, s18
	s_mul_i32 s16, s8, s16
	s_addc_u32 s9, s10, s17
	s_addc_u32 s10, s11, 0
	s_add_u32 s9, s9, s16
	s_addc_u32 s10, 0, s10
	v_add_co_u32 v1, s9, v1, s9
	s_delay_alu instid0(VALU_DEP_1) | instskip(SKIP_2) | instid1(SALU_CYCLE_1)
	s_cmp_lg_u32 s9, 0
	s_addc_u32 s16, s8, s10
	s_ashr_i32 s8, s3, 31
	s_add_u32 s10, s12, s8
	s_addc_u32 s11, s3, s8
	v_readfirstlane_b32 s3, v1
	s_mov_b32 s9, s8
	s_delay_alu instid0(SALU_CYCLE_1) | instskip(NEXT) | instid1(SALU_CYCLE_1)
	s_xor_b64 s[10:11], s[10:11], s[8:9]
	s_mul_i32 s18, s10, s16
	s_delay_alu instid0(VALU_DEP_1)
	s_mul_hi_u32 s19, s10, s3
	s_mul_hi_u32 s17, s10, s16
	;; [unrolled: 1-line block ×3, first 2 shown]
	s_mul_i32 s3, s11, s3
	s_add_u32 s18, s19, s18
	s_addc_u32 s17, 0, s17
	s_mul_hi_u32 s21, s11, s16
	s_add_u32 s3, s18, s3
	s_mul_i32 s16, s11, s16
	s_addc_u32 s3, s17, s22
	s_addc_u32 s17, s21, 0
	s_add_u32 s3, s3, s16
	s_addc_u32 s16, 0, s17
	s_mul_i32 s18, s20, s3
	s_add_u32 s17, s3, 1
	v_sub_co_u32 v1, s10, s10, s18
	s_mul_hi_u32 s18, s20, s3
	s_addc_u32 s19, s16, 0
	s_mul_i32 s21, s20, s16
	s_delay_alu instid0(VALU_DEP_1)
	v_sub_co_u32 v2, s22, v1, s20
	s_add_u32 s23, s3, 2
	s_addc_u32 s24, s16, 0
	s_add_i32 s18, s18, s21
	s_cmp_lg_u32 s10, 0
	v_readfirstlane_b32 s10, v2
	s_subb_u32 s11, s11, s18
	s_cmp_lg_u32 s22, 0
	s_subb_u32 s18, s11, 0
	s_delay_alu instid0(VALU_DEP_1) | instskip(SKIP_4) | instid1(SALU_CYCLE_1)
	s_cmp_ge_u32 s10, s20
	s_cselect_b32 s10, -1, 0
	s_cmp_eq_u32 s18, 0
	v_readfirstlane_b32 s18, v1
	s_cselect_b32 s10, s10, -1
	s_cmp_lg_u32 s10, 0
	s_cselect_b32 s10, s23, s17
	s_cselect_b32 s17, s24, s19
	s_cmp_ge_u32 s18, s20
	s_cselect_b32 s18, -1, 0
	s_cmp_eq_u32 s11, 0
	s_cselect_b32 s11, s18, -1
	s_delay_alu instid0(SALU_CYCLE_1) | instskip(SKIP_2) | instid1(SALU_CYCLE_1)
	s_cmp_lg_u32 s11, 0
	s_cselect_b32 s11, s17, s16
	s_cselect_b32 s10, s10, s3
	s_xor_b64 s[10:11], s[10:11], s[8:9]
	s_delay_alu instid0(SALU_CYCLE_1)
	s_sub_u32 s16, s10, s8
	s_load_b128 s[8:11], s[0:1], 0x44
	s_and_not1_b32 vcc_lo, exec_lo, s2
	s_cbranch_vccnz .LBB36_3
.LBB36_2:
	v_cvt_f32_u32_e32 v1, s20
	s_sub_i32 s3, 0, s20
	s_delay_alu instid0(VALU_DEP_1) | instskip(SKIP_2) | instid1(VALU_DEP_1)
	v_rcp_iflag_f32_e32 v1, v1
	s_waitcnt_depctr 0xfff
	v_mul_f32_e32 v1, 0x4f7ffffe, v1
	v_cvt_u32_f32_e32 v1, v1
	s_delay_alu instid0(VALU_DEP_1) | instskip(NEXT) | instid1(VALU_DEP_1)
	v_readfirstlane_b32 s2, v1
	s_mul_i32 s3, s3, s2
	s_delay_alu instid0(SALU_CYCLE_1) | instskip(NEXT) | instid1(SALU_CYCLE_1)
	s_mul_hi_u32 s3, s2, s3
	s_add_i32 s2, s2, s3
	s_delay_alu instid0(SALU_CYCLE_1) | instskip(NEXT) | instid1(SALU_CYCLE_1)
	s_mul_hi_u32 s2, s12, s2
	s_mul_i32 s3, s2, s20
	s_waitcnt lgkmcnt(0)
	s_add_i32 s11, s2, 1
	s_sub_i32 s3, s12, s3
	s_delay_alu instid0(SALU_CYCLE_1)
	s_sub_i32 s12, s3, s20
	s_cmp_ge_u32 s3, s20
	s_cselect_b32 s2, s11, s2
	s_cselect_b32 s3, s12, s3
	s_add_i32 s11, s2, 1
	s_cmp_ge_u32 s3, s20
	s_cselect_b32 s16, s11, s2
.LBB36_3:
	s_waitcnt lgkmcnt(0)
	s_add_i32 s11, s13, 1
	s_mov_b32 s2, 0
	s_mul_hi_i32 s3, s7, s11
	s_mul_i32 s11, s7, s11
	s_cmp_lg_u64 s[2:3], 0
	s_cbranch_scc0 .LBB36_22
; %bb.4:
	v_cvt_f32_ubyte0_e32 v1, 0
	v_cvt_f32_u32_e32 v2, s20
	s_sub_u32 s18, 0, s20
	s_subb_u32 s19, 0, 0
	s_delay_alu instid0(VALU_DEP_1) | instskip(NEXT) | instid1(VALU_DEP_1)
	v_fmamk_f32 v1, v1, 0x4f800000, v2
	v_rcp_f32_e32 v1, v1
	s_waitcnt_depctr 0xfff
	v_mul_f32_e32 v1, 0x5f7ffffc, v1
	s_delay_alu instid0(VALU_DEP_1) | instskip(NEXT) | instid1(VALU_DEP_1)
	v_mul_f32_e32 v2, 0x2f800000, v1
	v_trunc_f32_e32 v2, v2
	s_delay_alu instid0(VALU_DEP_1) | instskip(SKIP_1) | instid1(VALU_DEP_2)
	v_fmamk_f32 v1, v2, 0xcf800000, v1
	v_cvt_u32_f32_e32 v2, v2
	v_cvt_u32_f32_e32 v1, v1
	s_delay_alu instid0(VALU_DEP_2) | instskip(NEXT) | instid1(VALU_DEP_2)
	v_readfirstlane_b32 s12, v2
	v_readfirstlane_b32 s17, v1
	s_delay_alu instid0(VALU_DEP_2) | instskip(NEXT) | instid1(VALU_DEP_1)
	s_mul_i32 s21, s18, s12
	s_mul_hi_u32 s23, s18, s17
	s_mul_i32 s22, s19, s17
	s_add_i32 s21, s23, s21
	s_mul_i32 s24, s18, s17
	s_add_i32 s21, s21, s22
	s_mul_hi_u32 s23, s17, s24
	s_mul_hi_u32 s25, s12, s24
	s_mul_i32 s22, s12, s24
	s_mul_hi_u32 s24, s17, s21
	s_mul_i32 s17, s17, s21
	s_mul_hi_u32 s26, s12, s21
	s_add_u32 s17, s23, s17
	s_addc_u32 s23, 0, s24
	s_add_u32 s17, s17, s22
	s_mul_i32 s21, s12, s21
	s_addc_u32 s17, s23, s25
	s_addc_u32 s22, s26, 0
	s_add_u32 s17, s17, s21
	s_addc_u32 s21, 0, s22
	v_add_co_u32 v1, s17, v1, s17
	s_delay_alu instid0(VALU_DEP_1) | instskip(SKIP_1) | instid1(VALU_DEP_1)
	s_cmp_lg_u32 s17, 0
	s_addc_u32 s12, s12, s21
	v_readfirstlane_b32 s17, v1
	s_mul_i32 s21, s18, s12
	s_delay_alu instid0(VALU_DEP_1)
	s_mul_hi_u32 s22, s18, s17
	s_mul_i32 s19, s19, s17
	s_add_i32 s21, s22, s21
	s_mul_i32 s18, s18, s17
	s_add_i32 s21, s21, s19
	s_mul_hi_u32 s22, s12, s18
	s_mul_i32 s23, s12, s18
	s_mul_hi_u32 s18, s17, s18
	s_mul_hi_u32 s24, s17, s21
	s_mul_i32 s17, s17, s21
	s_mul_hi_u32 s19, s12, s21
	s_add_u32 s17, s18, s17
	s_addc_u32 s18, 0, s24
	s_add_u32 s17, s17, s23
	s_mul_i32 s21, s12, s21
	s_addc_u32 s17, s18, s22
	s_addc_u32 s18, s19, 0
	s_add_u32 s17, s17, s21
	s_addc_u32 s18, 0, s18
	v_add_co_u32 v1, s17, v1, s17
	s_delay_alu instid0(VALU_DEP_1) | instskip(SKIP_2) | instid1(SALU_CYCLE_1)
	s_cmp_lg_u32 s17, 0
	s_addc_u32 s12, s12, s18
	s_ashr_i32 s18, s3, 31
	s_add_u32 s22, s11, s18
	s_addc_u32 s23, s3, s18
	v_readfirstlane_b32 s3, v1
	s_mov_b32 s19, s18
	s_delay_alu instid0(SALU_CYCLE_1) | instskip(NEXT) | instid1(SALU_CYCLE_1)
	s_xor_b64 s[22:23], s[22:23], s[18:19]
	s_mul_i32 s21, s22, s12
	s_delay_alu instid0(VALU_DEP_1)
	s_mul_hi_u32 s24, s22, s3
	s_mul_hi_u32 s17, s22, s12
	;; [unrolled: 1-line block ×3, first 2 shown]
	s_mul_i32 s3, s23, s3
	s_add_u32 s21, s24, s21
	s_addc_u32 s17, 0, s17
	s_mul_hi_u32 s25, s23, s12
	s_add_u32 s3, s21, s3
	s_mul_i32 s12, s23, s12
	s_addc_u32 s3, s17, s26
	s_addc_u32 s17, s25, 0
	s_add_u32 s3, s3, s12
	s_addc_u32 s12, 0, s17
	s_mul_i32 s21, s20, s3
	s_add_u32 s17, s3, 1
	v_sub_co_u32 v1, s21, s22, s21
	s_mul_hi_u32 s22, s20, s3
	s_addc_u32 s24, s12, 0
	s_mul_i32 s25, s20, s12
	s_delay_alu instid0(VALU_DEP_1)
	v_sub_co_u32 v2, s26, v1, s20
	s_add_u32 s27, s3, 2
	s_addc_u32 s28, s12, 0
	s_add_i32 s22, s22, s25
	s_cmp_lg_u32 s21, 0
	v_readfirstlane_b32 s21, v2
	s_subb_u32 s22, s23, s22
	s_cmp_lg_u32 s26, 0
	s_subb_u32 s23, s22, 0
	s_delay_alu instid0(VALU_DEP_1) | instskip(SKIP_4) | instid1(SALU_CYCLE_1)
	s_cmp_ge_u32 s21, s20
	s_cselect_b32 s21, -1, 0
	s_cmp_eq_u32 s23, 0
	v_readfirstlane_b32 s23, v1
	s_cselect_b32 s21, s21, -1
	s_cmp_lg_u32 s21, 0
	s_cselect_b32 s17, s27, s17
	s_cselect_b32 s21, s28, s24
	s_cmp_ge_u32 s23, s20
	s_cselect_b32 s23, -1, 0
	s_cmp_eq_u32 s22, 0
	s_cselect_b32 s22, s23, -1
	s_delay_alu instid0(SALU_CYCLE_1) | instskip(SKIP_2) | instid1(SALU_CYCLE_1)
	s_cmp_lg_u32 s22, 0
	s_cselect_b32 s23, s21, s12
	s_cselect_b32 s22, s17, s3
	s_xor_b64 s[22:23], s[22:23], s[18:19]
	s_delay_alu instid0(SALU_CYCLE_1)
	s_sub_u32 s18, s22, s18
	s_and_not1_b32 vcc_lo, exec_lo, s2
	s_cbranch_vccnz .LBB36_6
.LBB36_5:
	v_cvt_f32_u32_e32 v1, s20
	s_sub_i32 s3, 0, s20
	s_delay_alu instid0(VALU_DEP_1) | instskip(SKIP_2) | instid1(VALU_DEP_1)
	v_rcp_iflag_f32_e32 v1, v1
	s_waitcnt_depctr 0xfff
	v_mul_f32_e32 v1, 0x4f7ffffe, v1
	v_cvt_u32_f32_e32 v1, v1
	s_delay_alu instid0(VALU_DEP_1) | instskip(NEXT) | instid1(VALU_DEP_1)
	v_readfirstlane_b32 s2, v1
	s_mul_i32 s3, s3, s2
	s_delay_alu instid0(SALU_CYCLE_1) | instskip(NEXT) | instid1(SALU_CYCLE_1)
	s_mul_hi_u32 s3, s2, s3
	s_add_i32 s2, s2, s3
	s_delay_alu instid0(SALU_CYCLE_1) | instskip(NEXT) | instid1(SALU_CYCLE_1)
	s_mul_hi_u32 s2, s11, s2
	s_mul_i32 s3, s2, s20
	s_delay_alu instid0(SALU_CYCLE_1)
	s_sub_i32 s3, s11, s3
	s_add_i32 s11, s2, 1
	s_sub_i32 s12, s3, s20
	s_cmp_ge_u32 s3, s20
	s_cselect_b32 s2, s11, s2
	s_cselect_b32 s3, s12, s3
	s_add_i32 s11, s2, 1
	s_cmp_ge_u32 s3, s20
	s_cselect_b32 s18, s11, s2
.LBB36_6:
	s_delay_alu instid0(SALU_CYCLE_1) | instskip(SKIP_3) | instid1(SALU_CYCLE_1)
	s_cmp_eq_u32 s16, s18
	s_mul_hi_u32 s2, s16, s8
	s_cselect_b32 s3, -1, 0
	s_add_i32 s2, s2, s16
	s_lshr_b32 s11, s2, s9
	s_delay_alu instid0(SALU_CYCLE_1) | instskip(NEXT) | instid1(SALU_CYCLE_1)
	s_mul_i32 s2, s11, s10
	s_cmp_eq_u32 s2, s16
	s_mul_hi_u32 s2, s18, s8
	s_cselect_b32 s12, -1, 0
	s_add_i32 s2, s2, s18
	s_delay_alu instid0(SALU_CYCLE_1) | instskip(NEXT) | instid1(SALU_CYCLE_1)
	s_lshr_b32 s2, s2, s9
	s_cmp_eq_u32 s11, s2
	s_mul_i32 s2, s2, s10
	s_cselect_b32 s17, -1, 0
	s_cmp_lg_u32 s2, s18
	s_cselect_b32 s2, -1, 0
	s_or_b32 s3, s3, s12
	s_and_b32 s2, s17, s2
	s_delay_alu instid0(SALU_CYCLE_1) | instskip(NEXT) | instid1(SALU_CYCLE_1)
	s_or_b32 s2, s3, s2
	s_and_b32 vcc_lo, exec_lo, s2
	s_cbranch_vccnz .LBB36_24
; %bb.7:
	s_load_b256 s[24:31], s[0:1], 0x20
	s_waitcnt lgkmcnt(0)
	s_mul_hi_u32 s2, s16, s24
	s_delay_alu instid0(SALU_CYCLE_1) | instskip(NEXT) | instid1(SALU_CYCLE_1)
	s_add_i32 s2, s2, s16
	s_lshr_b32 s17, s2, s25
	s_load_b32 s2, s[0:1], 0x40
	s_mul_i32 s3, s17, s26
	s_delay_alu instid0(SALU_CYCLE_1) | instskip(NEXT) | instid1(SALU_CYCLE_1)
	s_sub_i32 s3, s16, s3
	s_mul_hi_u32 s12, s3, s27
	s_delay_alu instid0(SALU_CYCLE_1) | instskip(NEXT) | instid1(SALU_CYCLE_1)
	s_add_i32 s12, s3, s12
	s_lshr_b32 s19, s12, s28
	s_delay_alu instid0(SALU_CYCLE_1) | instskip(NEXT) | instid1(SALU_CYCLE_1)
	s_mul_i32 s12, s19, s29
	s_sub_i32 s3, s3, s12
	s_delay_alu instid0(SALU_CYCLE_1) | instskip(NEXT) | instid1(SALU_CYCLE_1)
	s_mul_hi_u32 s12, s3, s30
	s_add_i32 s12, s3, s12
	s_delay_alu instid0(SALU_CYCLE_1)
	s_lshr_b32 s12, s12, s31
	s_waitcnt lgkmcnt(0)
	s_mul_i32 s2, s12, s2
	s_lshl_b32 s21, s12, 1
	s_sub_i32 s2, s3, s2
	s_mov_b32 s12, 0
	s_mul_hi_u32 s3, s2, s8
	s_delay_alu instid0(SALU_CYCLE_1) | instskip(NEXT) | instid1(SALU_CYCLE_1)
	s_add_i32 s2, s2, s3
	s_lshr_b32 s18, s2, s9
	s_delay_alu instid0(SALU_CYCLE_1) | instskip(NEXT) | instid1(SALU_CYCLE_1)
	s_lshl_b32 s2, s18, 5
	s_add_i32 s2, s2, s14
	s_delay_alu instid0(SALU_CYCLE_1) | instskip(SKIP_2) | instid1(SALU_CYCLE_1)
	s_cmp_lt_i32 s2, s4
	s_cselect_b32 s2, -1, 0
	s_add_i32 s21, s21, s15
	s_cmp_lt_i32 s21, s6
	s_cselect_b32 s3, -1, 0
	s_delay_alu instid0(SALU_CYCLE_1) | instskip(NEXT) | instid1(SALU_CYCLE_1)
	s_and_b32 s2, s2, s3
	s_and_not1_b32 vcc_lo, exec_lo, s2
	s_cbranch_vccnz .LBB36_24
; %bb.8:
	s_load_b128 s[0:3], s[0:1], 0x0
	s_lshl_b32 s22, s20, 8
	s_mov_b32 s23, s12
	s_lshl_b32 s24, s14, 1
	s_lshl_b64 s[22:23], s[22:23], 2
	s_mul_i32 s19, s19, s6
	s_mul_i32 s4, s17, s4
	s_add_i32 s6, s24, s15
	v_cvt_f32_ubyte0_e32 v3, 0
	v_cvt_f32_u32_e32 v4, s20
	s_waitcnt lgkmcnt(0)
	s_add_u32 s15, s2, s22
	s_addc_u32 s17, s3, s23
	s_add_i32 s4, s4, s14
	s_add_i32 s14, s21, s19
	s_mul_i32 s4, s4, s5
	s_mul_i32 s5, s5, s18
	s_add_i32 s4, s14, s4
	s_mulk_i32 s5, 0x500
	s_mul_i32 s4, s4, 40
	s_delay_alu instid0(SALU_CYCLE_1) | instskip(NEXT) | instid1(VALU_DEP_1)
	v_add3_u32 v1, s5, s4, v0
	v_ashrrev_i32_e32 v2, 31, v1
	s_delay_alu instid0(VALU_DEP_1) | instskip(NEXT) | instid1(VALU_DEP_1)
	v_lshlrev_b64 v[1:2], 2, v[1:2]
	v_add_co_u32 v1, vcc_lo, s0, v1
	s_delay_alu instid0(VALU_DEP_2) | instskip(SKIP_1) | instid1(SALU_CYCLE_1)
	v_add_co_ci_u32_e32 v2, vcc_lo, s1, v2, vcc_lo
	s_lshl_b32 s0, s13, 6
	s_add_i32 s0, s6, s0
	global_load_b32 v5, v[1:2], off
	s_ashr_i32 s1, s0, 31
	s_delay_alu instid0(SALU_CYCLE_1) | instskip(NEXT) | instid1(SALU_CYCLE_1)
	s_lshl_b64 s[0:1], s[0:1], 3
	s_add_u32 s0, s2, s0
	s_addc_u32 s1, s3, s1
	s_add_i32 s18, s13, -1
	s_load_b64 s[0:1], s[0:1], 0x0
	v_fmac_f32_e32 v4, 0x4f800000, v3
	s_sub_i32 s14, 0, s20
	s_delay_alu instid0(VALU_DEP_1)
	v_rcp_f32_e32 v3, v4
	s_waitcnt_depctr 0xfff
	v_mul_f32_e32 v6, 0x5f7ffffc, v3
	v_cvt_f32_u32_e32 v3, s20
	s_waitcnt lgkmcnt(0)
	v_mov_b32_e32 v8, s0
	s_delay_alu instid0(VALU_DEP_3) | instskip(NEXT) | instid1(VALU_DEP_3)
	v_mul_f32_e32 v4, 0x2f800000, v6
	v_rcp_iflag_f32_e32 v7, v3
	s_delay_alu instid0(VALU_DEP_1) | instskip(SKIP_1) | instid1(VALU_DEP_2)
	v_trunc_f32_e32 v9, v4
	v_mad_u64_u32 v[3:4], null, s6, 40, v[0:1]
	v_fmac_f32_e32 v6, 0xcf800000, v9
	s_waitcnt_depctr 0xfff
	v_dual_mul_f32 v10, 0x4f7ffffe, v7 :: v_dual_mov_b32 v7, s1
	v_cvt_u32_f32_e32 v4, v9
	v_cvt_u32_f32_e32 v0, v6
	s_delay_alu instid0(VALU_DEP_3)
	v_cvt_u32_f32_e32 v6, v10
.LBB36_9:                               ; =>This Inner Loop Header: Depth=1
	s_mul_hi_i32 s13, s18, s7
	s_mul_i32 s4, s18, s7
	s_cmp_lg_u64 s[12:13], 0
	s_mov_b32 s5, -1
                                        ; implicit-def: $sgpr0_sgpr1
	s_cbranch_scc0 .LBB36_11
; %bb.10:                               ;   in Loop: Header=BB36_9 Depth=1
	v_readfirstlane_b32 s0, v0
	v_readfirstlane_b32 s1, v4
	s_sub_u32 s5, 0, s20
	s_subb_u32 s19, 0, 0
	s_delay_alu instid0(VALU_DEP_2) | instskip(NEXT) | instid1(VALU_DEP_1)
	s_mul_hi_u32 s21, s5, s0
	s_mul_i32 s22, s5, s1
	s_mul_i32 s23, s19, s0
	s_add_i32 s21, s21, s22
	s_mul_i32 s22, s5, s0
	s_add_i32 s21, s21, s23
	s_mul_hi_u32 s23, s0, s22
	s_mul_i32 s24, s0, s21
	s_mul_hi_u32 s0, s0, s21
	s_add_u32 s23, s23, s24
	s_mul_i32 s25, s1, s22
	s_addc_u32 s0, 0, s0
	s_mul_hi_u32 s22, s1, s22
	s_mul_hi_u32 s24, s1, s21
	s_add_u32 s23, s23, s25
	s_addc_u32 s0, s0, s22
	s_mul_i32 s21, s1, s21
	s_addc_u32 s22, s24, 0
	s_add_u32 s0, s0, s21
	s_addc_u32 s21, 0, s22
	v_add_co_u32 v9, s0, v0, s0
	s_delay_alu instid0(VALU_DEP_1) | instskip(SKIP_1) | instid1(VALU_DEP_1)
	s_cmp_lg_u32 s0, 0
	s_addc_u32 s1, s1, s21
	v_readfirstlane_b32 s0, v9
	s_mul_i32 s21, s5, s1
	s_delay_alu instid0(VALU_DEP_1)
	s_mul_hi_u32 s22, s5, s0
	s_mul_i32 s19, s19, s0
	s_add_i32 s21, s22, s21
	s_mul_i32 s5, s5, s0
	s_add_i32 s21, s21, s19
	s_mul_hi_u32 s19, s1, s5
	s_mul_i32 s23, s1, s5
	s_mul_i32 s24, s0, s21
	s_mul_hi_u32 s5, s0, s5
	s_mul_hi_u32 s0, s0, s21
	s_add_u32 s5, s5, s24
	s_addc_u32 s0, 0, s0
	s_mul_hi_u32 s22, s1, s21
	s_add_u32 s5, s5, s23
	s_addc_u32 s0, s0, s19
	s_mul_i32 s5, s1, s21
	s_addc_u32 s19, s22, 0
	s_add_u32 s0, s0, s5
	s_addc_u32 s5, 0, s19
	v_add_co_u32 v9, s0, v9, s0
	s_delay_alu instid0(VALU_DEP_1) | instskip(SKIP_2) | instid1(SALU_CYCLE_1)
	s_cmp_lg_u32 s0, 0
	s_addc_u32 s5, s1, s5
	s_ashr_i32 s0, s13, 31
	s_add_u32 s22, s4, s0
	s_addc_u32 s23, s13, s0
	v_readfirstlane_b32 s13, v9
	s_mov_b32 s1, s0
	s_delay_alu instid0(SALU_CYCLE_1) | instskip(NEXT) | instid1(SALU_CYCLE_1)
	s_xor_b64 s[22:23], s[22:23], s[0:1]
	s_mul_i32 s19, s22, s5
	s_delay_alu instid0(VALU_DEP_1)
	s_mul_hi_u32 s21, s22, s13
	s_mul_hi_u32 s24, s22, s5
	s_add_u32 s19, s21, s19
	s_mul_i32 s25, s23, s13
	s_addc_u32 s21, 0, s24
	s_mul_hi_u32 s13, s23, s13
	s_mul_hi_u32 s24, s23, s5
	s_add_u32 s19, s19, s25
	s_addc_u32 s13, s21, s13
	s_mul_i32 s5, s23, s5
	s_addc_u32 s19, s24, 0
	s_add_u32 s5, s13, s5
	s_addc_u32 s13, 0, s19
	s_mul_i32 s21, s20, s5
	s_add_u32 s19, s5, 1
	v_sub_co_u32 v9, s21, s22, s21
	s_addc_u32 s22, s13, 0
	s_mul_i32 s25, s20, s13
	s_mul_hi_u32 s27, s20, s5
	s_delay_alu instid0(VALU_DEP_1)
	v_sub_co_u32 v10, s26, v9, s20
	s_add_u32 s24, s5, 2
	s_addc_u32 s28, s13, 0
	s_add_i32 s27, s27, s25
	s_cmp_lg_u32 s21, 0
	v_readfirstlane_b32 s21, v10
	s_subb_u32 s23, s23, s27
	s_cmp_lg_u32 s26, 0
	s_subb_u32 s25, s23, 0
	s_delay_alu instid0(VALU_DEP_1) | instskip(SKIP_4) | instid1(SALU_CYCLE_1)
	s_cmp_ge_u32 s21, s20
	s_cselect_b32 s21, -1, 0
	s_cmp_eq_u32 s25, 0
	v_readfirstlane_b32 s25, v9
	s_cselect_b32 s21, s21, -1
	s_cmp_lg_u32 s21, 0
	s_cselect_b32 s19, s24, s19
	s_cselect_b32 s21, s28, s22
	s_cmp_ge_u32 s25, s20
	s_cselect_b32 s22, -1, 0
	s_cmp_eq_u32 s23, 0
	s_cselect_b32 s22, s22, -1
	s_delay_alu instid0(SALU_CYCLE_1) | instskip(SKIP_4) | instid1(SALU_CYCLE_1)
	s_cmp_lg_u32 s22, 0
	s_cselect_b32 s23, s21, s13
	s_cselect_b32 s22, s19, s5
	s_mov_b32 s5, 0
	s_xor_b64 s[22:23], s[22:23], s[0:1]
	s_sub_u32 s0, s22, s0
.LBB36_11:                              ;   in Loop: Header=BB36_9 Depth=1
	s_and_not1_b32 vcc_lo, exec_lo, s5
	s_cbranch_vccnz .LBB36_13
; %bb.12:                               ;   in Loop: Header=BB36_9 Depth=1
	v_readfirstlane_b32 s0, v6
	s_delay_alu instid0(VALU_DEP_1) | instskip(NEXT) | instid1(SALU_CYCLE_1)
	s_mul_i32 s1, s14, s0
	s_mul_hi_u32 s1, s0, s1
	s_delay_alu instid0(SALU_CYCLE_1) | instskip(NEXT) | instid1(SALU_CYCLE_1)
	s_add_i32 s0, s0, s1
	s_mul_hi_u32 s0, s4, s0
	s_delay_alu instid0(SALU_CYCLE_1) | instskip(NEXT) | instid1(SALU_CYCLE_1)
	s_mul_i32 s1, s0, s20
	s_sub_i32 s1, s4, s1
	s_add_i32 s4, s0, 1
	s_sub_i32 s5, s1, s20
	s_cmp_ge_u32 s1, s20
	s_cselect_b32 s0, s4, s0
	s_cselect_b32 s1, s5, s1
	s_add_i32 s4, s0, 1
	s_cmp_ge_u32 s1, s20
	s_cselect_b32 s0, s4, s0
.LBB36_13:                              ;   in Loop: Header=BB36_9 Depth=1
	s_delay_alu instid0(SALU_CYCLE_1)
	s_cmp_lg_u32 s16, s0
	s_cbranch_scc0 .LBB36_17
; %bb.14:                               ;   in Loop: Header=BB36_9 Depth=1
	s_add_i32 s1, s18, s20
	s_mov_b32 s5, s12
	s_lshl_b32 s1, s1, 6
	s_mov_b32 s19, s16
	s_add_i32 s4, s1, s6
	s_mul_hi_u32 s1, s0, s8
	s_lshl_b64 s[4:5], s[4:5], 3
	s_delay_alu instid0(SALU_CYCLE_1) | instskip(SKIP_2) | instid1(SALU_CYCLE_1)
	s_add_u32 s4, s2, s4
	s_addc_u32 s5, s3, s5
	s_add_i32 s1, s1, s0
	s_lshr_b32 s1, s1, s9
	s_delay_alu instid0(SALU_CYCLE_1) | instskip(NEXT) | instid1(SALU_CYCLE_1)
	s_mul_i32 s13, s1, s10
	s_cmp_eq_u32 s13, s0
	s_cselect_b32 s13, -1, 0
	s_cmp_lt_u32 s1, s11
	s_cselect_b32 s1, -1, 0
	s_delay_alu instid0(SALU_CYCLE_1)
	s_or_b32 s1, s1, s13
	s_mov_b32 s13, -1
	s_and_b32 vcc_lo, exec_lo, s1
	s_mov_b32 s1, s18
	s_cbranch_vccnz .LBB36_16
; %bb.15:                               ;   in Loop: Header=BB36_9 Depth=1
	s_add_i32 s1, s18, -1
	s_mov_b32 s13, 0
	s_mov_b32 s19, s0
.LBB36_16:                              ;   in Loop: Header=BB36_9 Depth=1
	v_mad_u64_u32 v[9:10], null, 0xa00, s18, v[3:4]
	s_load_b64 s[4:5], s[4:5], 0x0
	s_delay_alu instid0(VALU_DEP_1) | instskip(NEXT) | instid1(VALU_DEP_1)
	v_ashrrev_i32_e32 v10, 31, v9
	v_lshlrev_b64 v[9:10], 2, v[9:10]
	s_delay_alu instid0(VALU_DEP_1) | instskip(NEXT) | instid1(VALU_DEP_2)
	v_add_co_u32 v9, vcc_lo, s15, v9
	v_add_co_ci_u32_e32 v10, vcc_lo, s17, v10, vcc_lo
	s_waitcnt lgkmcnt(0)
	v_max_f32_e64 v11, s4, s4
	global_load_b32 v10, v[9:10], off
	v_max_f32_e32 v9, v8, v8
	s_delay_alu instid0(VALU_DEP_1) | instskip(NEXT) | instid1(VALU_DEP_1)
	v_max_f32_e32 v9, v9, v11
	v_sub_f32_e32 v12, v8, v9
	s_delay_alu instid0(VALU_DEP_1) | instskip(NEXT) | instid1(VALU_DEP_1)
	v_dual_mul_f32 v14, 0x3fb8aa3b, v12 :: v_dual_sub_f32 v11, s4, v9
	v_rndne_f32_e32 v18, v14
	s_delay_alu instid0(VALU_DEP_2) | instskip(SKIP_2) | instid1(VALU_DEP_4)
	v_mul_f32_e32 v13, 0x3fb8aa3b, v11
	v_fma_f32 v17, 0x3fb8aa3b, v12, -v14
	v_cmp_ngt_f32_e32 vcc_lo, 0xc2ce8ed0, v11
	v_sub_f32_e32 v14, v14, v18
	s_delay_alu instid0(VALU_DEP_4) | instskip(SKIP_2) | instid1(VALU_DEP_3)
	v_fma_f32 v15, 0x3fb8aa3b, v11, -v13
	v_rndne_f32_e32 v16, v13
	v_fmac_f32_e32 v17, 0x32a5705f, v12
	v_fmac_f32_e32 v15, 0x32a5705f, v11
	s_delay_alu instid0(VALU_DEP_2) | instskip(NEXT) | instid1(VALU_DEP_1)
	v_dual_sub_f32 v13, v13, v16 :: v_dual_add_f32 v14, v14, v17
	v_add_f32_e32 v13, v13, v15
	s_delay_alu instid0(VALU_DEP_2) | instskip(SKIP_2) | instid1(VALU_DEP_3)
	v_exp_f32_e32 v14, v14
	v_cvt_i32_f32_e32 v15, v16
	v_cvt_i32_f32_e32 v16, v18
	v_exp_f32_e32 v13, v13
	s_waitcnt_depctr 0xfff
	v_ldexp_f32 v14, v14, v16
	v_ldexp_f32 v13, v13, v15
	s_delay_alu instid0(VALU_DEP_1) | instskip(SKIP_1) | instid1(VALU_DEP_4)
	v_cndmask_b32_e32 v13, 0, v13, vcc_lo
	v_cmp_ngt_f32_e32 vcc_lo, 0xc2ce8ed0, v12
	v_cndmask_b32_e32 v14, 0, v14, vcc_lo
	v_cmp_nlt_f32_e32 vcc_lo, 0x42b17218, v11
	s_delay_alu instid0(VALU_DEP_4) | instskip(SKIP_1) | instid1(VALU_DEP_4)
	v_cndmask_b32_e32 v13, 0x7f800000, v13, vcc_lo
	v_cmp_nlt_f32_e32 vcc_lo, 0x42b17218, v12
	v_cndmask_b32_e32 v14, 0x7f800000, v14, vcc_lo
	v_cmp_le_f32_e32 vcc_lo, 0xc1a00000, v11
	s_delay_alu instid0(VALU_DEP_4) | instskip(SKIP_1) | instid1(VALU_DEP_4)
	v_cndmask_b32_e32 v11, 0, v13, vcc_lo
	v_cmp_le_f32_e32 vcc_lo, 0xc1a00000, v12
	v_cndmask_b32_e32 v12, 0, v14, vcc_lo
	s_waitcnt vmcnt(0)
	s_delay_alu instid0(VALU_DEP_3) | instskip(NEXT) | instid1(VALU_DEP_1)
	v_mul_f32_e32 v10, v10, v11
	v_dual_mul_f32 v11, s5, v11 :: v_dual_fmac_f32 v10, v5, v12
	s_delay_alu instid0(VALU_DEP_1)
	v_fmac_f32_e32 v11, v7, v12
	s_cbranch_execz .LBB36_18
	s_branch .LBB36_19
.LBB36_17:                              ;   in Loop: Header=BB36_9 Depth=1
                                        ; implicit-def: $sgpr13
                                        ; implicit-def: $vgpr10
                                        ; implicit-def: $vgpr9
                                        ; implicit-def: $vgpr11
                                        ; implicit-def: $sgpr1
                                        ; implicit-def: $sgpr19
.LBB36_18:                              ;   in Loop: Header=BB36_9 Depth=1
	s_waitcnt vmcnt(0)
	v_dual_mov_b32 v11, v7 :: v_dual_mov_b32 v10, v5
	v_mov_b32_e32 v9, v8
	s_add_i32 s1, s18, -1
	s_mov_b32 s13, 0
	s_mov_b32 s19, s16
.LBB36_19:                              ;   in Loop: Header=BB36_9 Depth=1
	s_and_not1_b32 vcc_lo, exec_lo, s13
	s_cbranch_vccz .LBB36_23
; %bb.20:                               ;   in Loop: Header=BB36_9 Depth=1
	v_dual_mov_b32 v7, v11 :: v_dual_mov_b32 v8, v9
	s_waitcnt vmcnt(0)
	v_mov_b32_e32 v5, v10
	s_mov_b32 s16, s19
	s_mov_b32 s18, s1
	s_branch .LBB36_9
.LBB36_21:
                                        ; implicit-def: $sgpr16_sgpr17
	s_load_b128 s[8:11], s[0:1], 0x44
	s_branch .LBB36_2
.LBB36_22:
                                        ; implicit-def: $sgpr18_sgpr19
	s_branch .LBB36_5
.LBB36_23:
	v_div_scale_f32 v0, null, v11, v11, v10
	s_delay_alu instid0(VALU_DEP_1) | instskip(SKIP_2) | instid1(VALU_DEP_1)
	v_rcp_f32_e32 v3, v0
	s_waitcnt_depctr 0xfff
	v_fma_f32 v4, -v0, v3, 1.0
	v_fmac_f32_e32 v3, v4, v3
	v_div_scale_f32 v4, vcc_lo, v10, v11, v10
	s_waitcnt vmcnt(0)
	s_delay_alu instid0(VALU_DEP_1) | instskip(NEXT) | instid1(VALU_DEP_1)
	v_mul_f32_e32 v5, v4, v3
	v_fma_f32 v6, -v0, v5, v4
	s_delay_alu instid0(VALU_DEP_1) | instskip(NEXT) | instid1(VALU_DEP_1)
	v_fmac_f32_e32 v5, v6, v3
	v_fma_f32 v0, -v0, v5, v4
	s_delay_alu instid0(VALU_DEP_1) | instskip(NEXT) | instid1(VALU_DEP_1)
	v_div_fmas_f32 v0, v0, v3, v5
	v_div_fixup_f32 v0, v0, v11, v10
	global_store_b32 v[1:2], v0, off
.LBB36_24:
	s_nop 0
	s_sendmsg sendmsg(MSG_DEALLOC_VGPRS)
	s_endpgm
	.section	.rodata,"a",@progbits
	.p2align	6, 0x0
	.amdhsa_kernel _ZL33flash_attn_stream_k_fixup_generalILi40ELi32ELi2EEvPfPK15HIP_vector_typeIfLj2EEiiiiS1_IjLj3EES5_S5_S5_
		.amdhsa_group_segment_fixed_size 0
		.amdhsa_private_segment_fixed_size 0
		.amdhsa_kernarg_size 336
		.amdhsa_user_sgpr_count 13
		.amdhsa_user_sgpr_dispatch_ptr 0
		.amdhsa_user_sgpr_queue_ptr 0
		.amdhsa_user_sgpr_kernarg_segment_ptr 1
		.amdhsa_user_sgpr_dispatch_id 0
		.amdhsa_user_sgpr_private_segment_size 0
		.amdhsa_wavefront_size32 1
		.amdhsa_uses_dynamic_stack 0
		.amdhsa_enable_private_segment 0
		.amdhsa_system_sgpr_workgroup_id_x 1
		.amdhsa_system_sgpr_workgroup_id_y 1
		.amdhsa_system_sgpr_workgroup_id_z 1
		.amdhsa_system_sgpr_workgroup_info 0
		.amdhsa_system_vgpr_workitem_id 0
		.amdhsa_next_free_vgpr 19
		.amdhsa_next_free_sgpr 32
		.amdhsa_reserve_vcc 1
		.amdhsa_float_round_mode_32 0
		.amdhsa_float_round_mode_16_64 0
		.amdhsa_float_denorm_mode_32 3
		.amdhsa_float_denorm_mode_16_64 3
		.amdhsa_dx10_clamp 1
		.amdhsa_ieee_mode 1
		.amdhsa_fp16_overflow 0
		.amdhsa_workgroup_processor_mode 1
		.amdhsa_memory_ordered 1
		.amdhsa_forward_progress 0
		.amdhsa_shared_vgpr_count 0
		.amdhsa_exception_fp_ieee_invalid_op 0
		.amdhsa_exception_fp_denorm_src 0
		.amdhsa_exception_fp_ieee_div_zero 0
		.amdhsa_exception_fp_ieee_overflow 0
		.amdhsa_exception_fp_ieee_underflow 0
		.amdhsa_exception_fp_ieee_inexact 0
		.amdhsa_exception_int_div_zero 0
	.end_amdhsa_kernel
	.section	.text._ZL33flash_attn_stream_k_fixup_generalILi40ELi32ELi2EEvPfPK15HIP_vector_typeIfLj2EEiiiiS1_IjLj3EES5_S5_S5_,"axG",@progbits,_ZL33flash_attn_stream_k_fixup_generalILi40ELi32ELi2EEvPfPK15HIP_vector_typeIfLj2EEiiiiS1_IjLj3EES5_S5_S5_,comdat
.Lfunc_end36:
	.size	_ZL33flash_attn_stream_k_fixup_generalILi40ELi32ELi2EEvPfPK15HIP_vector_typeIfLj2EEiiiiS1_IjLj3EES5_S5_S5_, .Lfunc_end36-_ZL33flash_attn_stream_k_fixup_generalILi40ELi32ELi2EEvPfPK15HIP_vector_typeIfLj2EEiiiiS1_IjLj3EES5_S5_S5_
                                        ; -- End function
	.section	.AMDGPU.csdata,"",@progbits
; Kernel info:
; codeLenInByte = 3220
; NumSgprs: 34
; NumVgprs: 19
; ScratchSize: 0
; MemoryBound: 0
; FloatMode: 240
; IeeeMode: 1
; LDSByteSize: 0 bytes/workgroup (compile time only)
; SGPRBlocks: 4
; VGPRBlocks: 2
; NumSGPRsForWavesPerEU: 34
; NumVGPRsForWavesPerEU: 19
; Occupancy: 16
; WaveLimiterHint : 0
; COMPUTE_PGM_RSRC2:SCRATCH_EN: 0
; COMPUTE_PGM_RSRC2:USER_SGPR: 13
; COMPUTE_PGM_RSRC2:TRAP_HANDLER: 0
; COMPUTE_PGM_RSRC2:TGID_X_EN: 1
; COMPUTE_PGM_RSRC2:TGID_Y_EN: 1
; COMPUTE_PGM_RSRC2:TGID_Z_EN: 1
; COMPUTE_PGM_RSRC2:TIDIG_COMP_CNT: 0
	.section	.text._ZL15flash_attn_tileILi40ELi40ELi16ELi2ELb0EEvPKcS1_S1_S1_S1_PKiPfP15HIP_vector_typeIfLj2EEffffjfiS5_IjLj3EEiiiiiiiiiiiliiliiiiil,"axG",@progbits,_ZL15flash_attn_tileILi40ELi40ELi16ELi2ELb0EEvPKcS1_S1_S1_S1_PKiPfP15HIP_vector_typeIfLj2EEffffjfiS5_IjLj3EEiiiiiiiiiiiliiliiiiil,comdat
	.globl	_ZL15flash_attn_tileILi40ELi40ELi16ELi2ELb0EEvPKcS1_S1_S1_S1_PKiPfP15HIP_vector_typeIfLj2EEffffjfiS5_IjLj3EEiiiiiiiiiiiliiliiiiil ; -- Begin function _ZL15flash_attn_tileILi40ELi40ELi16ELi2ELb0EEvPKcS1_S1_S1_S1_PKiPfP15HIP_vector_typeIfLj2EEffffjfiS5_IjLj3EEiiiiiiiiiiiliiliiiiil
	.p2align	8
	.type	_ZL15flash_attn_tileILi40ELi40ELi16ELi2ELb0EEvPKcS1_S1_S1_S1_PKiPfP15HIP_vector_typeIfLj2EEffffjfiS5_IjLj3EEiiiiiiiiiiiliiliiiiil,@function
_ZL15flash_attn_tileILi40ELi40ELi16ELi2ELb0EEvPKcS1_S1_S1_S1_PKiPfP15HIP_vector_typeIfLj2EEffffjfiS5_IjLj3EEiiiiiiiiiiiliiliiiiil: ; @_ZL15flash_attn_tileILi40ELi40ELi16ELi2ELb0EEvPKcS1_S1_S1_S1_PKiPfP15HIP_vector_typeIfLj2EEffffjfiS5_IjLj3EEiiiiiiiiiiiliiliiiiil
; %bb.0:
	s_clause 0x1
	s_load_b128 s[36:39], s[0:1], 0x5c
	s_load_b64 s[40:41], s[0:1], 0x80
	s_mov_b64 s[42:43], 0
	s_waitcnt lgkmcnt(0)
	s_lshr_b32 s2, s39, 31
	s_delay_alu instid0(SALU_CYCLE_1) | instskip(NEXT) | instid1(SALU_CYCLE_1)
	s_add_i32 s2, s39, s2
	s_ashr_i32 s2, s2, 1
	s_delay_alu instid0(SALU_CYCLE_1) | instskip(SKIP_1) | instid1(VALU_DEP_1)
	v_cvt_f32_u32_e32 v1, s2
	s_sub_i32 s4, 0, s2
	v_rcp_iflag_f32_e32 v1, v1
	s_waitcnt_depctr 0xfff
	v_mul_f32_e32 v1, 0x4f7ffffe, v1
	s_delay_alu instid0(VALU_DEP_1) | instskip(NEXT) | instid1(VALU_DEP_1)
	v_cvt_u32_f32_e32 v1, v1
	v_readfirstlane_b32 s3, v1
	s_delay_alu instid0(VALU_DEP_1) | instskip(NEXT) | instid1(SALU_CYCLE_1)
	s_mul_i32 s4, s4, s3
	s_mul_hi_u32 s4, s3, s4
	s_delay_alu instid0(SALU_CYCLE_1) | instskip(NEXT) | instid1(SALU_CYCLE_1)
	s_add_i32 s3, s3, s4
	s_mul_hi_u32 s3, s15, s3
	s_delay_alu instid0(SALU_CYCLE_1) | instskip(SKIP_2) | instid1(SALU_CYCLE_1)
	s_mul_i32 s4, s3, s2
	s_add_i32 s5, s3, 1
	s_sub_i32 s4, s15, s4
	s_sub_i32 s6, s4, s2
	s_cmp_ge_u32 s4, s2
	s_cselect_b32 s3, s5, s3
	s_cselect_b32 s4, s6, s4
	s_add_i32 s5, s3, 1
	s_cmp_ge_u32 s4, s2
	s_cselect_b32 s33, s5, s3
	s_abs_i32 s2, s41
	s_abs_i32 s7, s39
	v_cvt_f32_u32_e32 v1, s2
	s_sub_i32 s4, 0, s2
	s_lshl_b32 s5, s15, 1
	s_mul_i32 s6, s33, s39
	s_delay_alu instid0(VALU_DEP_1) | instskip(SKIP_3) | instid1(VALU_DEP_1)
	v_rcp_iflag_f32_e32 v1, v1
	s_sub_i32 s34, s5, s6
	s_waitcnt_depctr 0xfff
	v_mul_f32_e32 v1, 0x4f7ffffe, v1
	v_cvt_u32_f32_e32 v1, v1
	s_delay_alu instid0(VALU_DEP_1) | instskip(NEXT) | instid1(VALU_DEP_1)
	v_readfirstlane_b32 s3, v1
	s_mul_i32 s4, s4, s3
	s_delay_alu instid0(SALU_CYCLE_1) | instskip(NEXT) | instid1(SALU_CYCLE_1)
	s_mul_hi_u32 s4, s3, s4
	s_add_i32 s3, s3, s4
	s_xor_b32 s4, s39, s41
	s_mul_hi_u32 s3, s7, s3
	s_ashr_i32 s4, s4, 31
	s_mul_i32 s5, s3, s2
	s_add_i32 s6, s3, 1
	s_sub_i32 s5, s7, s5
	s_delay_alu instid0(SALU_CYCLE_1)
	s_sub_i32 s7, s5, s2
	s_cmp_ge_u32 s5, s2
	s_cselect_b32 s3, s6, s3
	s_cselect_b32 s5, s7, s5
	s_add_i32 s6, s3, 1
	s_cmp_ge_u32 s5, s2
	s_cselect_b32 s2, s6, s3
	s_delay_alu instid0(SALU_CYCLE_1) | instskip(NEXT) | instid1(SALU_CYCLE_1)
	s_xor_b32 s2, s2, s4
	s_sub_i32 s9, s2, s4
	s_clause 0x1
	s_load_b512 s[16:31], s[0:1], 0x0
	s_load_b64 s[2:3], s[0:1], 0xb8
	s_abs_i32 s8, s9
	s_delay_alu instid0(SALU_CYCLE_1) | instskip(NEXT) | instid1(VALU_DEP_1)
	v_cvt_f32_u32_e32 v1, s8
	v_rcp_iflag_f32_e32 v1, v1
	s_waitcnt_depctr 0xfff
	v_mul_f32_e32 v1, 0x4f7ffffe, v1
	s_waitcnt lgkmcnt(0)
	s_cmp_eq_u64 s[22:23], 0
	s_delay_alu instid0(VALU_DEP_1) | instskip(NEXT) | instid1(VALU_DEP_1)
	v_cvt_u32_f32_e32 v1, v1
	v_readfirstlane_b32 s10, v1
	s_cbranch_scc1 .LBB37_2
; %bb.1:
	s_abs_i32 s2, s2
	s_abs_i32 s6, s33
	v_cvt_f32_u32_e32 v1, s2
	s_sub_i32 s5, 0, s2
	s_delay_alu instid0(VALU_DEP_1) | instskip(SKIP_2) | instid1(VALU_DEP_1)
	v_rcp_iflag_f32_e32 v1, v1
	s_waitcnt_depctr 0xfff
	v_mul_f32_e32 v1, 0x4f7ffffe, v1
	v_cvt_u32_f32_e32 v1, v1
	s_delay_alu instid0(VALU_DEP_1) | instskip(NEXT) | instid1(VALU_DEP_1)
	v_readfirstlane_b32 s4, v1
	s_mul_i32 s5, s5, s4
	s_delay_alu instid0(SALU_CYCLE_1) | instskip(NEXT) | instid1(SALU_CYCLE_1)
	s_mul_hi_u32 s5, s4, s5
	s_add_i32 s7, s4, s5
	s_load_b64 s[4:5], s[0:1], 0xc8
	s_mul_hi_u32 s7, s6, s7
	s_delay_alu instid0(SALU_CYCLE_1) | instskip(NEXT) | instid1(SALU_CYCLE_1)
	s_mul_i32 s7, s7, s2
	s_sub_i32 s6, s6, s7
	s_ashr_i32 s7, s33, 31
	s_sub_i32 s11, s6, s2
	s_cmp_ge_u32 s6, s2
	s_cselect_b32 s6, s11, s6
	s_delay_alu instid0(SALU_CYCLE_1) | instskip(SKIP_2) | instid1(SALU_CYCLE_1)
	s_sub_i32 s11, s6, s2
	s_cmp_ge_u32 s6, s2
	s_cselect_b32 s2, s11, s6
	s_xor_b32 s2, s2, s7
	s_delay_alu instid0(SALU_CYCLE_1)
	s_sub_i32 s2, s2, s7
	s_waitcnt lgkmcnt(0)
	s_mul_i32 s5, s2, s5
	s_mul_hi_u32 s6, s2, s4
	s_ashr_i32 s7, s2, 31
	s_add_i32 s5, s6, s5
	s_mul_i32 s7, s7, s4
	s_mul_i32 s2, s2, s4
	s_add_i32 s5, s5, s7
	s_add_u32 s42, s22, s2
	s_addc_u32 s43, s23, s5
.LBB37_2:
	s_clause 0x1
	s_load_b128 s[44:47], s[0:1], 0x70
	s_load_b32 s11, s[0:1], 0x40
	v_and_b32_e32 v17, 0x3ff, v0
	v_bfe_u32 v13, v0, 10, 10
	s_lshl_b32 s15, s13, 4
	s_delay_alu instid0(VALU_DEP_2) | instskip(SKIP_1) | instid1(VALU_DEP_3)
	v_lshlrev_b32_e32 v12, 1, v17
	v_cmp_gt_u32_e64 s2, 20, v17
	v_lshl_add_u32 v4, v13, 1, s15
	s_delay_alu instid0(VALU_DEP_3)
	v_lshlrev_b32_e32 v0, 2, v12
	s_waitcnt lgkmcnt(0)
	s_mul_i32 s5, s33, s46
	s_mul_i32 s6, s34, s45
	s_ashr_i32 s7, s5, 31
	s_add_u32 s5, s16, s5
	s_addc_u32 s7, s17, s7
	s_ashr_i32 s16, s6, 31
	s_add_u32 s12, s5, s6
	s_mov_b32 s4, s45
	s_addc_u32 s16, s7, s16
	s_ashr_i32 s5, s45, 31
	s_ashr_i32 s45, s44, 31
	s_lshr_b64 s[4:5], s[4:5], 2
	s_lshr_b64 s[6:7], s[44:45], 2
	s_and_saveexec_b32 s17, s2
	s_cbranch_execz .LBB37_4
; %bb.3:
	v_mul_hi_u32 v1, v4, s36
	s_lshl_b64 s[22:23], s[4:5], 2
	s_delay_alu instid0(SALU_CYCLE_1) | instskip(SKIP_1) | instid1(VALU_DEP_1)
	s_add_u32 s22, s12, s22
	s_addc_u32 s23, s16, s23
	v_add_nc_u32_e32 v1, v4, v1
	s_delay_alu instid0(VALU_DEP_1) | instskip(NEXT) | instid1(VALU_DEP_1)
	v_lshrrev_b32_e32 v1, s37, v1
	v_mul_lo_u32 v1, v1, s38
	s_delay_alu instid0(VALU_DEP_1) | instskip(NEXT) | instid1(VALU_DEP_1)
	v_sub_nc_u32_e32 v3, v4, v1
	v_mad_u64_u32 v[1:2], null, s6, v3, 0
	s_delay_alu instid0(VALU_DEP_1) | instskip(NEXT) | instid1(VALU_DEP_1)
	v_mad_u64_u32 v[5:6], null, s7, v3, v[2:3]
	v_mov_b32_e32 v2, v5
	s_delay_alu instid0(VALU_DEP_1) | instskip(NEXT) | instid1(VALU_DEP_1)
	v_lshlrev_b64 v[1:2], 2, v[1:2]
	v_add_co_u32 v3, vcc_lo, s12, v1
	s_delay_alu instid0(VALU_DEP_2) | instskip(SKIP_2) | instid1(VALU_DEP_4)
	v_add_co_ci_u32_e32 v5, vcc_lo, s16, v2, vcc_lo
	v_add_co_u32 v6, vcc_lo, s22, v1
	v_add_co_ci_u32_e32 v7, vcc_lo, s23, v2, vcc_lo
	v_add_co_u32 v1, vcc_lo, v3, v0
	s_delay_alu instid0(VALU_DEP_4) | instskip(NEXT) | instid1(VALU_DEP_4)
	v_add_co_ci_u32_e32 v2, vcc_lo, 0, v5, vcc_lo
	v_add_co_u32 v5, vcc_lo, v6, v0
	s_delay_alu instid0(VALU_DEP_4) | instskip(SKIP_4) | instid1(VALU_DEP_1)
	v_add_co_ci_u32_e32 v6, vcc_lo, 0, v7, vcc_lo
	s_clause 0x1
	global_load_b64 v[1:2], v[1:2], off
	global_load_b64 v[5:6], v[5:6], off
	v_mul_u32_u24_e32 v3, 0x50, v13
	v_add_lshl_u32 v3, v3, v17, 2
	s_waitcnt vmcnt(1)
	v_fma_mixlo_f16 v1, v1, s11, 0
	s_waitcnt vmcnt(0)
	v_fma_mixlo_f16 v5, v5, s11, 0
	s_delay_alu instid0(VALU_DEP_2) | instskip(NEXT) | instid1(VALU_DEP_2)
	v_fma_mixhi_f16 v1, v2, s11, 0
	v_fma_mixhi_f16 v5, v6, s11, 0
	v_add_nc_u32_e32 v2, 0xc00, v3
	ds_store_2addr_b32 v2, v1, v5 offset0:24 offset1:44
.LBB37_4:
	s_or_b32 exec_lo, exec_lo, s17
	v_lshlrev_b32_e32 v1, 2, v13
	s_delay_alu instid0(VALU_DEP_1) | instskip(NEXT) | instid1(VALU_DEP_1)
	v_or_b32_e32 v2, 2, v1
	v_lshrrev_b32_e32 v16, 1, v2
	s_and_saveexec_b32 s17, s2
	s_cbranch_execz .LBB37_6
; %bb.5:
	s_delay_alu instid0(VALU_DEP_1) | instskip(SKIP_1) | instid1(VALU_DEP_2)
	v_add_nc_u32_e32 v3, s15, v16
	v_mul_u32_u24_e32 v2, 20, v2
	v_mul_hi_u32 v5, v3, s36
	s_delay_alu instid0(VALU_DEP_2) | instskip(NEXT) | instid1(VALU_DEP_2)
	v_add_lshl_u32 v2, v2, v17, 2
	v_add_nc_u32_e32 v5, v3, v5
	s_delay_alu instid0(VALU_DEP_1) | instskip(NEXT) | instid1(VALU_DEP_1)
	v_lshrrev_b32_e32 v5, s37, v5
	v_mul_lo_u32 v5, v5, s38
	s_delay_alu instid0(VALU_DEP_1) | instskip(NEXT) | instid1(VALU_DEP_1)
	v_sub_nc_u32_e32 v8, v3, v5
	v_mad_u64_u32 v[5:6], null, s6, v8, 0
	s_delay_alu instid0(VALU_DEP_1) | instskip(NEXT) | instid1(VALU_DEP_1)
	v_mov_b32_e32 v3, v6
	v_mad_u64_u32 v[6:7], null, s7, v8, v[3:4]
	s_delay_alu instid0(VALU_DEP_1) | instskip(NEXT) | instid1(VALU_DEP_1)
	v_lshlrev_b64 v[5:6], 2, v[5:6]
	v_add_co_u32 v3, vcc_lo, s12, v5
	s_delay_alu instid0(VALU_DEP_2) | instskip(NEXT) | instid1(VALU_DEP_2)
	v_add_co_ci_u32_e32 v6, vcc_lo, s16, v6, vcc_lo
	v_add_co_u32 v5, vcc_lo, v3, v0
	s_delay_alu instid0(VALU_DEP_2) | instskip(SKIP_3) | instid1(VALU_DEP_1)
	v_add_co_ci_u32_e32 v6, vcc_lo, 0, v6, vcc_lo
	global_load_b64 v[5:6], v[5:6], off
	s_waitcnt vmcnt(0)
	v_fma_mixlo_f16 v3, v5, s11, 0
	v_fma_mixhi_f16 v3, v6, s11, 0
	ds_store_b32 v2, v3 offset:3168
.LBB37_6:
	s_or_b32 exec_lo, exec_lo, s17
	v_or_b32_e32 v15, 3, v1
	s_and_saveexec_b32 s17, s2
	s_cbranch_execz .LBB37_8
; %bb.7:
	s_delay_alu instid0(VALU_DEP_1) | instskip(SKIP_1) | instid1(SALU_CYCLE_1)
	v_lshrrev_b32_e32 v1, 1, v15
	s_lshl_b64 s[4:5], s[4:5], 2
	s_add_u32 s4, s12, s4
	s_addc_u32 s5, s16, s5
	s_delay_alu instid0(VALU_DEP_1) | instskip(NEXT) | instid1(VALU_DEP_1)
	v_add_nc_u32_e32 v1, s15, v1
	v_mul_hi_u32 v2, v1, s36
	s_delay_alu instid0(VALU_DEP_1) | instskip(NEXT) | instid1(VALU_DEP_1)
	v_add_nc_u32_e32 v2, v1, v2
	v_lshrrev_b32_e32 v2, s37, v2
	s_delay_alu instid0(VALU_DEP_1) | instskip(NEXT) | instid1(VALU_DEP_1)
	v_mul_lo_u32 v2, v2, s38
	v_sub_nc_u32_e32 v3, v1, v2
	s_delay_alu instid0(VALU_DEP_1) | instskip(NEXT) | instid1(VALU_DEP_1)
	v_mad_u64_u32 v[1:2], null, s6, v3, 0
	v_mad_u64_u32 v[5:6], null, s7, v3, v[2:3]
	s_delay_alu instid0(VALU_DEP_1) | instskip(NEXT) | instid1(VALU_DEP_1)
	v_mov_b32_e32 v2, v5
	v_lshlrev_b64 v[1:2], 2, v[1:2]
	s_delay_alu instid0(VALU_DEP_1) | instskip(NEXT) | instid1(VALU_DEP_2)
	v_add_co_u32 v1, vcc_lo, s4, v1
	v_add_co_ci_u32_e32 v2, vcc_lo, s5, v2, vcc_lo
	s_delay_alu instid0(VALU_DEP_2) | instskip(NEXT) | instid1(VALU_DEP_2)
	v_add_co_u32 v0, vcc_lo, v1, v0
	v_add_co_ci_u32_e32 v1, vcc_lo, 0, v2, vcc_lo
	v_mul_u32_u24_e32 v2, 20, v15
	global_load_b64 v[0:1], v[0:1], off
	s_waitcnt vmcnt(0)
	v_fma_mixlo_f16 v0, v0, s11, 0
	s_delay_alu instid0(VALU_DEP_1)
	v_fma_mixhi_f16 v0, v1, s11, 0
	v_add_lshl_u32 v1, v2, v17, 2
	ds_store_b32 v1, v0 offset:3168
.LBB37_8:
	s_or_b32 exec_lo, exec_lo, s17
	s_cmp_eq_u64 s[26:27], 0
	s_waitcnt lgkmcnt(0)
	s_barrier
	buffer_gl0_inv
	s_cbranch_scc1 .LBB37_10
; %bb.9:
	s_load_b32 s4, s[0:1], 0xd0
	s_mov_b32 s5, 0
	s_waitcnt lgkmcnt(0)
	s_mul_i32 s4, s4, s33
	s_delay_alu instid0(SALU_CYCLE_1) | instskip(NEXT) | instid1(SALU_CYCLE_1)
	s_add_i32 s4, s4, s13
	s_lshl_b64 s[4:5], s[4:5], 2
	s_delay_alu instid0(SALU_CYCLE_1)
	s_add_u32 s4, s26, s4
	s_addc_u32 s5, s27, s5
	s_load_b32 s40, s[4:5], 0x0
.LBB37_10:
	v_mbcnt_lo_u32_b32 v14, -1, 0
	s_lshl_b32 s13, s14, 5
	s_waitcnt lgkmcnt(0)
	s_cmp_lt_i32 s13, s40
	s_cbranch_scc1 .LBB37_12
; %bb.11:
	v_mbcnt_lo_u32_b32 v5, -1, 0
	v_mov_b32_e32 v22, 32
	s_mov_b32 s4, 0
	s_mov_b32 s5, 0xfeffffff
	s_delay_alu instid0(VALU_DEP_2)
	v_xor_b32_e32 v27, 16, v5
	v_xor_b32_e32 v26, 8, v5
	;; [unrolled: 1-line block ×5, first 2 shown]
	s_branch .LBB37_13
.LBB37_12:
	s_mov_b32 s4, -1
                                        ; implicit-def: $sgpr5
                                        ; implicit-def: $vgpr5
                                        ; implicit-def: $vgpr22
                                        ; implicit-def: $vgpr27
                                        ; implicit-def: $vgpr26
                                        ; implicit-def: $vgpr25
                                        ; implicit-def: $vgpr24
                                        ; implicit-def: $vgpr23
.LBB37_13:
	s_delay_alu instid0(SALU_CYCLE_1) | instskip(SKIP_2) | instid1(VALU_DEP_3)
	v_cndmask_b32_e64 v0, 0, 1, s4
	v_dual_mov_b32 v3, s5 :: v_dual_mov_b32 v48, s4
	v_dual_mov_b32 v21, s4 :: v_dual_mov_b32 v2, s5
	v_cmp_ne_u32_e32 vcc_lo, 1, v0
	v_dual_mov_b32 v1, s5 :: v_dual_mov_b32 v0, s5
	v_dual_mov_b32 v50, s4 :: v_dual_mov_b32 v49, s4
	;; [unrolled: 1-line block ×4, first 2 shown]
	s_cbranch_vccnz .LBB37_26
; %bb.14:
	s_clause 0x1
	s_load_b128 s[4:7], s[0:1], 0x98
	s_load_b64 s[16:17], s[0:1], 0x8c
	s_sub_i32 s11, 0, s8
	v_mul_hi_u32 v0, s36, v4
	v_dual_mov_b32 v18, 0 :: v_dual_add_nc_u32 v5, 1, v4
	s_mul_i32 s11, s11, s10
	s_abs_i32 s12, s34
	s_mul_hi_u32 s11, s10, s11
	s_delay_alu instid0(VALU_DEP_1)
	v_mul_hi_u32 v1, s36, v5
	s_add_i32 s10, s10, s11
	s_ashr_i32 s11, s3, 1
	s_mul_hi_u32 s3, s12, s10
	s_ashr_i32 s10, s33, 31
	v_dual_mov_b32 v21, 0 :: v_dual_add_nc_u32 v0, v4, v0
	s_ashr_i32 s35, s34, 31
	s_ashr_i32 s9, s9, 31
	s_load_b64 s[26:27], s[0:1], 0xa8
	s_mul_i32 s41, s3, s8
	s_waitcnt lgkmcnt(0)
	s_ashr_i32 s22, s6, 2
	s_mul_i32 s5, s33, s5
	s_mul_hi_u32 s6, s33, s4
	s_ashr_i32 s23, s16, 2
	s_mul_i32 s16, s10, s4
	s_add_i32 s5, s6, s5
	s_mul_i32 s4, s33, s4
	s_add_i32 s5, s5, s16
	s_add_u32 s4, s18, s4
	v_lshrrev_b32_e32 v3, s37, v0
	s_addc_u32 s5, s19, s5
	s_xor_b32 s6, s35, s9
	s_sub_i32 s9, s12, s41
	v_dual_mov_b32 v44, 0xfeffffff :: v_dual_add_nc_u32 v1, v5, v1
	s_add_i32 s12, s3, 1
	s_sub_i32 s16, s9, s8
	v_lshrrev_b32_e32 v2, 2, v17
	s_cmp_ge_u32 s9, s8
	v_mul_lo_u32 v8, v3, s38
	s_cselect_b32 s3, s12, s3
	v_lshlrev_b32_e32 v28, 2, v17
	v_lshrrev_b32_e32 v1, s37, v1
	s_cselect_b32 s9, s16, s9
	s_add_i32 s12, s3, 1
	v_lshl_add_u32 v6, v13, 5, v17
	v_lshl_add_u32 v7, v13, 3, v2
	s_cmp_ge_u32 s9, s8
	v_dual_mov_b32 v22, 32 :: v_dual_and_b32 v19, 12, v28
	s_cselect_b32 s3, s12, s3
	v_mul_lo_u32 v9, v1, s38
	s_xor_b32 s3, s3, s6
	v_mul_lo_u32 v0, s23, v7
	v_mul_lo_u32 v2, s23, v6
	v_sub_nc_u32_e32 v4, v4, v8
	v_mul_lo_u32 v8, s22, v6
	v_mul_lo_u32 v10, s22, v7
	s_sub_i32 s3, s3, s6
	v_lshlrev_b32_e32 v11, 2, v19
	v_lshl_add_u32 v35, v13, 8, 0x1660
	v_dual_mov_b32 v47, 0xfeffffff :: v_dual_lshlrev_b32 v20, 3, v17
	s_mul_i32 s6, s3, s17
	s_mul_i32 s8, s33, s27
	s_mul_hi_u32 s9, s33, s26
	s_ashr_i32 s16, s6, 31
	v_sub_nc_u32_e32 v5, v5, v9
	s_add_u32 s18, s4, s6
	s_mul_i32 s10, s10, s26
	s_addc_u32 s19, s5, s16
	s_add_i32 s4, s9, s8
	v_ashrrev_i32_e32 v1, 31, v0
	v_ashrrev_i32_e32 v3, 31, v2
	;; [unrolled: 1-line block ×3, first 2 shown]
	v_dual_mov_b32 v45, 0xfeffffff :: v_dual_add_nc_u32 v38, v35, v20
	v_mov_b32_e32 v20, 0
	v_mad_u32_u24 v31, 0x60, v7, v11
	v_mad_u32_u24 v37, 0x50, v7, v11
	v_ashrrev_i32_e32 v11, 31, v10
	s_mul_i32 s12, s33, s26
	s_mul_i32 s3, s3, s7
	s_add_i32 s4, s4, s10
	s_add_u32 s5, s20, s12
	v_mul_lo_u32 v33, v4, s11
	v_mul_lo_u32 v34, v5, s11
	s_addc_u32 s4, s21, s4
	s_ashr_i32 s6, s3, 31
	s_add_u32 s20, s5, s3
	v_cmp_gt_u32_e32 vcc_lo, 32, v6
	v_cmp_gt_u32_e64 s3, 32, v7
	v_mad_u32_u24 v32, 0x60, v6, 64
	v_mad_u32_u24 v36, 0x50, v6, 64
	v_lshlrev_b64 v[4:5], 2, v[2:3]
	v_lshlrev_b64 v[6:7], 2, v[0:1]
	;; [unrolled: 1-line block ×4, first 2 shown]
	v_mul_u32_u24_e32 v29, 0x60, v17
	v_mul_u32_u24_e32 v30, 0x140, v13
	v_xor_b32_e32 v27, 16, v14
	v_xor_b32_e32 v26, 8, v14
	;; [unrolled: 1-line block ×5, first 2 shown]
	v_dual_mov_b32 v46, 0xfeffffff :: v_dual_lshlrev_b32 v39, 2, v19
	v_mov_b32_e32 v19, 0
	v_dual_mov_b32 v43, 0 :: v_dual_mov_b32 v42, 0
	v_dual_mov_b32 v41, 0 :: v_dual_mov_b32 v40, 0
	s_addc_u32 s21, s4, s6
	s_add_u32 s16, s0, 0xd0
	s_addc_u32 s17, s1, 0
.LBB37_15:                              ; =>This Inner Loop Header: Depth=1
	s_mul_hi_i32 s5, s13, s23
	s_mul_i32 s4, s13, s23
	s_delay_alu instid0(SALU_CYCLE_1) | instskip(NEXT) | instid1(SALU_CYCLE_1)
	s_lshl_b64 s[6:7], s[4:5], 2
	s_add_u32 s5, s18, s6
	s_addc_u32 s6, s19, s7
	s_and_saveexec_b32 s7, vcc_lo
	s_cbranch_execz .LBB37_17
; %bb.16:                               ;   in Loop: Header=BB37_15 Depth=1
	v_add_co_u32 v0, s4, s5, v4
	s_delay_alu instid0(VALU_DEP_1)
	v_add_co_ci_u32_e64 v1, s4, s6, v5, s4
	global_load_b128 v[0:3], v[0:1], off offset:64
	s_waitcnt vmcnt(0)
	ds_store_b128 v32, v[0:3]
.LBB37_17:                              ;   in Loop: Header=BB37_15 Depth=1
	s_or_b32 exec_lo, exec_lo, s7
	s_and_saveexec_b32 s7, s3
	s_cbranch_execz .LBB37_19
; %bb.18:                               ;   in Loop: Header=BB37_15 Depth=1
	v_add_co_u32 v0, s4, s5, v6
	s_delay_alu instid0(VALU_DEP_1) | instskip(NEXT) | instid1(VALU_DEP_2)
	v_add_co_ci_u32_e64 v1, s4, s6, v7, s4
	v_add_co_u32 v0, s4, v0, v39
	s_delay_alu instid0(VALU_DEP_1)
	v_add_co_ci_u32_e64 v1, s4, 0, v1, s4
	global_load_b128 v[0:3], v[0:1], off
	s_waitcnt vmcnt(0)
	ds_store_b128 v31, v[0:3]
.LBB37_19:                              ;   in Loop: Header=BB37_15 Depth=1
	s_or_b32 exec_lo, exec_lo, s7
	s_waitcnt lgkmcnt(0)
	s_barrier
	buffer_gl0_inv
	ds_load_b128 v[0:3], v29
	ds_load_b128 v[48:51], v30 offset:3168
	ds_load_b128 v[52:55], v30 offset:3248
	;; [unrolled: 1-line block ×4, first 2 shown]
	v_dual_mov_b32 v68, 0 :: v_dual_mov_b32 v69, 0
	v_dual_mov_b32 v70, 0 :: v_dual_mov_b32 v71, 0
	v_add_nc_u32_e32 v65, s13, v17
	s_mul_hi_i32 s27, s13, s22
	s_mul_i32 s26, s13, s22
	s_waitcnt lgkmcnt(3)
	;;#ASMSTART
	v_dot2_f32_f16 v68, v0, v48, v68
	;;#ASMEND
	;;#ASMSTART
	v_dot2_f32_f16 v68, v1, v49, v68
	;;#ASMEND
	;;#ASMSTART
	v_dot2_f32_f16 v68, v2, v50, v68
	;;#ASMEND
	;;#ASMSTART
	v_dot2_f32_f16 v68, v3, v51, v68
	;;#ASMEND
	s_waitcnt lgkmcnt(2)
	;;#ASMSTART
	v_dot2_f32_f16 v69, v0, v52, v69
	;;#ASMEND
	;;#ASMSTART
	v_dot2_f32_f16 v69, v1, v53, v69
	;;#ASMEND
	;;#ASMSTART
	v_dot2_f32_f16 v69, v2, v54, v69
	;;#ASMEND
	;;#ASMSTART
	v_dot2_f32_f16 v69, v3, v55, v69
	;;#ASMEND
	;; [unrolled: 13-line block ×4, first 2 shown]
	ds_load_b128 v[0:3], v29 offset:16
	ds_load_b128 v[48:51], v30 offset:3184
	;; [unrolled: 1-line block ×5, first 2 shown]
	s_lshl_b64 s[26:27], s[26:27], 2
	s_waitcnt lgkmcnt(3)
	;;#ASMSTART
	v_dot2_f32_f16 v68, v0, v48, v68
	;;#ASMEND
	;;#ASMSTART
	v_dot2_f32_f16 v68, v1, v49, v68
	;;#ASMEND
	;;#ASMSTART
	v_dot2_f32_f16 v68, v2, v50, v68
	;;#ASMEND
	;;#ASMSTART
	v_dot2_f32_f16 v68, v3, v51, v68
	;;#ASMEND
	s_waitcnt lgkmcnt(2)
	;;#ASMSTART
	v_dot2_f32_f16 v69, v0, v52, v69
	;;#ASMEND
	;;#ASMSTART
	v_dot2_f32_f16 v69, v1, v53, v69
	;;#ASMEND
	;;#ASMSTART
	v_dot2_f32_f16 v69, v2, v54, v69
	;;#ASMEND
	;;#ASMSTART
	v_dot2_f32_f16 v69, v3, v55, v69
	;;#ASMEND
	;; [unrolled: 13-line block ×4, first 2 shown]
	ds_load_b128 v[0:3], v29 offset:32
	ds_load_b128 v[48:51], v30 offset:3200
	;; [unrolled: 1-line block ×5, first 2 shown]
	s_add_u32 s26, s20, s26
	s_addc_u32 s27, s21, s27
	s_waitcnt lgkmcnt(3)
	;;#ASMSTART
	v_dot2_f32_f16 v68, v0, v48, v68
	;;#ASMEND
	;;#ASMSTART
	v_dot2_f32_f16 v68, v1, v49, v68
	;;#ASMEND
	;;#ASMSTART
	v_dot2_f32_f16 v68, v2, v50, v68
	;;#ASMEND
	;;#ASMSTART
	v_dot2_f32_f16 v68, v3, v51, v68
	;;#ASMEND
	s_waitcnt lgkmcnt(2)
	;;#ASMSTART
	v_dot2_f32_f16 v69, v0, v52, v69
	;;#ASMEND
	;;#ASMSTART
	v_dot2_f32_f16 v69, v1, v53, v69
	;;#ASMEND
	;;#ASMSTART
	v_dot2_f32_f16 v69, v2, v54, v69
	;;#ASMEND
	;;#ASMSTART
	v_dot2_f32_f16 v69, v3, v55, v69
	;;#ASMEND
	;; [unrolled: 13-line block ×4, first 2 shown]
	ds_load_b128 v[0:3], v29 offset:48
	ds_load_b128 v[48:51], v30 offset:3216
	ds_load_b128 v[52:55], v30 offset:3296
	ds_load_b128 v[56:59], v30 offset:3376
	ds_load_b128 v[60:63], v30 offset:3456
	s_waitcnt lgkmcnt(3)
	;;#ASMSTART
	v_dot2_f32_f16 v68, v0, v48, v68
	;;#ASMEND
	;;#ASMSTART
	v_dot2_f32_f16 v68, v1, v49, v68
	;;#ASMEND
	;;#ASMSTART
	v_dot2_f32_f16 v68, v2, v50, v68
	;;#ASMEND
	;;#ASMSTART
	v_dot2_f32_f16 v68, v3, v51, v68
	;;#ASMEND
	s_waitcnt lgkmcnt(2)
	;;#ASMSTART
	v_dot2_f32_f16 v69, v0, v52, v69
	;;#ASMEND
	;;#ASMSTART
	v_dot2_f32_f16 v69, v1, v53, v69
	;;#ASMEND
	;;#ASMSTART
	v_dot2_f32_f16 v69, v2, v54, v69
	;;#ASMEND
	;;#ASMSTART
	v_dot2_f32_f16 v69, v3, v55, v69
	;;#ASMEND
	;; [unrolled: 13-line block ×4, first 2 shown]
	ds_load_b128 v[0:3], v29 offset:64
	ds_load_b128 v[48:51], v30 offset:3232
	;; [unrolled: 1-line block ×5, first 2 shown]
	s_waitcnt lgkmcnt(3)
	;;#ASMSTART
	v_dot2_f32_f16 v68, v0, v48, v68
	;;#ASMEND
	;;#ASMSTART
	v_dot2_f32_f16 v68, v1, v49, v68
	;;#ASMEND
	;; [unrolled: 3-line block ×4, first 2 shown]
	s_waitcnt lgkmcnt(2)
	;;#ASMSTART
	v_dot2_f32_f16 v69, v0, v52, v69
	;;#ASMEND
	;;#ASMSTART
	v_dot2_f32_f16 v69, v1, v53, v69
	;;#ASMEND
	;; [unrolled: 3-line block ×4, first 2 shown]
	s_waitcnt lgkmcnt(1)
	;;#ASMSTART
	v_dot2_f32_f16 v70, v0, v56, v70
	;;#ASMEND
	;;#ASMSTART
	v_dot2_f32_f16 v70, v1, v57, v70
	;;#ASMEND
	v_max_f32_e32 v48, v44, v44
	v_add_nc_u32_e32 v64, v65, v33
	;;#ASMSTART
	v_dot2_f32_f16 v70, v2, v58, v70
	;;#ASMEND
	;;#ASMSTART
	v_dot2_f32_f16 v70, v3, v59, v70
	;;#ASMEND
	s_waitcnt lgkmcnt(0)
	;;#ASMSTART
	v_dot2_f32_f16 v71, v0, v60, v71
	;;#ASMEND
	v_dual_max_f32 v51, v47, v47 :: v_dual_add_nc_u32 v66, v65, v34
	;;#ASMSTART
	v_dot2_f32_f16 v71, v1, v61, v71
	;;#ASMEND
	;;#ASMSTART
	v_dot2_f32_f16 v71, v2, v62, v71
	;;#ASMEND
	;;#ASMSTART
	v_dot2_f32_f16 v71, v3, v63, v71
	;;#ASMEND
	v_max_f32_e32 v3, v46, v46
	v_ashrrev_i32_e32 v65, 31, v64
	v_ashrrev_i32_e32 v67, 31, v66
	s_delay_alu instid0(VALU_DEP_2) | instskip(NEXT) | instid1(VALU_DEP_2)
	v_lshlrev_b64 v[64:65], 1, v[64:65]
	v_lshlrev_b64 v[66:67], 1, v[66:67]
	s_delay_alu instid0(VALU_DEP_2) | instskip(NEXT) | instid1(VALU_DEP_1)
	v_add_co_u32 v64, s4, s42, v64
	v_add_co_ci_u32_e64 v65, s4, s43, v65, s4
	s_delay_alu instid0(VALU_DEP_3) | instskip(NEXT) | instid1(VALU_DEP_1)
	v_add_co_u32 v66, s4, s42, v66
	v_add_co_ci_u32_e64 v67, s4, s43, v67, s4
	s_clause 0x1
	flat_load_u16 v0, v[64:65]
	flat_load_u16 v1, v[66:67]
	v_cmp_gt_i32_e64 s4, 32, v27
	s_waitcnt vmcnt(0) lgkmcnt(0)
	s_barrier
	buffer_gl0_inv
	v_cndmask_b32_e64 v2, v14, v27, s4
	v_cmp_gt_i32_e64 s4, 32, v26
	v_cvt_f32_f16_e32 v0, v0
	v_cvt_f32_f16_e32 v1, v1
	s_delay_alu instid0(VALU_DEP_2) | instskip(NEXT) | instid1(VALU_DEP_2)
	v_dual_max_f32 v49, v45, v45 :: v_dual_add_f32 v50, v68, v0
	v_dual_add_f32 v53, v69, v0 :: v_dual_add_f32 v54, v71, v1
	v_add_f32_e32 v55, v70, v1
	v_lshlrev_b32_e32 v1, 2, v2
	s_delay_alu instid0(VALU_DEP_4) | instskip(NEXT) | instid1(VALU_DEP_4)
	v_add_f32_e32 v0, 0x40051340, v50
	v_add_f32_e32 v2, 0x40051340, v53
	;; [unrolled: 1-line block ×4, first 2 shown]
	s_delay_alu instid0(VALU_DEP_4) | instskip(NEXT) | instid1(VALU_DEP_3)
	v_max_f32_e32 v0, v48, v0
	v_dual_max_f32 v2, v3, v2 :: v_dual_max_f32 v3, v49, v52
	s_delay_alu instid0(VALU_DEP_3)
	v_max_f32_e32 v48, v51, v56
	v_cndmask_b32_e64 v56, v14, v26, s4
	v_cmp_gt_i32_e64 s4, 32, v25
	ds_bpermute_b32 v51, v1, v2
	ds_bpermute_b32 v52, v1, v3
	s_waitcnt lgkmcnt(1)
	v_max_f32_e32 v51, v51, v51
	ds_bpermute_b32 v49, v1, v0
	ds_bpermute_b32 v1, v1, v48
	s_waitcnt lgkmcnt(2)
	v_max_f32_e32 v52, v52, v52
	s_delay_alu instid0(VALU_DEP_1)
	v_max_f32_e32 v3, v3, v52
	s_waitcnt lgkmcnt(1)
	v_max_f32_e32 v49, v49, v49
	s_waitcnt lgkmcnt(0)
	v_dual_max_f32 v1, v1, v1 :: v_dual_lshlrev_b32 v56, 2, v56
	v_max_f32_e32 v2, v2, v51
	s_delay_alu instid0(VALU_DEP_3)
	v_max_f32_e32 v0, v0, v49
	ds_bpermute_b32 v49, v56, v2
	s_waitcnt lgkmcnt(0)
	v_max_f32_e32 v49, v49, v49
	v_max_f32_e32 v1, v48, v1
	ds_bpermute_b32 v48, v56, v0
	ds_bpermute_b32 v51, v56, v3
	;; [unrolled: 1-line block ×3, first 2 shown]
	v_cndmask_b32_e64 v56, v14, v25, s4
	v_cmp_gt_i32_e64 s4, 32, v24
	s_waitcnt lgkmcnt(1)
	s_delay_alu instid0(VALU_DEP_2) | instskip(SKIP_2) | instid1(VALU_DEP_2)
	v_dual_max_f32 v51, v51, v51 :: v_dual_lshlrev_b32 v56, 2, v56
	v_max_f32_e32 v48, v48, v48
	s_waitcnt lgkmcnt(0)
	v_dual_max_f32 v52, v52, v52 :: v_dual_max_f32 v3, v3, v51
	s_delay_alu instid0(VALU_DEP_1)
	v_dual_max_f32 v1, v1, v52 :: v_dual_max_f32 v2, v2, v49
	ds_bpermute_b32 v49, v56, v2
	s_waitcnt lgkmcnt(0)
	v_max_f32_e32 v49, v49, v49
	ds_bpermute_b32 v51, v56, v3
	ds_bpermute_b32 v52, v56, v1
	s_waitcnt lgkmcnt(1)
	v_dual_max_f32 v51, v51, v51 :: v_dual_max_f32 v0, v0, v48
	s_delay_alu instid0(VALU_DEP_1) | instskip(SKIP_3) | instid1(VALU_DEP_2)
	v_max_f32_e32 v3, v3, v51
	ds_bpermute_b32 v48, v56, v0
	v_cndmask_b32_e64 v56, v14, v24, s4
	v_cmp_gt_i32_e64 s4, 32, v23
	v_lshlrev_b32_e32 v56, 2, v56
	ds_bpermute_b32 v51, v56, v3
	s_waitcnt lgkmcnt(0)
	v_dual_max_f32 v51, v51, v51 :: v_dual_max_f32 v52, v52, v52
	s_delay_alu instid0(VALU_DEP_1) | instskip(NEXT) | instid1(VALU_DEP_2)
	v_max_f32_e32 v3, v3, v51
	v_dual_max_f32 v1, v1, v52 :: v_dual_max_f32 v2, v2, v49
	ds_bpermute_b32 v52, v56, v1
	ds_bpermute_b32 v49, v56, v2
	s_waitcnt lgkmcnt(0)
	v_dual_max_f32 v48, v48, v48 :: v_dual_max_f32 v49, v49, v49
	s_delay_alu instid0(VALU_DEP_1) | instskip(SKIP_2) | instid1(VALU_DEP_1)
	v_max_f32_e32 v0, v0, v48
	ds_bpermute_b32 v48, v56, v0
	v_cndmask_b32_e64 v56, v14, v23, s4
	v_lshlrev_b32_e32 v56, 2, v56
	ds_bpermute_b32 v51, v56, v3
	s_waitcnt lgkmcnt(0)
	v_dual_max_f32 v51, v51, v51 :: v_dual_max_f32 v2, v2, v49
	s_delay_alu instid0(VALU_DEP_1) | instskip(SKIP_2) | instid1(VALU_DEP_1)
	v_dual_max_f32 v52, v52, v52 :: v_dual_max_f32 v3, v3, v51
	ds_bpermute_b32 v49, v56, v2
	v_dual_max_f32 v48, v48, v48 :: v_dual_sub_f32 v45, v45, v3
	v_cmp_ngt_f32_e64 s11, 0xc2ce8ed0, v45
	v_cmp_nlt_f32_e64 s10, 0x42b17218, v45
	s_waitcnt lgkmcnt(0)
	s_delay_alu instid0(VALU_DEP_3) | instskip(SKIP_4) | instid1(VALU_DEP_1)
	v_dual_max_f32 v49, v49, v49 :: v_dual_max_f32 v0, v0, v48
	v_max_f32_e32 v48, v1, v52
	ds_bpermute_b32 v1, v56, v0
	s_waitcnt lgkmcnt(0)
	v_max_f32_e32 v1, v1, v1
	v_max_f32_e32 v0, v0, v1
	;; [unrolled: 1-line block ×3, first 2 shown]
	ds_bpermute_b32 v52, v56, v48
	v_sub_f32_e32 v51, v50, v0
	s_waitcnt lgkmcnt(0)
	v_max_f32_e32 v52, v52, v52
	s_delay_alu instid0(VALU_DEP_1) | instskip(NEXT) | instid1(VALU_DEP_3)
	v_max_f32_e32 v2, v48, v52
	v_dual_sub_f32 v48, v53, v1 :: v_dual_mul_f32 v53, 0x3fb8aa3b, v51
	s_delay_alu instid0(VALU_DEP_1) | instskip(NEXT) | instid1(VALU_DEP_2)
	v_mul_f32_e32 v49, 0x3fb8aa3b, v48
	v_fma_f32 v58, 0x3fb8aa3b, v51, -v53
	v_rndne_f32_e32 v59, v53
	v_cmp_ngt_f32_e64 s8, 0xc2ce8ed0, v48
	s_delay_alu instid0(VALU_DEP_4) | instskip(SKIP_3) | instid1(VALU_DEP_4)
	v_rndne_f32_e32 v57, v49
	v_fma_f32 v56, 0x3fb8aa3b, v48, -v49
	v_fmac_f32_e32 v58, 0x32a5705f, v51
	v_sub_f32_e32 v53, v53, v59
	v_dual_sub_f32 v49, v49, v57 :: v_dual_sub_f32 v50, v55, v2
	s_delay_alu instid0(VALU_DEP_2) | instskip(NEXT) | instid1(VALU_DEP_2)
	v_add_f32_e32 v53, v53, v58
	v_dual_mul_f32 v55, 0x3fb8aa3b, v50 :: v_dual_sub_f32 v52, v44, v0
	s_delay_alu instid0(VALU_DEP_2) | instskip(NEXT) | instid1(VALU_DEP_1)
	v_exp_f32_e32 v53, v53
	v_fma_f32 v62, 0x3fb8aa3b, v50, -v55
	v_rndne_f32_e32 v63, v55
	v_sub_f32_e32 v46, v46, v1
	v_cmp_ngt_f32_e64 s4, 0xc2ce8ed0, v52
	v_cmp_nlt_f32_e64 s5, 0x42b17218, v52
	s_delay_alu instid0(VALU_DEP_4) | instskip(SKIP_3) | instid1(VALU_DEP_4)
	v_dual_fmac_f32 v62, 0x32a5705f, v50 :: v_dual_sub_f32 v55, v55, v63
	v_fmac_f32_e32 v56, 0x32a5705f, v48
	v_cmp_ngt_f32_e64 s6, 0xc2ce8ed0, v46
	v_cmp_nlt_f32_e64 s7, 0x42b17218, v46
	v_add_f32_e32 v55, v55, v62
	s_delay_alu instid0(VALU_DEP_4)
	v_dual_sub_f32 v44, v47, v2 :: v_dual_add_f32 v49, v49, v56
	v_sub_f32_e32 v47, v54, v3
	v_cvt_i32_f32_e32 v56, v57
	v_cvt_i32_f32_e32 v57, v59
	v_exp_f32_e32 v55, v55
	v_exp_f32_e32 v49, v49
	v_mul_f32_e32 v54, 0x3fb8aa3b, v47
	v_cvt_i32_f32_e32 v59, v63
	v_ldexp_f32 v53, v53, v57
	v_cmp_nlt_f32_e64 s9, 0x42b17218, v44
	s_delay_alu instid0(VALU_DEP_4) | instskip(SKIP_1) | instid1(TRANS32_DEP_2)
	v_fma_f32 v60, 0x3fb8aa3b, v47, -v54
	v_rndne_f32_e32 v61, v54
	v_ldexp_f32 v55, v55, v59
	s_delay_alu instid0(TRANS32_DEP_1) | instskip(NEXT) | instid1(VALU_DEP_4)
	v_ldexp_f32 v49, v49, v56
	v_fmac_f32_e32 v60, 0x32a5705f, v47
	s_delay_alu instid0(VALU_DEP_4) | instskip(SKIP_1) | instid1(VALU_DEP_4)
	v_sub_f32_e32 v54, v54, v61
	v_cvt_i32_f32_e32 v58, v61
	v_cndmask_b32_e64 v49, 0, v49, s8
	v_cmp_ngt_f32_e64 s8, 0xc2ce8ed0, v51
	s_delay_alu instid0(VALU_DEP_4) | instskip(NEXT) | instid1(VALU_DEP_2)
	v_add_f32_e32 v54, v54, v60
	v_cndmask_b32_e64 v53, 0, v53, s8
	s_delay_alu instid0(VALU_DEP_2) | instskip(SKIP_3) | instid1(VALU_DEP_1)
	v_exp_f32_e32 v54, v54
	v_cmp_ngt_f32_e64 s8, 0xc2ce8ed0, v47
	s_waitcnt_depctr 0xfff
	v_ldexp_f32 v54, v54, v58
	v_cndmask_b32_e64 v54, 0, v54, s8
	v_cmp_ngt_f32_e64 s8, 0xc2ce8ed0, v50
	s_delay_alu instid0(VALU_DEP_1) | instskip(SKIP_1) | instid1(VALU_DEP_1)
	v_cndmask_b32_e64 v55, 0, v55, s8
	v_cmp_nlt_f32_e64 s8, 0x42b17218, v48
	v_cndmask_b32_e64 v49, 0x7f800000, v49, s8
	v_cmp_nlt_f32_e64 s8, 0x42b17218, v47
	s_delay_alu instid0(VALU_DEP_2) | instskip(NEXT) | instid1(VALU_DEP_2)
	v_cvt_f16_f32_e32 v47, v49
	v_cndmask_b32_e64 v48, 0x7f800000, v54, s8
	v_cmp_nlt_f32_e64 s8, 0x42b17218, v50
	s_delay_alu instid0(VALU_DEP_1) | instskip(SKIP_1) | instid1(VALU_DEP_2)
	v_cndmask_b32_e64 v50, 0x7f800000, v55, s8
	v_cmp_nlt_f32_e64 s8, 0x42b17218, v51
	v_cvt_f16_f32_e32 v54, v50
	s_delay_alu instid0(VALU_DEP_2) | instskip(SKIP_2) | instid1(VALU_DEP_3)
	v_cndmask_b32_e64 v51, 0x7f800000, v53, s8
	v_cvt_f16_f32_e32 v53, v48
	v_cmp_ngt_f32_e64 s8, 0xc2ce8ed0, v44
	v_cvt_f16_f32_e32 v55, v51
	s_delay_alu instid0(VALU_DEP_3) | instskip(NEXT) | instid1(VALU_DEP_2)
	v_pack_b32_f16 v54, v54, v53
	v_pack_b32_f16 v53, v55, v47
	ds_store_b64 v38, v[53:54]
	s_and_saveexec_b32 s35, vcc_lo
	s_cbranch_execz .LBB37_21
; %bb.20:                               ;   in Loop: Header=BB37_15 Depth=1
	v_add_co_u32 v53, s12, s26, v8
	s_delay_alu instid0(VALU_DEP_1)
	v_add_co_ci_u32_e64 v54, s12, s27, v9, s12
	global_load_b128 v[53:56], v[53:54], off offset:64
	s_waitcnt vmcnt(0)
	ds_store_b128 v36, v[53:56]
.LBB37_21:                              ;   in Loop: Header=BB37_15 Depth=1
	s_or_b32 exec_lo, exec_lo, s35
	s_and_saveexec_b32 s35, s3
	s_cbranch_execz .LBB37_23
; %bb.22:                               ;   in Loop: Header=BB37_15 Depth=1
	v_add_co_u32 v47, s12, s26, v10
	s_delay_alu instid0(VALU_DEP_1) | instskip(NEXT) | instid1(VALU_DEP_2)
	v_add_co_ci_u32_e64 v54, s12, s27, v11, s12
	v_add_co_u32 v53, s12, v47, v39
	s_delay_alu instid0(VALU_DEP_1)
	v_add_co_ci_u32_e64 v54, s12, 0, v54, s12
	global_load_b128 v[53:56], v[53:54], off
	s_waitcnt vmcnt(0)
	ds_store_b128 v37, v[53:56]
.LBB37_23:                              ;   in Loop: Header=BB37_15 Depth=1
	s_or_b32 exec_lo, exec_lo, s35
	v_mul_f32_e32 v47, 0x3fb8aa3b, v52
	v_dual_mul_f32 v53, 0x3fb8aa3b, v46 :: v_dual_mul_f32 v54, 0x3fb8aa3b, v44
	s_waitcnt lgkmcnt(0)
	s_barrier
	s_delay_alu instid0(VALU_DEP_2) | instskip(SKIP_4) | instid1(VALU_DEP_4)
	v_fma_f32 v56, 0x3fb8aa3b, v52, -v47
	v_rndne_f32_e32 v57, v47
	v_fma_f32 v58, 0x3fb8aa3b, v46, -v53
	v_rndne_f32_e32 v59, v53
	v_fma_f32 v60, 0x3fb8aa3b, v44, -v54
	v_dual_fmac_f32 v56, 0x32a5705f, v52 :: v_dual_sub_f32 v47, v47, v57
	v_mul_f32_e32 v55, 0x3fb8aa3b, v45
	v_rndne_f32_e32 v52, v54
	v_fmac_f32_e32 v58, 0x32a5705f, v46
	buffer_gl0_inv
	v_dual_add_f32 v46, v47, v56 :: v_dual_sub_f32 v47, v53, v59
	v_fma_f32 v61, 0x3fb8aa3b, v45, -v55
	v_rndne_f32_e32 v62, v55
	v_fmac_f32_e32 v60, 0x32a5705f, v44
	v_sub_f32_e32 v44, v54, v52
	v_exp_f32_e32 v53, v46
	v_fmac_f32_e32 v61, 0x32a5705f, v45
	v_sub_f32_e32 v45, v55, v62
	s_delay_alu instid0(VALU_DEP_3) | instskip(SKIP_2) | instid1(VALU_DEP_4)
	v_dual_add_f32 v47, v47, v58 :: v_dual_add_f32 v44, v44, v60
	v_cvt_i32_f32_e32 v54, v57
	v_cvt_i32_f32_e32 v56, v59
	v_add_f32_e32 v45, v45, v61
	s_delay_alu instid0(VALU_DEP_4)
	v_exp_f32_e32 v55, v47
	v_exp_f32_e32 v57, v44
	v_cvt_i32_f32_e32 v59, v62
	v_cvt_i32_f32_e32 v52, v52
	v_exp_f32_e32 v58, v45
	ds_load_2addr_b32 v[60:61], v28 offset1:20
	ds_load_b128 v[44:47], v35
	v_ldexp_f32 v53, v53, v54
	v_ldexp_f32 v54, v55, v56
	;; [unrolled: 1-line block ×3, first 2 shown]
	s_delay_alu instid0(VALU_DEP_3) | instskip(SKIP_1) | instid1(VALU_DEP_4)
	v_cndmask_b32_e64 v53, 0, v53, s4
	v_ldexp_f32 v55, v58, v59
	v_cndmask_b32_e64 v54, 0, v54, s6
	s_delay_alu instid0(VALU_DEP_4) | instskip(NEXT) | instid1(VALU_DEP_4)
	v_cndmask_b32_e64 v52, 0, v52, s8
	v_cndmask_b32_e64 v66, 0x7f800000, v53, s5
	s_delay_alu instid0(VALU_DEP_4) | instskip(NEXT) | instid1(VALU_DEP_4)
	v_cndmask_b32_e64 v55, 0, v55, s11
	;; [unrolled: 3-line block ×3, first 2 shown]
	v_cvt_f16_f32_e32 v56, v66
	v_fmac_f32_e32 v51, v43, v66
	v_cndmask_b32_e64 v68, 0x7f800000, v55, s10
	ds_load_b128 v[52:55], v35 offset:16
	ds_load_2addr_b32 v[62:63], v28 offset0:40 offset1:60
	s_waitcnt lgkmcnt(2)
	v_pk_mul_f16 v58, v60, v44 op_sel_hi:[1,0]
	v_cvt_f16_f32_e32 v59, v67
	v_pk_mul_f16 v44, v60, v44 op_sel:[0,1]
	v_cvt_f16_f32_e32 v57, v68
	v_cvt_f16_f32_e32 v70, v69
	v_pk_mul_f16 v71, v60, v45 op_sel_hi:[1,0]
	v_pk_fma_f16 v21, v56, v21, v58 op_sel_hi:[0,1,1]
	v_pk_fma_f16 v20, v59, v20, v44 op_sel_hi:[0,1,1]
	v_pk_mul_f16 v18, v57, v18 op_sel_hi:[0,1]
	ds_load_2addr_b32 v[64:65], v28 offset0:80 offset1:100
	ds_load_b128 v[56:59], v35 offset:32
	v_pk_fma_f16 v44, v70, v19, v71 op_sel_hi:[0,1,1]
	v_dual_fmac_f32 v49, v42, v67 :: v_dual_fmac_f32 v48, v40, v68
	v_pk_fma_f16 v45, v60, v45, v18 op_sel:[0,1,0]
	v_pk_fma_f16 v60, v61, v46, v21 op_sel_hi:[1,0,1]
	v_pk_fma_f16 v46, v61, v46, v20 op_sel:[0,1,0]
	v_pk_fma_f16 v44, v61, v47, v44 op_sel_hi:[1,0,1]
	ds_load_b128 v[18:21], v35 offset:48
	v_pk_fma_f16 v45, v61, v47, v45 op_sel:[0,1,0]
	s_waitcnt lgkmcnt(3)
	v_pk_fma_f16 v47, v62, v52, v60 op_sel_hi:[1,0,1]
	v_pk_fma_f16 v46, v62, v52, v46 op_sel:[0,1,0]
	ds_load_2addr_b32 v[60:61], v28 offset0:120 offset1:140
	v_pk_fma_f16 v44, v62, v53, v44 op_sel_hi:[1,0,1]
	v_pk_fma_f16 v45, v62, v53, v45 op_sel:[0,1,0]
	v_pk_fma_f16 v47, v63, v54, v47 op_sel_hi:[1,0,1]
	v_pk_fma_f16 v46, v63, v54, v46 op_sel:[0,1,0]
	v_fmac_f32_e32 v50, v41, v69
	v_pk_fma_f16 v52, v63, v55, v44 op_sel_hi:[1,0,1]
	v_pk_fma_f16 v53, v63, v55, v45 op_sel:[0,1,0]
	s_waitcnt lgkmcnt(2)
	v_pk_fma_f16 v54, v64, v56, v47 op_sel_hi:[1,0,1]
	v_pk_fma_f16 v55, v64, v56, v46 op_sel:[0,1,0]
	ds_load_2addr_b32 v[62:63], v28 offset0:160 offset1:180
	ds_load_b128 v[44:47], v35 offset:64
	v_pk_fma_f16 v52, v64, v57, v52 op_sel_hi:[1,0,1]
	v_pk_fma_f16 v53, v64, v57, v53 op_sel:[0,1,0]
	v_pk_fma_f16 v54, v65, v58, v54 op_sel_hi:[1,0,1]
	v_pk_fma_f16 v55, v65, v58, v55 op_sel:[0,1,0]
	s_delay_alu instid0(VALU_DEP_4) | instskip(NEXT) | instid1(VALU_DEP_4)
	v_pk_fma_f16 v58, v65, v59, v52 op_sel_hi:[1,0,1]
	v_pk_fma_f16 v59, v65, v59, v53 op_sel:[0,1,0]
	s_waitcnt lgkmcnt(2)
	v_pk_fma_f16 v64, v60, v18, v54 op_sel_hi:[1,0,1]
	v_pk_fma_f16 v18, v60, v18, v55 op_sel:[0,1,0]
	ds_load_2addr_b32 v[56:57], v28 offset0:200 offset1:220
	ds_load_b128 v[52:55], v35 offset:80
	v_pk_fma_f16 v58, v60, v19, v58 op_sel_hi:[1,0,1]
	v_pk_fma_f16 v19, v60, v19, v59 op_sel:[0,1,0]
	v_pk_fma_f16 v59, v61, v20, v64 op_sel_hi:[1,0,1]
	v_pk_fma_f16 v18, v61, v20, v18 op_sel:[0,1,0]
	v_add_nc_u32_e32 v20, 0x200, v28
	v_pk_fma_f16 v60, v61, v21, v58 op_sel_hi:[1,0,1]
	v_pk_fma_f16 v61, v61, v21, v19 op_sel:[0,1,0]
	s_waitcnt lgkmcnt(2)
	v_pk_fma_f16 v64, v62, v44, v59 op_sel_hi:[1,0,1]
	v_pk_fma_f16 v44, v62, v44, v18 op_sel:[0,1,0]
	ds_load_2addr_b32 v[58:59], v20 offset0:112 offset1:132
	ds_load_b128 v[18:21], v35 offset:96
	v_pk_fma_f16 v60, v62, v45, v60 op_sel_hi:[1,0,1]
	v_pk_fma_f16 v45, v62, v45, v61 op_sel:[0,1,0]
	v_pk_fma_f16 v61, v63, v46, v64 op_sel_hi:[1,0,1]
	v_pk_fma_f16 v44, v63, v46, v44 op_sel:[0,1,0]
	v_add_nc_u32_e32 v62, 0x400, v28
	v_pk_fma_f16 v64, v63, v47, v60 op_sel_hi:[1,0,1]
	v_pk_fma_f16 v63, v63, v47, v45 op_sel:[0,1,0]
	s_waitcnt lgkmcnt(2)
	v_pk_fma_f16 v65, v56, v52, v61 op_sel_hi:[1,0,1]
	v_pk_fma_f16 v52, v56, v52, v44 op_sel:[0,1,0]
	ds_load_2addr_b32 v[60:61], v62 offset0:24 offset1:44
	ds_load_b128 v[44:47], v35 offset:112
	v_pk_fma_f16 v64, v56, v53, v64 op_sel_hi:[1,0,1]
	v_pk_fma_f16 v53, v56, v53, v63 op_sel:[0,1,0]
	v_pk_fma_f16 v56, v57, v54, v65 op_sel_hi:[1,0,1]
	v_pk_fma_f16 v52, v57, v54, v52 op_sel:[0,1,0]
	s_delay_alu instid0(VALU_DEP_4) | instskip(NEXT) | instid1(VALU_DEP_4)
	v_pk_fma_f16 v63, v57, v55, v64 op_sel_hi:[1,0,1]
	v_pk_fma_f16 v64, v57, v55, v53 op_sel:[0,1,0]
	s_waitcnt lgkmcnt(2)
	v_pk_fma_f16 v65, v58, v18, v56 op_sel_hi:[1,0,1]
	v_pk_fma_f16 v18, v58, v18, v52 op_sel:[0,1,0]
	ds_load_2addr_b32 v[56:57], v62 offset0:64 offset1:84
	ds_load_b128 v[52:55], v35 offset:128
	v_pk_fma_f16 v63, v58, v19, v63 op_sel_hi:[1,0,1]
	v_pk_fma_f16 v19, v58, v19, v64 op_sel:[0,1,0]
	v_pk_fma_f16 v58, v59, v20, v65 op_sel_hi:[1,0,1]
	v_pk_fma_f16 v18, v59, v20, v18 op_sel:[0,1,0]
	s_delay_alu instid0(VALU_DEP_4) | instskip(NEXT) | instid1(VALU_DEP_4)
	;; [unrolled: 12-line block ×5, first 2 shown]
	v_pk_fma_f16 v63, v59, v21, v63 op_sel_hi:[1,0,1]
	v_pk_fma_f16 v64, v59, v21, v19 op_sel:[0,1,0]
	s_waitcnt lgkmcnt(2)
	v_pk_fma_f16 v65, v60, v44, v58 op_sel_hi:[1,0,1]
	v_pk_fma_f16 v44, v60, v44, v18 op_sel:[0,1,0]
	ds_load_2addr_b32 v[58:59], v62 offset0:224 offset1:244
	ds_load_b128 v[18:21], v35 offset:192
	v_pk_fma_f16 v62, v60, v45, v63 op_sel_hi:[1,0,1]
	v_pk_fma_f16 v45, v60, v45, v64 op_sel:[0,1,0]
	v_pk_fma_f16 v60, v61, v46, v65 op_sel_hi:[1,0,1]
	v_pk_fma_f16 v44, v61, v46, v44 op_sel:[0,1,0]
	v_add_nc_u32_e32 v63, 0x800, v28
	v_pk_fma_f16 v62, v61, v47, v62 op_sel_hi:[1,0,1]
	v_pk_fma_f16 v64, v61, v47, v45 op_sel:[0,1,0]
	s_waitcnt lgkmcnt(2)
	v_pk_fma_f16 v65, v56, v52, v60 op_sel_hi:[1,0,1]
	v_pk_fma_f16 v52, v56, v52, v44 op_sel:[0,1,0]
	ds_load_2addr_b32 v[60:61], v63 offset0:8 offset1:28
	ds_load_b128 v[44:47], v35 offset:208
	v_pk_fma_f16 v62, v56, v53, v62 op_sel_hi:[1,0,1]
	v_pk_fma_f16 v53, v56, v53, v64 op_sel:[0,1,0]
	v_pk_fma_f16 v56, v57, v54, v65 op_sel_hi:[1,0,1]
	v_pk_fma_f16 v52, v57, v54, v52 op_sel:[0,1,0]
	s_delay_alu instid0(VALU_DEP_4) | instskip(NEXT) | instid1(VALU_DEP_4)
	v_pk_fma_f16 v54, v57, v55, v62 op_sel_hi:[1,0,1]
	v_pk_fma_f16 v53, v57, v55, v53 op_sel:[0,1,0]
	s_waitcnt lgkmcnt(2)
	v_pk_fma_f16 v56, v58, v18, v56 op_sel_hi:[1,0,1]
	v_pk_fma_f16 v57, v58, v18, v52 op_sel:[0,1,0]
	v_pk_fma_f16 v62, v58, v19, v54 op_sel_hi:[1,0,1]
	v_pk_fma_f16 v58, v58, v19, v53 op_sel:[0,1,0]
	ds_load_2addr_b32 v[18:19], v63 offset0:48 offset1:68
	ds_load_b128 v[52:55], v35 offset:224
	v_pk_fma_f16 v56, v59, v20, v56 op_sel_hi:[1,0,1]
	v_pk_fma_f16 v20, v59, v20, v57 op_sel:[0,1,0]
	v_pk_fma_f16 v57, v59, v21, v62 op_sel_hi:[1,0,1]
	v_pk_fma_f16 v21, v59, v21, v58 op_sel:[0,1,0]
	s_waitcnt lgkmcnt(2)
	v_pk_fma_f16 v62, v60, v44, v56 op_sel_hi:[1,0,1]
	v_pk_fma_f16 v20, v60, v44, v20 op_sel:[0,1,0]
	v_pk_fma_f16 v64, v60, v45, v57 op_sel_hi:[1,0,1]
	ds_load_2addr_b32 v[43:44], v63 offset0:88 offset1:108
	ds_load_b128 v[56:59], v35 offset:240
	v_pk_fma_f16 v21, v60, v45, v21 op_sel:[0,1,0]
	s_waitcnt lgkmcnt(0)
	s_barrier
	buffer_gl0_inv
	s_load_b32 s4, s[16:17], 0x4
	v_pk_fma_f16 v45, v61, v46, v62 op_sel_hi:[1,0,1]
	v_pk_fma_f16 v20, v61, v46, v20 op_sel:[0,1,0]
	v_pk_fma_f16 v46, v61, v47, v64 op_sel_hi:[1,0,1]
	v_pk_fma_f16 v21, v61, v47, v21 op_sel:[0,1,0]
	s_delay_alu instid0(VALU_DEP_4) | instskip(NEXT) | instid1(VALU_DEP_4)
	v_pk_fma_f16 v45, v18, v52, v45 op_sel_hi:[1,0,1]
	v_pk_fma_f16 v20, v18, v52, v20 op_sel:[0,1,0]
	s_delay_alu instid0(VALU_DEP_4) | instskip(NEXT) | instid1(VALU_DEP_4)
	;; [unrolled: 3-line block ×6, first 2 shown]
	v_pk_fma_f16 v41, v43, v57, v42 op_sel_hi:[1,0,1]
	v_pk_fma_f16 v18, v43, v57, v18 op_sel:[0,1,0]
	s_waitcnt lgkmcnt(0)
	s_lshl_b32 s4, s4, 5
	v_pk_fma_f16 v21, v44, v58, v19 op_sel_hi:[1,0,1]
	v_pk_fma_f16 v20, v44, v58, v20 op_sel:[0,1,0]
	v_pk_fma_f16 v19, v44, v59, v41 op_sel_hi:[1,0,1]
	v_pk_fma_f16 v18, v44, v59, v18 op_sel:[0,1,0]
	s_add_i32 s13, s4, s13
	s_delay_alu instid0(SALU_CYCLE_1)
	s_cmp_ge_i32 s13, s40
	s_cbranch_scc1 .LBB37_25
; %bb.24:                               ;   in Loop: Header=BB37_15 Depth=1
	v_dual_mov_b32 v44, v0 :: v_dual_mov_b32 v47, v2
	v_dual_mov_b32 v46, v1 :: v_dual_mov_b32 v45, v3
	;; [unrolled: 1-line block ×4, first 2 shown]
	s_branch .LBB37_15
.LBB37_25:
	v_mov_b32_e32 v5, v14
.LBB37_26:
	v_cmp_lt_i32_e32 vcc_lo, v27, v22
	s_cmp_lg_u64 s[24:25], 0
	s_cselect_b32 s3, -1, 0
	s_cmp_eq_u32 s14, 0
	v_cndmask_b32_e32 v4, v5, v27, vcc_lo
	v_cmp_lt_i32_e32 vcc_lo, v26, v22
	s_cselect_b32 s4, -1, 0
	s_delay_alu instid0(SALU_CYCLE_1) | instskip(SKIP_2) | instid1(VALU_DEP_2)
	s_and_b32 s3, s4, s3
	v_cndmask_b32_e32 v9, v5, v26, vcc_lo
	v_cmp_lt_i32_e32 vcc_lo, v25, v22
	v_lshlrev_b32_e32 v9, 2, v9
	v_dual_cndmask_b32 v25, v5, v25 :: v_dual_lshlrev_b32 v4, 2, v4
	v_cmp_lt_i32_e32 vcc_lo, v24, v22
	ds_bpermute_b32 v7, v4, v49
	v_dual_cndmask_b32 v24, v5, v24 :: v_dual_lshlrev_b32 v25, 2, v25
	v_cmp_lt_i32_e32 vcc_lo, v23, v22
	v_cndmask_b32_e32 v5, v5, v23, vcc_lo
	s_and_b32 vcc_lo, exec_lo, s3
	s_delay_alu instid0(VALU_DEP_1)
	v_lshlrev_b32_e32 v5, 2, v5
	s_waitcnt lgkmcnt(0)
	v_add_f32_e32 v7, v49, v7
	ds_bpermute_b32 v6, v4, v51
	ds_bpermute_b32 v8, v4, v50
	;; [unrolled: 1-line block ×4, first 2 shown]
	s_waitcnt lgkmcnt(3)
	v_add_f32_e32 v6, v51, v6
	s_waitcnt lgkmcnt(2)
	v_add_f32_e32 v8, v50, v8
	s_waitcnt lgkmcnt(0)
	v_dual_add_f32 v4, v48, v4 :: v_dual_add_f32 v7, v7, v11
	ds_bpermute_b32 v10, v9, v6
	ds_bpermute_b32 v14, v9, v8
	;; [unrolled: 1-line block ×3, first 2 shown]
	s_waitcnt lgkmcnt(2)
	v_add_f32_e32 v6, v6, v10
	ds_bpermute_b32 v10, v25, v7
	s_waitcnt lgkmcnt(2)
	v_add_f32_e32 v8, v8, v14
	s_waitcnt lgkmcnt(1)
	v_add_f32_e32 v4, v4, v9
	ds_bpermute_b32 v9, v25, v6
	ds_bpermute_b32 v11, v25, v8
	s_waitcnt lgkmcnt(2)
	v_dual_add_f32 v7, v7, v10 :: v_dual_lshlrev_b32 v24, 2, v24
	ds_bpermute_b32 v14, v25, v4
	ds_bpermute_b32 v10, v24, v7
	s_waitcnt lgkmcnt(1)
	v_add_f32_e32 v4, v4, v14
	s_waitcnt lgkmcnt(0)
	v_add_f32_e32 v7, v7, v10
	ds_bpermute_b32 v14, v24, v4
	v_add_f32_e32 v6, v6, v9
	ds_bpermute_b32 v10, v5, v7
	;; [unrolled: 2-line block ×3, first 2 shown]
	ds_bpermute_b32 v11, v24, v8
	s_waitcnt lgkmcnt(1)
	v_dual_add_f32 v6, v6, v9 :: v_dual_add_f32 v9, v4, v14
	s_waitcnt lgkmcnt(0)
	v_add_f32_e32 v8, v8, v11
	ds_bpermute_b32 v4, v5, v6
	ds_bpermute_b32 v14, v5, v9
	;; [unrolled: 1-line block ×3, first 2 shown]
	v_add_f32_e32 v5, v7, v10
	s_waitcnt lgkmcnt(1)
	v_dual_add_f32 v7, v9, v14 :: v_dual_add_f32 v4, v6, v4
	s_waitcnt lgkmcnt(0)
	v_add_f32_e32 v6, v8, v11
	s_cbranch_vccz .LBB37_28
; %bb.27:
	s_ashr_i32 s35, s34, 31
	v_dual_mov_b32 v8, 0 :: v_dual_max_f32 v9, v1, v1
	s_lshl_b64 s[4:5], s[34:35], 2
	s_delay_alu instid0(SALU_CYCLE_1) | instskip(SKIP_4) | instid1(VALU_DEP_1)
	s_add_u32 s4, s24, s4
	s_addc_u32 s5, s25, s5
	global_load_b64 v[22:23], v8, s[4:5]
	s_waitcnt vmcnt(0)
	v_dual_max_f32 v8, v0, v0 :: v_dual_max_f32 v11, v23, v23
	v_dual_max_f32 v10, v22, v22 :: v_dual_max_f32 v9, v9, v11
	s_delay_alu instid0(VALU_DEP_1) | instskip(NEXT) | instid1(VALU_DEP_1)
	v_dual_max_f32 v24, v3, v3 :: v_dual_sub_f32 v25, v1, v9
	v_dual_max_f32 v14, v2, v2 :: v_dual_max_f32 v11, v24, v11
	s_delay_alu instid0(VALU_DEP_3) | instskip(SKIP_1) | instid1(VALU_DEP_2)
	v_max_f32_e32 v8, v8, v10
	v_sub_f32_e32 v26, v23, v9
	v_dual_sub_f32 v23, v23, v11 :: v_dual_sub_f32 v24, v22, v8
	s_delay_alu instid0(VALU_DEP_4) | instskip(NEXT) | instid1(VALU_DEP_1)
	v_max_f32_e32 v10, v14, v10
	v_dual_sub_f32 v14, v0, v8 :: v_dual_sub_f32 v27, v2, v10
	s_delay_alu instid0(VALU_DEP_1) | instskip(NEXT) | instid1(VALU_DEP_2)
	v_cmp_ngt_f32_e32 vcc_lo, 0xc2ce8ed0, v14
	v_mul_f32_e32 v29, 0x3fb8aa3b, v27
	v_sub_f32_e32 v28, v3, v11
	v_dual_mov_b32 v0, v8 :: v_dual_mov_b32 v3, v11
	v_dual_mov_b32 v1, v9 :: v_dual_mov_b32 v2, v10
	v_mul_f32_e32 v9, 0x3fb8aa3b, v24
	v_mul_f32_e32 v11, 0x3fb8aa3b, v26
	v_dual_sub_f32 v22, v22, v10 :: v_dual_mul_f32 v31, 0x3fb8aa3b, v28
	v_rndne_f32_e32 v42, v29
	s_delay_alu instid0(VALU_DEP_4)
	v_rndne_f32_e32 v36, v9
	v_mul_f32_e32 v8, 0x3fb8aa3b, v14
	v_fma_f32 v35, 0x3fb8aa3b, v24, -v9
	v_mul_f32_e32 v32, 0x3fb8aa3b, v23
	v_rndne_f32_e32 v40, v11
	v_sub_f32_e32 v9, v9, v36
	v_rndne_f32_e32 v34, v8
	v_fma_f32 v33, 0x3fb8aa3b, v14, -v8
	v_fmac_f32_e32 v35, 0x32a5705f, v24
	v_mul_f32_e32 v30, 0x3fb8aa3b, v22
	v_mul_f32_e32 v10, 0x3fb8aa3b, v25
	v_sub_f32_e32 v8, v8, v34
	v_fmac_f32_e32 v33, 0x32a5705f, v14
	v_add_f32_e32 v9, v9, v35
	v_fma_f32 v43, 0x3fb8aa3b, v22, -v30
	v_fma_f32 v39, 0x3fb8aa3b, v26, -v11
	;; [unrolled: 1-line block ×3, first 2 shown]
	v_add_f32_e32 v8, v8, v33
	v_cvt_i32_f32_e32 v34, v34
	v_fmac_f32_e32 v43, 0x32a5705f, v22
	v_sub_f32_e32 v11, v11, v40
	v_fma_f32 v37, 0x3fb8aa3b, v25, -v10
	v_exp_f32_e32 v8, v8
	v_rndne_f32_e32 v38, v10
	v_sub_f32_e32 v29, v29, v42
	v_fma_f32 v47, 0x3fb8aa3b, v23, -v32
	v_rndne_f32_e32 v48, v32
	v_fma_f32 v45, 0x3fb8aa3b, v28, -v31
	v_dual_fmac_f32 v37, 0x32a5705f, v25 :: v_dual_sub_f32 v10, v10, v38
	s_delay_alu instid0(VALU_DEP_3) | instskip(NEXT) | instid1(TRANS32_DEP_1)
	v_dual_fmac_f32 v41, 0x32a5705f, v27 :: v_dual_sub_f32 v32, v32, v48
	v_ldexp_f32 v8, v8, v34
	v_fmac_f32_e32 v47, 0x32a5705f, v23
	s_delay_alu instid0(VALU_DEP_4) | instskip(SKIP_1) | instid1(VALU_DEP_3)
	v_dual_fmac_f32 v45, 0x32a5705f, v28 :: v_dual_add_f32 v10, v10, v37
	v_exp_f32_e32 v9, v9
	v_dual_cndmask_b32 v8, 0, v8 :: v_dual_add_f32 v29, v29, v41
	s_delay_alu instid0(VALU_DEP_3)
	v_add_f32_e32 v32, v32, v47
	v_cvt_i32_f32_e32 v36, v36
	v_exp_f32_e32 v10, v10
	v_rndne_f32_e32 v44, v30
	v_cvt_i32_f32_e32 v38, v38
	v_exp_f32_e32 v32, v32
	v_fmac_f32_e32 v39, 0x32a5705f, v26
	v_cvt_i32_f32_e32 v35, v48
	v_sub_f32_e32 v30, v30, v44
	v_ldexp_f32 v9, v9, v36
	v_cmp_ngt_f32_e32 vcc_lo, 0xc2ce8ed0, v24
	v_rndne_f32_e32 v46, v31
	v_ldexp_f32 v10, v10, v38
	v_cvt_i32_f32_e32 v40, v40
	v_add_f32_e32 v30, v30, v43
	v_ldexp_f32 v32, v32, v35
	v_cndmask_b32_e32 v9, 0, v9, vcc_lo
	v_cmp_ngt_f32_e32 vcc_lo, 0xc2ce8ed0, v25
	v_add_f32_e32 v11, v11, v39
	v_sub_f32_e32 v31, v31, v46
	v_exp_f32_e32 v29, v29
	v_cvt_i32_f32_e32 v42, v42
	v_cndmask_b32_e32 v10, 0, v10, vcc_lo
	v_exp_f32_e32 v11, v11
	v_exp_f32_e32 v30, v30
	v_cmp_ngt_f32_e32 vcc_lo, 0xc2ce8ed0, v26
	v_cvt_i32_f32_e32 v44, v44
	v_cvt_i32_f32_e32 v33, v46
	s_delay_alu instid0(TRANS32_DEP_3) | instskip(SKIP_3) | instid1(VALU_DEP_2)
	v_ldexp_f32 v29, v29, v42
	s_waitcnt_depctr 0xfff
	v_ldexp_f32 v11, v11, v40
	v_ldexp_f32 v30, v30, v44
	v_cndmask_b32_e32 v11, 0, v11, vcc_lo
	v_cmp_ngt_f32_e32 vcc_lo, 0xc2ce8ed0, v27
	v_cndmask_b32_e32 v29, 0, v29, vcc_lo
	v_cmp_ngt_f32_e32 vcc_lo, 0xc2ce8ed0, v22
	v_dual_add_f32 v31, v31, v45 :: v_dual_cndmask_b32 v30, 0, v30
	s_delay_alu instid0(VALU_DEP_1) | instskip(SKIP_3) | instid1(VALU_DEP_1)
	v_exp_f32_e32 v31, v31
	v_cmp_ngt_f32_e32 vcc_lo, 0xc2ce8ed0, v28
	s_waitcnt_depctr 0xfff
	v_ldexp_f32 v31, v31, v33
	v_cndmask_b32_e32 v31, 0, v31, vcc_lo
	v_cmp_ngt_f32_e32 vcc_lo, 0xc2ce8ed0, v23
	v_cndmask_b32_e32 v32, 0, v32, vcc_lo
	v_cmp_nlt_f32_e32 vcc_lo, 0x42b17218, v14
	v_cndmask_b32_e32 v14, 0x7f800000, v8, vcc_lo
	v_cmp_nlt_f32_e32 vcc_lo, 0x42b17218, v24
	;; [unrolled: 2-line block ×3, first 2 shown]
	s_delay_alu instid0(VALU_DEP_2)
	v_fmac_f32_e32 v8, v4, v14
	v_cndmask_b32_e32 v24, 0x7f800000, v10, vcc_lo
	v_cmp_nlt_f32_e32 vcc_lo, 0x42b17218, v26
	v_cvt_f16_f32_e32 v4, v14
	v_cndmask_b32_e32 v9, 0x7f800000, v11, vcc_lo
	v_cmp_nlt_f32_e32 vcc_lo, 0x42b17218, v27
	s_delay_alu instid0(VALU_DEP_3) | instskip(SKIP_4) | instid1(VALU_DEP_2)
	v_pk_mul_f16 v21, v21, v4 op_sel_hi:[1,0]
	v_dual_mov_b32 v4, v8 :: v_dual_cndmask_b32 v25, 0x7f800000, v29
	v_cmp_nlt_f32_e32 vcc_lo, 0x42b17218, v22
	v_cndmask_b32_e32 v10, 0x7f800000, v30, vcc_lo
	v_cmp_nlt_f32_e32 vcc_lo, 0x42b17218, v28
	v_fmac_f32_e32 v10, v6, v25
	v_cndmask_b32_e32 v22, 0x7f800000, v31, vcc_lo
	v_cmp_nlt_f32_e32 vcc_lo, 0x42b17218, v23
	v_cvt_f16_f32_e32 v6, v25
	s_delay_alu instid0(VALU_DEP_3) | instskip(SKIP_1) | instid1(VALU_DEP_3)
	v_cvt_f16_f32_e32 v14, v22
	v_cndmask_b32_e32 v11, 0x7f800000, v32, vcc_lo
	v_pk_mul_f16 v19, v19, v6 op_sel_hi:[1,0]
	v_dual_mov_b32 v6, v10 :: v_dual_fmac_f32 v9, v5, v24
	v_cvt_f16_f32_e32 v5, v24
	s_delay_alu instid0(VALU_DEP_4) | instskip(SKIP_1) | instid1(VALU_DEP_3)
	v_fmac_f32_e32 v11, v7, v22
	v_pk_mul_f16 v18, v18, v14 op_sel_hi:[1,0]
	v_pk_mul_f16 v20, v20, v5 op_sel_hi:[1,0]
	s_delay_alu instid0(VALU_DEP_3)
	v_mov_b32_e32 v7, v11
	v_mov_b32_e32 v5, v9
	s_branch .LBB37_29
.LBB37_28:
	s_delay_alu instid0(VALU_DEP_1)
	v_dual_mov_b32 v11, v7 :: v_dual_mov_b32 v10, v6
	v_dual_mov_b32 v9, v5 :: v_dual_mov_b32 v8, v4
.LBB37_29:
	v_lshlrev_b32_e32 v13, 1, v13
	s_mov_b32 s3, exec_lo
	s_delay_alu instid0(VALU_DEP_1) | instskip(NEXT) | instid1(VALU_DEP_1)
	v_add_nc_u32_e32 v14, s15, v13
	v_cmpx_gt_i32_e64 s38, v14
	s_cbranch_execz .LBB37_56
; %bb.30:
	s_load_b32 s1, s[0:1], 0xd4
	v_mov_b32_e32 v22, 1.0
	s_waitcnt lgkmcnt(0)
	s_cmp_lg_u32 s1, 1
	s_cselect_b32 s4, -1, 0
	s_cmp_eq_u32 s1, 1
	s_cselect_b32 s0, -1, 0
	s_and_b32 vcc_lo, exec_lo, s4
	s_cbranch_vccnz .LBB37_32
; %bb.31:
	v_div_scale_f32 v14, null, v4, v4, 1.0
	s_delay_alu instid0(VALU_DEP_1) | instskip(SKIP_2) | instid1(VALU_DEP_1)
	v_rcp_f32_e32 v22, v14
	s_waitcnt_depctr 0xfff
	v_fma_f32 v23, -v14, v22, 1.0
	v_fmac_f32_e32 v22, v23, v22
	v_div_scale_f32 v23, vcc_lo, 1.0, v4, 1.0
	s_delay_alu instid0(VALU_DEP_1) | instskip(NEXT) | instid1(VALU_DEP_1)
	v_mul_f32_e32 v24, v23, v22
	v_fma_f32 v25, -v14, v24, v23
	s_delay_alu instid0(VALU_DEP_1) | instskip(NEXT) | instid1(VALU_DEP_1)
	v_fmac_f32_e32 v24, v25, v22
	v_fma_f32 v14, -v14, v24, v23
	s_delay_alu instid0(VALU_DEP_1) | instskip(NEXT) | instid1(VALU_DEP_1)
	v_div_fmas_f32 v14, v14, v22, v24
	v_div_fixup_f32 v22, v14, v4, 1.0
.LBB37_32:
	s_mul_i32 s3, s33, s38
	s_delay_alu instid0(SALU_CYCLE_1) | instskip(NEXT) | instid1(SALU_CYCLE_1)
	s_add_i32 s3, s3, s15
	v_add_nc_u32_e32 v4, s3, v13
	s_delay_alu instid0(VALU_DEP_1) | instskip(NEXT) | instid1(VALU_DEP_1)
	v_mul_lo_u32 v4, v4, s39
	v_add_nc_u32_e32 v23, s34, v4
	s_delay_alu instid0(VALU_DEP_1)
	v_mad_u64_u32 v[13:14], null, s1, v23, s[14:15]
	s_and_saveexec_b32 s5, s2
	s_cbranch_execz .LBB37_34
; %bb.33:
	s_delay_alu instid0(VALU_DEP_1) | instskip(SKIP_3) | instid1(VALU_DEP_3)
	v_mad_u64_u32 v[23:24], null, v13, 40, v[12:13]
	v_lshrrev_b32_e32 v14, 16, v21
	v_cvt_f32_f16_e32 v21, v21
	v_mov_b32_e32 v24, 0
	v_cvt_f32_f16_e32 v14, v14
	s_delay_alu instid0(VALU_DEP_3) | instskip(NEXT) | instid1(VALU_DEP_3)
	v_mul_f32_e32 v21, v22, v21
	v_lshlrev_b64 v[23:24], 2, v[23:24]
	s_delay_alu instid0(VALU_DEP_3) | instskip(NEXT) | instid1(VALU_DEP_2)
	v_mul_f32_e32 v22, v22, v14
	v_add_co_u32 v23, vcc_lo, s28, v23
	s_delay_alu instid0(VALU_DEP_3)
	v_add_co_ci_u32_e32 v24, vcc_lo, s29, v24, vcc_lo
	global_store_b64 v[23:24], v[21:22], off
.LBB37_34:
	s_or_b32 exec_lo, exec_lo, s5
	v_cmp_eq_u32_e32 vcc_lo, 0, v17
	s_and_b32 s4, vcc_lo, s4
	s_delay_alu instid0(SALU_CYCLE_1)
	s_and_saveexec_b32 s5, s4
	s_cbranch_execz .LBB37_36
; %bb.35:
	v_ashrrev_i32_e32 v14, 31, v13
	v_mov_b32_e32 v21, v0
	v_mov_b32_e32 v22, v8
	s_delay_alu instid0(VALU_DEP_3) | instskip(NEXT) | instid1(VALU_DEP_1)
	v_lshlrev_b64 v[13:14], 3, v[13:14]
	v_add_co_u32 v13, vcc_lo, s30, v13
	s_delay_alu instid0(VALU_DEP_2)
	v_add_co_ci_u32_e32 v14, vcc_lo, s31, v14, vcc_lo
	global_store_b64 v[13:14], v[21:22], off
.LBB37_36:
	s_or_b32 exec_lo, exec_lo, s5
	v_cndmask_b32_e64 v13, 0, 1, s0
	v_mov_b32_e32 v0, 1.0
	s_and_not1_b32 vcc_lo, exec_lo, s0
	s_cbranch_vccnz .LBB37_38
; %bb.37:
	v_div_scale_f32 v0, null, v5, v5, 1.0
	s_delay_alu instid0(VALU_DEP_1) | instskip(SKIP_2) | instid1(VALU_DEP_1)
	v_rcp_f32_e32 v8, v0
	s_waitcnt_depctr 0xfff
	v_fma_f32 v14, -v0, v8, 1.0
	v_fmac_f32_e32 v8, v14, v8
	v_div_scale_f32 v14, vcc_lo, 1.0, v5, 1.0
	s_delay_alu instid0(VALU_DEP_1) | instskip(NEXT) | instid1(VALU_DEP_1)
	v_mul_f32_e32 v17, v14, v8
	v_fma_f32 v21, -v0, v17, v14
	s_delay_alu instid0(VALU_DEP_1) | instskip(NEXT) | instid1(VALU_DEP_1)
	v_fmac_f32_e32 v17, v21, v8
	v_fma_f32 v0, -v0, v17, v14
	s_delay_alu instid0(VALU_DEP_1) | instskip(NEXT) | instid1(VALU_DEP_1)
	v_div_fmas_f32 v0, v0, v8, v17
	v_div_fixup_f32 v0, v0, v5, 1.0
.LBB37_38:
	s_add_i32 s0, s34, 1
	s_delay_alu instid0(SALU_CYCLE_1) | instskip(NEXT) | instid1(VALU_DEP_1)
	v_add_nc_u32_e32 v8, s0, v4
	v_mad_u64_u32 v[4:5], null, s1, v8, s[14:15]
	s_and_saveexec_b32 s5, s2
	s_cbranch_execz .LBB37_40
; %bb.39:
	v_lshrrev_b32_e32 v5, 16, v20
	s_delay_alu instid0(VALU_DEP_2) | instskip(SKIP_1) | instid1(VALU_DEP_3)
	v_mad_u64_u32 v[21:22], null, v4, 40, v[12:13]
	v_cvt_f32_f16_e32 v8, v20
	v_cvt_f32_f16_e32 v5, v5
	s_delay_alu instid0(VALU_DEP_1) | instskip(NEXT) | instid1(VALU_DEP_1)
	v_dual_mov_b32 v22, 0 :: v_dual_mul_f32 v23, v0, v5
	v_lshlrev_b64 v[20:21], 2, v[21:22]
	s_delay_alu instid0(VALU_DEP_4) | instskip(NEXT) | instid1(VALU_DEP_2)
	v_mul_f32_e32 v22, v0, v8
	v_add_co_u32 v20, vcc_lo, s28, v20
	s_delay_alu instid0(VALU_DEP_3)
	v_add_co_ci_u32_e32 v21, vcc_lo, s29, v21, vcc_lo
	global_store_b64 v[20:21], v[22:23], off
.LBB37_40:
	s_or_b32 exec_lo, exec_lo, s5
	s_and_saveexec_b32 s5, s4
	s_cbranch_execz .LBB37_42
; %bb.41:
	s_delay_alu instid0(VALU_DEP_1) | instskip(SKIP_1) | instid1(VALU_DEP_2)
	v_ashrrev_i32_e32 v5, 31, v4
	v_mov_b32_e32 v8, v1
	v_lshlrev_b64 v[4:5], 3, v[4:5]
	s_delay_alu instid0(VALU_DEP_1) | instskip(NEXT) | instid1(VALU_DEP_2)
	v_add_co_u32 v4, vcc_lo, s30, v4
	v_add_co_ci_u32_e32 v5, vcc_lo, s31, v5, vcc_lo
	global_store_b64 v[4:5], v[8:9], off
.LBB37_42:
	s_or_b32 exec_lo, exec_lo, s5
	v_add_nc_u32_e32 v0, s15, v16
	s_delay_alu instid0(VALU_DEP_1)
	v_cmp_gt_i32_e32 vcc_lo, s38, v0
	s_and_b32 exec_lo, exec_lo, vcc_lo
	s_cbranch_execz .LBB37_56
; %bb.43:
	v_cmp_ne_u32_e32 vcc_lo, 1, v13
	v_mov_b32_e32 v4, 1.0
	s_cbranch_vccnz .LBB37_45
; %bb.44:
	v_div_scale_f32 v0, null, v6, v6, 1.0
	s_delay_alu instid0(VALU_DEP_1) | instskip(SKIP_2) | instid1(VALU_DEP_1)
	v_rcp_f32_e32 v1, v0
	s_waitcnt_depctr 0xfff
	v_fma_f32 v4, -v0, v1, 1.0
	v_fmac_f32_e32 v1, v4, v1
	v_div_scale_f32 v4, vcc_lo, 1.0, v6, 1.0
	s_delay_alu instid0(VALU_DEP_1) | instskip(NEXT) | instid1(VALU_DEP_1)
	v_mul_f32_e32 v5, v4, v1
	v_fma_f32 v8, -v0, v5, v4
	s_delay_alu instid0(VALU_DEP_1) | instskip(NEXT) | instid1(VALU_DEP_1)
	v_fmac_f32_e32 v5, v8, v1
	v_fma_f32 v0, -v0, v5, v4
	s_delay_alu instid0(VALU_DEP_1) | instskip(NEXT) | instid1(VALU_DEP_1)
	v_div_fmas_f32 v0, v0, v1, v5
	v_div_fixup_f32 v4, v0, v6, 1.0
.LBB37_45:
	v_add_nc_u32_e32 v0, s3, v16
	s_delay_alu instid0(VALU_DEP_1) | instskip(NEXT) | instid1(VALU_DEP_1)
	v_mad_u64_u32 v[5:6], null, v0, s39, s[34:35]
	v_mad_u64_u32 v[0:1], null, s1, v5, s[14:15]
	s_and_saveexec_b32 s5, s2
	s_cbranch_execz .LBB37_47
; %bb.46:
	v_lshrrev_b32_e32 v1, 16, v19
	s_delay_alu instid0(VALU_DEP_2) | instskip(SKIP_1) | instid1(VALU_DEP_3)
	v_mad_u64_u32 v[5:6], null, v0, 40, v[12:13]
	v_cvt_f32_f16_e32 v8, v19
	v_cvt_f32_f16_e32 v1, v1
	v_mov_b32_e32 v6, 0
	s_delay_alu instid0(VALU_DEP_3) | instskip(NEXT) | instid1(VALU_DEP_3)
	v_mul_f32_e32 v8, v4, v8
	v_mul_f32_e32 v9, v4, v1
	s_delay_alu instid0(VALU_DEP_3) | instskip(NEXT) | instid1(VALU_DEP_1)
	v_lshlrev_b64 v[5:6], 2, v[5:6]
	v_add_co_u32 v4, vcc_lo, s28, v5
	s_delay_alu instid0(VALU_DEP_2)
	v_add_co_ci_u32_e32 v5, vcc_lo, s29, v6, vcc_lo
	global_store_b64 v[4:5], v[8:9], off
.LBB37_47:
	s_or_b32 exec_lo, exec_lo, s5
	s_and_saveexec_b32 s5, s4
	s_cbranch_execz .LBB37_49
; %bb.48:
	s_delay_alu instid0(VALU_DEP_1) | instskip(SKIP_1) | instid1(VALU_DEP_2)
	v_ashrrev_i32_e32 v1, 31, v0
	v_mov_b32_e32 v9, v2
	v_lshlrev_b64 v[0:1], 3, v[0:1]
	s_delay_alu instid0(VALU_DEP_1) | instskip(NEXT) | instid1(VALU_DEP_2)
	v_add_co_u32 v0, vcc_lo, s30, v0
	v_add_co_ci_u32_e32 v1, vcc_lo, s31, v1, vcc_lo
	global_store_b64 v[0:1], v[9:10], off
.LBB37_49:
	s_or_b32 exec_lo, exec_lo, s5
	v_lshrrev_b32_e32 v0, 1, v15
	s_delay_alu instid0(VALU_DEP_1) | instskip(NEXT) | instid1(VALU_DEP_1)
	v_add_nc_u32_e32 v1, s15, v0
	v_cmp_gt_i32_e32 vcc_lo, s38, v1
	s_and_b32 exec_lo, exec_lo, vcc_lo
	s_cbranch_execz .LBB37_56
; %bb.50:
	v_cmp_ne_u32_e32 vcc_lo, 1, v13
	v_mov_b32_e32 v2, 1.0
	s_cbranch_vccnz .LBB37_52
; %bb.51:
	v_div_scale_f32 v1, null, v7, v7, 1.0
	s_delay_alu instid0(VALU_DEP_1) | instskip(SKIP_2) | instid1(VALU_DEP_1)
	v_rcp_f32_e32 v2, v1
	s_waitcnt_depctr 0xfff
	v_fma_f32 v4, -v1, v2, 1.0
	v_fmac_f32_e32 v2, v4, v2
	v_div_scale_f32 v4, vcc_lo, 1.0, v7, 1.0
	s_delay_alu instid0(VALU_DEP_1) | instskip(NEXT) | instid1(VALU_DEP_1)
	v_mul_f32_e32 v5, v4, v2
	v_fma_f32 v6, -v1, v5, v4
	s_delay_alu instid0(VALU_DEP_1) | instskip(NEXT) | instid1(VALU_DEP_1)
	v_fmac_f32_e32 v5, v6, v2
	v_fma_f32 v1, -v1, v5, v4
	s_delay_alu instid0(VALU_DEP_1) | instskip(NEXT) | instid1(VALU_DEP_1)
	v_div_fmas_f32 v1, v1, v2, v5
	v_div_fixup_f32 v2, v1, v7, 1.0
.LBB37_52:
	v_add_nc_u32_e32 v0, s3, v0
	s_delay_alu instid0(VALU_DEP_1) | instskip(NEXT) | instid1(VALU_DEP_1)
	v_mad_u64_u32 v[4:5], null, v0, s39, s[0:1]
	v_mad_u64_u32 v[0:1], null, s1, v4, s[14:15]
	s_and_saveexec_b32 s0, s2
	s_cbranch_execz .LBB37_54
; %bb.53:
	v_lshrrev_b32_e32 v1, 16, v18
	s_delay_alu instid0(VALU_DEP_2) | instskip(SKIP_1) | instid1(VALU_DEP_3)
	v_mad_u64_u32 v[4:5], null, v0, 40, v[12:13]
	v_cvt_f32_f16_e32 v6, v18
	v_cvt_f32_f16_e32 v7, v1
	v_mov_b32_e32 v5, 0
	s_delay_alu instid0(VALU_DEP_3) | instskip(NEXT) | instid1(VALU_DEP_3)
	v_mul_f32_e32 v1, v2, v6
	v_mul_f32_e32 v2, v2, v7
	s_delay_alu instid0(VALU_DEP_3) | instskip(NEXT) | instid1(VALU_DEP_1)
	v_lshlrev_b64 v[4:5], 2, v[4:5]
	v_add_co_u32 v4, vcc_lo, s28, v4
	s_delay_alu instid0(VALU_DEP_2)
	v_add_co_ci_u32_e32 v5, vcc_lo, s29, v5, vcc_lo
	global_store_b64 v[4:5], v[1:2], off
.LBB37_54:
	s_or_b32 exec_lo, exec_lo, s0
	s_delay_alu instid0(SALU_CYCLE_1)
	s_and_b32 exec_lo, exec_lo, s4
	s_cbranch_execz .LBB37_56
; %bb.55:
	s_delay_alu instid0(VALU_DEP_1) | instskip(SKIP_1) | instid1(VALU_DEP_2)
	v_ashrrev_i32_e32 v1, 31, v0
	v_mov_b32_e32 v10, v3
	v_lshlrev_b64 v[0:1], 3, v[0:1]
	s_delay_alu instid0(VALU_DEP_1) | instskip(NEXT) | instid1(VALU_DEP_2)
	v_add_co_u32 v0, vcc_lo, s30, v0
	v_add_co_ci_u32_e32 v1, vcc_lo, s31, v1, vcc_lo
	global_store_b64 v[0:1], v[10:11], off
.LBB37_56:
	s_nop 0
	s_sendmsg sendmsg(MSG_DEALLOC_VGPRS)
	s_endpgm
	.section	.rodata,"a",@progbits
	.p2align	6, 0x0
	.amdhsa_kernel _ZL15flash_attn_tileILi40ELi40ELi16ELi2ELb0EEvPKcS1_S1_S1_S1_PKiPfP15HIP_vector_typeIfLj2EEffffjfiS5_IjLj3EEiiiiiiiiiiiliiliiiiil
		.amdhsa_group_segment_fixed_size 7776
		.amdhsa_private_segment_fixed_size 0
		.amdhsa_kernarg_size 464
		.amdhsa_user_sgpr_count 13
		.amdhsa_user_sgpr_dispatch_ptr 0
		.amdhsa_user_sgpr_queue_ptr 0
		.amdhsa_user_sgpr_kernarg_segment_ptr 1
		.amdhsa_user_sgpr_dispatch_id 0
		.amdhsa_user_sgpr_private_segment_size 0
		.amdhsa_wavefront_size32 1
		.amdhsa_uses_dynamic_stack 0
		.amdhsa_enable_private_segment 0
		.amdhsa_system_sgpr_workgroup_id_x 1
		.amdhsa_system_sgpr_workgroup_id_y 1
		.amdhsa_system_sgpr_workgroup_id_z 1
		.amdhsa_system_sgpr_workgroup_info 0
		.amdhsa_system_vgpr_workitem_id 1
		.amdhsa_next_free_vgpr 72
		.amdhsa_next_free_sgpr 48
		.amdhsa_reserve_vcc 1
		.amdhsa_float_round_mode_32 0
		.amdhsa_float_round_mode_16_64 0
		.amdhsa_float_denorm_mode_32 3
		.amdhsa_float_denorm_mode_16_64 3
		.amdhsa_dx10_clamp 1
		.amdhsa_ieee_mode 1
		.amdhsa_fp16_overflow 0
		.amdhsa_workgroup_processor_mode 1
		.amdhsa_memory_ordered 1
		.amdhsa_forward_progress 0
		.amdhsa_shared_vgpr_count 0
		.amdhsa_exception_fp_ieee_invalid_op 0
		.amdhsa_exception_fp_denorm_src 0
		.amdhsa_exception_fp_ieee_div_zero 0
		.amdhsa_exception_fp_ieee_overflow 0
		.amdhsa_exception_fp_ieee_underflow 0
		.amdhsa_exception_fp_ieee_inexact 0
		.amdhsa_exception_int_div_zero 0
	.end_amdhsa_kernel
	.section	.text._ZL15flash_attn_tileILi40ELi40ELi16ELi2ELb0EEvPKcS1_S1_S1_S1_PKiPfP15HIP_vector_typeIfLj2EEffffjfiS5_IjLj3EEiiiiiiiiiiiliiliiiiil,"axG",@progbits,_ZL15flash_attn_tileILi40ELi40ELi16ELi2ELb0EEvPKcS1_S1_S1_S1_PKiPfP15HIP_vector_typeIfLj2EEffffjfiS5_IjLj3EEiiiiiiiiiiiliiliiiiil,comdat
.Lfunc_end37:
	.size	_ZL15flash_attn_tileILi40ELi40ELi16ELi2ELb0EEvPKcS1_S1_S1_S1_PKiPfP15HIP_vector_typeIfLj2EEffffjfiS5_IjLj3EEiiiiiiiiiiiliiliiiiil, .Lfunc_end37-_ZL15flash_attn_tileILi40ELi40ELi16ELi2ELb0EEvPKcS1_S1_S1_S1_PKiPfP15HIP_vector_typeIfLj2EEffffjfiS5_IjLj3EEiiiiiiiiiiiliiliiiiil
                                        ; -- End function
	.section	.AMDGPU.csdata,"",@progbits
; Kernel info:
; codeLenInByte = 10248
; NumSgprs: 50
; NumVgprs: 72
; ScratchSize: 0
; MemoryBound: 0
; FloatMode: 240
; IeeeMode: 1
; LDSByteSize: 7776 bytes/workgroup (compile time only)
; SGPRBlocks: 6
; VGPRBlocks: 8
; NumSGPRsForWavesPerEU: 50
; NumVGPRsForWavesPerEU: 72
; Occupancy: 16
; WaveLimiterHint : 1
; COMPUTE_PGM_RSRC2:SCRATCH_EN: 0
; COMPUTE_PGM_RSRC2:USER_SGPR: 13
; COMPUTE_PGM_RSRC2:TRAP_HANDLER: 0
; COMPUTE_PGM_RSRC2:TGID_X_EN: 1
; COMPUTE_PGM_RSRC2:TGID_Y_EN: 1
; COMPUTE_PGM_RSRC2:TGID_Z_EN: 1
; COMPUTE_PGM_RSRC2:TIDIG_COMP_CNT: 1
	.section	.text._ZL33flash_attn_stream_k_fixup_uniformILi40ELi16ELi2EEvPfPK15HIP_vector_typeIfLj2EEiiiiiiS1_IjLj3EES5_S5_,"axG",@progbits,_ZL33flash_attn_stream_k_fixup_uniformILi40ELi16ELi2EEvPfPK15HIP_vector_typeIfLj2EEiiiiiiS1_IjLj3EES5_S5_,comdat
	.globl	_ZL33flash_attn_stream_k_fixup_uniformILi40ELi16ELi2EEvPfPK15HIP_vector_typeIfLj2EEiiiiiiS1_IjLj3EES5_S5_ ; -- Begin function _ZL33flash_attn_stream_k_fixup_uniformILi40ELi16ELi2EEvPfPK15HIP_vector_typeIfLj2EEiiiiiiS1_IjLj3EES5_S5_
	.p2align	8
	.type	_ZL33flash_attn_stream_k_fixup_uniformILi40ELi16ELi2EEvPfPK15HIP_vector_typeIfLj2EEiiiiiiS1_IjLj3EES5_S5_,@function
_ZL33flash_attn_stream_k_fixup_uniformILi40ELi16ELi2EEvPfPK15HIP_vector_typeIfLj2EEiiiiiiS1_IjLj3EES5_S5_: ; @_ZL33flash_attn_stream_k_fixup_uniformILi40ELi16ELi2EEvPfPK15HIP_vector_typeIfLj2EEiiiiiiS1_IjLj3EES5_S5_
; %bb.0:
	s_clause 0x1
	s_load_b256 s[4:11], s[0:1], 0x1c
	s_load_b128 s[16:19], s[0:1], 0x3c
	s_waitcnt lgkmcnt(0)
	s_mul_hi_u32 s2, s7, s13
	s_delay_alu instid0(SALU_CYCLE_1) | instskip(NEXT) | instid1(SALU_CYCLE_1)
	s_add_i32 s2, s13, s2
	s_lshr_b32 s2, s2, s8
	s_delay_alu instid0(SALU_CYCLE_1) | instskip(SKIP_2) | instid1(SALU_CYCLE_1)
	s_mul_i32 s3, s2, s9
	s_load_b64 s[8:9], s[0:1], 0x10
	s_sub_i32 s3, s13, s3
	s_mul_hi_u32 s7, s3, s10
	s_delay_alu instid0(SALU_CYCLE_1) | instskip(NEXT) | instid1(SALU_CYCLE_1)
	s_add_i32 s7, s3, s7
	s_lshr_b32 s7, s7, s11
	s_delay_alu instid0(SALU_CYCLE_1) | instskip(NEXT) | instid1(SALU_CYCLE_1)
	s_mul_i32 s10, s7, s16
	s_sub_i32 s3, s3, s10
	s_delay_alu instid0(SALU_CYCLE_1) | instskip(NEXT) | instid1(SALU_CYCLE_1)
	s_mul_hi_u32 s10, s3, s17
	s_add_i32 s10, s3, s10
	s_delay_alu instid0(SALU_CYCLE_1) | instskip(NEXT) | instid1(SALU_CYCLE_1)
	s_lshr_b32 s11, s10, s18
	s_mul_i32 s10, s11, s19
	s_lshl_b32 s11, s11, 1
	s_sub_i32 s10, s3, s10
	s_delay_alu instid0(SALU_CYCLE_1) | instskip(NEXT) | instid1(SALU_CYCLE_1)
	s_lshl_b32 s3, s10, 4
	s_add_i32 s3, s3, s14
	s_waitcnt lgkmcnt(0)
	s_cmp_lt_i32 s3, s8
	s_cselect_b32 s3, -1, 0
	s_add_i32 s11, s11, s15
	s_delay_alu instid0(SALU_CYCLE_1) | instskip(SKIP_1) | instid1(SALU_CYCLE_1)
	s_cmp_lt_i32 s11, s5
	s_cselect_b32 s12, -1, 0
	s_and_b32 s3, s3, s12
	s_delay_alu instid0(SALU_CYCLE_1)
	s_and_not1_b32 vcc_lo, exec_lo, s3
	s_cbranch_vccnz .LBB38_6
; %bb.1:
	s_mul_i32 s8, s2, s8
	s_mul_i32 s7, s7, s5
	s_add_i32 s8, s8, s14
	s_add_i32 s5, s11, s7
	s_mul_i32 s8, s8, s9
	s_load_b128 s[0:3], s[0:1], 0x0
	s_mul_i32 s7, s9, s10
	s_add_i32 s5, s5, s8
	s_mulk_i32 s7, 0x280
	s_mul_i32 s5, s5, 40
	s_lshl_b32 s9, s14, 1
	v_add3_u32 v1, s5, s7, v0
	s_mul_i32 s5, s13, s6
	s_delay_alu instid0(SALU_CYCLE_1) | instskip(NEXT) | instid1(VALU_DEP_1)
	s_add_i32 s10, s5, s6
	v_ashrrev_i32_e32 v2, 31, v1
	s_delay_alu instid0(VALU_DEP_1) | instskip(SKIP_1) | instid1(VALU_DEP_1)
	v_lshlrev_b64 v[1:2], 2, v[1:2]
	s_waitcnt lgkmcnt(0)
	v_add_co_u32 v1, vcc_lo, s0, v1
	s_delay_alu instid0(VALU_DEP_2) | instskip(SKIP_4) | instid1(SALU_CYCLE_1)
	v_add_co_ci_u32_e32 v2, vcc_lo, s1, v2, vcc_lo
	s_add_i32 s0, s9, s15
	s_lshl_b32 s1, s10, 5
	global_load_b32 v5, v[1:2], off
	s_add_i32 s0, s0, s1
	s_sub_i32 s0, s0, 32
	s_delay_alu instid0(SALU_CYCLE_1) | instskip(NEXT) | instid1(SALU_CYCLE_1)
	s_ashr_i32 s1, s0, 31
	s_lshl_b64 s[0:1], s[0:1], 3
	s_delay_alu instid0(SALU_CYCLE_1)
	s_add_u32 s0, s2, s0
	s_addc_u32 s1, s3, s1
	s_add_i32 s7, s10, -2
	s_load_b32 s11, s[0:1], 0x4
	s_cmp_lt_i32 s7, s5
	s_cbranch_scc1 .LBB38_4
; %bb.2:
	s_load_b32 s12, s[0:1], 0x0
	s_lshl_b32 s16, s4, 7
	s_mulk_i32 s14, 0x50
	s_ashr_i32 s17, s16, 31
	s_waitcnt lgkmcnt(0)
	v_mov_b32_e32 v6, s11
	s_lshl_b64 s[0:1], s[16:17], 2
	s_delay_alu instid0(SALU_CYCLE_1)
	s_add_u32 s7, s2, s0
	s_addc_u32 s8, s3, s1
	s_add_i32 s13, s13, 1
	s_lshl_b32 s4, s4, 5
	s_mul_i32 s0, s6, s13
	s_mul_i32 s6, s15, 40
	s_lshl_b32 s1, s0, 5
	s_mulk_i32 s0, 0x500
	s_add_i32 s6, s6, s14
	s_add_i32 s1, s15, s1
	;; [unrolled: 1-line block ×4, first 2 shown]
	v_add3_u32 v3, s6, v0, 0xfffff600
	v_mov_b32_e32 v0, s12
	s_add_i32 s0, s0, s9
	s_add_i32 s4, s10, -1
	s_sub_i32 s0, s0, 64
.LBB38_3:                               ; =>This Inner Loop Header: Depth=1
	s_delay_alu instid0(VALU_DEP_2) | instskip(SKIP_1) | instid1(SALU_CYCLE_1)
	v_ashrrev_i32_e32 v4, 31, v3
	s_ashr_i32 s1, s0, 31
	s_lshl_b64 s[10:11], s[0:1], 3
	s_delay_alu instid0(SALU_CYCLE_1) | instskip(NEXT) | instid1(VALU_DEP_1)
	s_add_u32 s10, s2, s10
	v_lshlrev_b64 v[7:8], 2, v[3:4]
	s_addc_u32 s11, s3, s11
	s_add_i32 s4, s4, -1
	s_sub_i32 s0, s0, 32
	s_cmp_le_i32 s4, s5
	s_load_b64 s[10:11], s[10:11], 0x0
	v_add_co_u32 v7, vcc_lo, s7, v7
	v_add_co_ci_u32_e32 v8, vcc_lo, s8, v8, vcc_lo
	global_load_b32 v4, v[7:8], off
	v_max_f32_e32 v7, v0, v0
	s_waitcnt lgkmcnt(0)
	v_max_f32_e64 v8, s10, s10
	s_delay_alu instid0(VALU_DEP_1) | instskip(NEXT) | instid1(VALU_DEP_1)
	v_max_f32_e32 v7, v7, v8
	v_sub_f32_e32 v8, s10, v7
	s_delay_alu instid0(VALU_DEP_1) | instskip(NEXT) | instid1(VALU_DEP_1)
	v_dual_sub_f32 v0, v0, v7 :: v_dual_mul_f32 v9, 0x3fb8aa3b, v8
	v_fma_f32 v10, 0x3fb8aa3b, v8, -v9
	v_rndne_f32_e32 v11, v9
	s_delay_alu instid0(VALU_DEP_3) | instskip(NEXT) | instid1(VALU_DEP_2)
	v_mul_f32_e32 v12, 0x3fb8aa3b, v0
	v_dual_fmac_f32 v10, 0x32a5705f, v8 :: v_dual_sub_f32 v9, v9, v11
	v_cvt_i32_f32_e32 v11, v11
	s_delay_alu instid0(VALU_DEP_3) | instskip(SKIP_1) | instid1(VALU_DEP_4)
	v_fma_f32 v13, 0x3fb8aa3b, v0, -v12
	v_rndne_f32_e32 v14, v12
	v_add_f32_e32 v9, v9, v10
	v_cmp_ngt_f32_e32 vcc_lo, 0xc2ce8ed0, v8
	s_delay_alu instid0(VALU_DEP_3) | instskip(NEXT) | instid1(VALU_DEP_3)
	v_sub_f32_e32 v10, v12, v14
	v_exp_f32_e32 v9, v9
	s_waitcnt_depctr 0xfff
	v_ldexp_f32 v9, v9, v11
	v_cvt_i32_f32_e32 v11, v14
	s_delay_alu instid0(VALU_DEP_2) | instskip(SKIP_1) | instid1(VALU_DEP_2)
	v_cndmask_b32_e32 v9, 0, v9, vcc_lo
	v_cmp_nlt_f32_e32 vcc_lo, 0x42b17218, v8
	v_cndmask_b32_e32 v9, 0x7f800000, v9, vcc_lo
	v_cmp_ngt_f32_e32 vcc_lo, 0xc2ce8ed0, v0
	v_fmac_f32_e32 v13, 0x32a5705f, v0
	s_delay_alu instid0(VALU_DEP_1) | instskip(NEXT) | instid1(VALU_DEP_1)
	v_add_f32_e32 v10, v10, v13
	v_exp_f32_e32 v10, v10
	s_waitcnt_depctr 0xfff
	v_ldexp_f32 v10, v10, v11
	s_delay_alu instid0(VALU_DEP_1)
	v_dual_mov_b32 v11, v6 :: v_dual_cndmask_b32 v10, 0, v10
	v_cmp_le_f32_e32 vcc_lo, 0xc1a00000, v8
	s_waitcnt vmcnt(1)
	v_dual_cndmask_b32 v8, 0, v9 :: v_dual_mov_b32 v9, v5
	v_cmp_nlt_f32_e32 vcc_lo, 0x42b17218, v0
	v_cndmask_b32_e32 v5, 0x7f800000, v10, vcc_lo
	s_delay_alu instid0(VALU_DEP_3) | instskip(SKIP_2) | instid1(VALU_DEP_3)
	v_mul_f32_e32 v10, s11, v8
	v_cmp_le_f32_e32 vcc_lo, 0xc1a00000, v0
	v_mov_b32_e32 v0, v7
	v_mov_b32_e32 v6, v10
	s_waitcnt vmcnt(0)
	v_dual_cndmask_b32 v12, 0, v5 :: v_dual_mul_f32 v5, v4, v8
	s_delay_alu instid0(VALU_DEP_1) | instskip(NEXT) | instid1(VALU_DEP_2)
	v_dual_fmac_f32 v6, v11, v12 :: v_dual_add_nc_u32 v3, 0xfffffb00, v3
	v_fmac_f32_e32 v5, v9, v12
	s_cbranch_scc0 .LBB38_3
	s_branch .LBB38_5
.LBB38_4:
	s_waitcnt lgkmcnt(0)
	v_mov_b32_e32 v6, s11
.LBB38_5:
	s_waitcnt vmcnt(0)
	s_delay_alu instid0(VALU_DEP_1) | instskip(NEXT) | instid1(VALU_DEP_1)
	v_div_scale_f32 v0, null, v6, v6, v5
	v_rcp_f32_e32 v3, v0
	s_waitcnt_depctr 0xfff
	v_fma_f32 v4, -v0, v3, 1.0
	s_delay_alu instid0(VALU_DEP_1) | instskip(SKIP_1) | instid1(VALU_DEP_1)
	v_fmac_f32_e32 v3, v4, v3
	v_div_scale_f32 v4, vcc_lo, v5, v6, v5
	v_mul_f32_e32 v7, v4, v3
	s_delay_alu instid0(VALU_DEP_1) | instskip(NEXT) | instid1(VALU_DEP_1)
	v_fma_f32 v8, -v0, v7, v4
	v_fmac_f32_e32 v7, v8, v3
	s_delay_alu instid0(VALU_DEP_1) | instskip(NEXT) | instid1(VALU_DEP_1)
	v_fma_f32 v0, -v0, v7, v4
	v_div_fmas_f32 v0, v0, v3, v7
	s_delay_alu instid0(VALU_DEP_1)
	v_div_fixup_f32 v0, v0, v6, v5
	global_store_b32 v[1:2], v0, off
.LBB38_6:
	s_nop 0
	s_sendmsg sendmsg(MSG_DEALLOC_VGPRS)
	s_endpgm
	.section	.rodata,"a",@progbits
	.p2align	6, 0x0
	.amdhsa_kernel _ZL33flash_attn_stream_k_fixup_uniformILi40ELi16ELi2EEvPfPK15HIP_vector_typeIfLj2EEiiiiiiS1_IjLj3EES5_S5_
		.amdhsa_group_segment_fixed_size 0
		.amdhsa_private_segment_fixed_size 0
		.amdhsa_kernarg_size 76
		.amdhsa_user_sgpr_count 13
		.amdhsa_user_sgpr_dispatch_ptr 0
		.amdhsa_user_sgpr_queue_ptr 0
		.amdhsa_user_sgpr_kernarg_segment_ptr 1
		.amdhsa_user_sgpr_dispatch_id 0
		.amdhsa_user_sgpr_private_segment_size 0
		.amdhsa_wavefront_size32 1
		.amdhsa_uses_dynamic_stack 0
		.amdhsa_enable_private_segment 0
		.amdhsa_system_sgpr_workgroup_id_x 1
		.amdhsa_system_sgpr_workgroup_id_y 1
		.amdhsa_system_sgpr_workgroup_id_z 1
		.amdhsa_system_sgpr_workgroup_info 0
		.amdhsa_system_vgpr_workitem_id 0
		.amdhsa_next_free_vgpr 15
		.amdhsa_next_free_sgpr 20
		.amdhsa_reserve_vcc 1
		.amdhsa_float_round_mode_32 0
		.amdhsa_float_round_mode_16_64 0
		.amdhsa_float_denorm_mode_32 3
		.amdhsa_float_denorm_mode_16_64 3
		.amdhsa_dx10_clamp 1
		.amdhsa_ieee_mode 1
		.amdhsa_fp16_overflow 0
		.amdhsa_workgroup_processor_mode 1
		.amdhsa_memory_ordered 1
		.amdhsa_forward_progress 0
		.amdhsa_shared_vgpr_count 0
		.amdhsa_exception_fp_ieee_invalid_op 0
		.amdhsa_exception_fp_denorm_src 0
		.amdhsa_exception_fp_ieee_div_zero 0
		.amdhsa_exception_fp_ieee_overflow 0
		.amdhsa_exception_fp_ieee_underflow 0
		.amdhsa_exception_fp_ieee_inexact 0
		.amdhsa_exception_int_div_zero 0
	.end_amdhsa_kernel
	.section	.text._ZL33flash_attn_stream_k_fixup_uniformILi40ELi16ELi2EEvPfPK15HIP_vector_typeIfLj2EEiiiiiiS1_IjLj3EES5_S5_,"axG",@progbits,_ZL33flash_attn_stream_k_fixup_uniformILi40ELi16ELi2EEvPfPK15HIP_vector_typeIfLj2EEiiiiiiS1_IjLj3EES5_S5_,comdat
.Lfunc_end38:
	.size	_ZL33flash_attn_stream_k_fixup_uniformILi40ELi16ELi2EEvPfPK15HIP_vector_typeIfLj2EEiiiiiiS1_IjLj3EES5_S5_, .Lfunc_end38-_ZL33flash_attn_stream_k_fixup_uniformILi40ELi16ELi2EEvPfPK15HIP_vector_typeIfLj2EEiiiiiiS1_IjLj3EES5_S5_
                                        ; -- End function
	.section	.AMDGPU.csdata,"",@progbits
; Kernel info:
; codeLenInByte = 988
; NumSgprs: 22
; NumVgprs: 15
; ScratchSize: 0
; MemoryBound: 0
; FloatMode: 240
; IeeeMode: 1
; LDSByteSize: 0 bytes/workgroup (compile time only)
; SGPRBlocks: 2
; VGPRBlocks: 1
; NumSGPRsForWavesPerEU: 22
; NumVGPRsForWavesPerEU: 15
; Occupancy: 16
; WaveLimiterHint : 0
; COMPUTE_PGM_RSRC2:SCRATCH_EN: 0
; COMPUTE_PGM_RSRC2:USER_SGPR: 13
; COMPUTE_PGM_RSRC2:TRAP_HANDLER: 0
; COMPUTE_PGM_RSRC2:TGID_X_EN: 1
; COMPUTE_PGM_RSRC2:TGID_Y_EN: 1
; COMPUTE_PGM_RSRC2:TGID_Z_EN: 1
; COMPUTE_PGM_RSRC2:TIDIG_COMP_CNT: 0
	.section	.text._ZL33flash_attn_stream_k_fixup_generalILi40ELi16ELi2EEvPfPK15HIP_vector_typeIfLj2EEiiiiS1_IjLj3EES5_S5_S5_,"axG",@progbits,_ZL33flash_attn_stream_k_fixup_generalILi40ELi16ELi2EEvPfPK15HIP_vector_typeIfLj2EEiiiiS1_IjLj3EES5_S5_S5_,comdat
	.globl	_ZL33flash_attn_stream_k_fixup_generalILi40ELi16ELi2EEvPfPK15HIP_vector_typeIfLj2EEiiiiS1_IjLj3EES5_S5_S5_ ; -- Begin function _ZL33flash_attn_stream_k_fixup_generalILi40ELi16ELi2EEvPfPK15HIP_vector_typeIfLj2EEiiiiS1_IjLj3EES5_S5_S5_
	.p2align	8
	.type	_ZL33flash_attn_stream_k_fixup_generalILi40ELi16ELi2EEvPfPK15HIP_vector_typeIfLj2EEiiiiS1_IjLj3EES5_S5_S5_,@function
_ZL33flash_attn_stream_k_fixup_generalILi40ELi16ELi2EEvPfPK15HIP_vector_typeIfLj2EEiiiiS1_IjLj3EES5_S5_S5_: ; @_ZL33flash_attn_stream_k_fixup_generalILi40ELi16ELi2EEvPfPK15HIP_vector_typeIfLj2EEiiiiS1_IjLj3EES5_S5_S5_
; %bb.0:
	s_clause 0x1
	s_load_b128 s[4:7], s[0:1], 0x10
	s_load_b32 s20, s[0:1], 0x50
	s_mov_b32 s2, 0
	s_waitcnt lgkmcnt(0)
	s_mul_hi_i32 s3, s7, s13
	s_mul_i32 s12, s7, s13
	s_cmp_lg_u64 s[2:3], 0
	s_cbranch_scc0 .LBB39_21
; %bb.1:
	v_cvt_f32_ubyte0_e32 v1, 0
	v_cvt_f32_u32_e32 v2, s20
	s_sub_u32 s10, 0, s20
	s_subb_u32 s11, 0, 0
	s_delay_alu instid0(VALU_DEP_1) | instskip(NEXT) | instid1(VALU_DEP_1)
	v_fmamk_f32 v1, v1, 0x4f800000, v2
	v_rcp_f32_e32 v1, v1
	s_waitcnt_depctr 0xfff
	v_mul_f32_e32 v1, 0x5f7ffffc, v1
	s_delay_alu instid0(VALU_DEP_1) | instskip(NEXT) | instid1(VALU_DEP_1)
	v_mul_f32_e32 v2, 0x2f800000, v1
	v_trunc_f32_e32 v2, v2
	s_delay_alu instid0(VALU_DEP_1) | instskip(SKIP_1) | instid1(VALU_DEP_2)
	v_fmamk_f32 v1, v2, 0xcf800000, v1
	v_cvt_u32_f32_e32 v2, v2
	v_cvt_u32_f32_e32 v1, v1
	s_delay_alu instid0(VALU_DEP_2) | instskip(NEXT) | instid1(VALU_DEP_2)
	v_readfirstlane_b32 s8, v2
	v_readfirstlane_b32 s9, v1
	s_delay_alu instid0(VALU_DEP_2) | instskip(NEXT) | instid1(VALU_DEP_1)
	s_mul_i32 s16, s10, s8
	s_mul_hi_u32 s18, s10, s9
	s_mul_i32 s17, s11, s9
	s_add_i32 s16, s18, s16
	s_mul_i32 s19, s10, s9
	s_add_i32 s16, s16, s17
	s_mul_hi_u32 s18, s9, s19
	s_mul_hi_u32 s21, s8, s19
	s_mul_i32 s17, s8, s19
	s_mul_hi_u32 s19, s9, s16
	s_mul_i32 s9, s9, s16
	s_mul_hi_u32 s22, s8, s16
	s_add_u32 s9, s18, s9
	s_addc_u32 s18, 0, s19
	s_add_u32 s9, s9, s17
	s_mul_i32 s16, s8, s16
	s_addc_u32 s9, s18, s21
	s_addc_u32 s17, s22, 0
	s_add_u32 s9, s9, s16
	s_addc_u32 s16, 0, s17
	v_add_co_u32 v1, s9, v1, s9
	s_delay_alu instid0(VALU_DEP_1) | instskip(SKIP_1) | instid1(VALU_DEP_1)
	s_cmp_lg_u32 s9, 0
	s_addc_u32 s8, s8, s16
	v_readfirstlane_b32 s9, v1
	s_mul_i32 s16, s10, s8
	s_delay_alu instid0(VALU_DEP_1)
	s_mul_hi_u32 s17, s10, s9
	s_mul_i32 s11, s11, s9
	s_add_i32 s16, s17, s16
	s_mul_i32 s10, s10, s9
	s_add_i32 s16, s16, s11
	s_mul_hi_u32 s17, s8, s10
	s_mul_i32 s18, s8, s10
	s_mul_hi_u32 s10, s9, s10
	s_mul_hi_u32 s19, s9, s16
	s_mul_i32 s9, s9, s16
	s_mul_hi_u32 s11, s8, s16
	s_add_u32 s9, s10, s9
	s_addc_u32 s10, 0, s19
	s_add_u32 s9, s9, s18
	s_mul_i32 s16, s8, s16
	s_addc_u32 s9, s10, s17
	s_addc_u32 s10, s11, 0
	s_add_u32 s9, s9, s16
	s_addc_u32 s10, 0, s10
	v_add_co_u32 v1, s9, v1, s9
	s_delay_alu instid0(VALU_DEP_1) | instskip(SKIP_2) | instid1(SALU_CYCLE_1)
	s_cmp_lg_u32 s9, 0
	s_addc_u32 s16, s8, s10
	s_ashr_i32 s8, s3, 31
	s_add_u32 s10, s12, s8
	s_addc_u32 s11, s3, s8
	v_readfirstlane_b32 s3, v1
	s_mov_b32 s9, s8
	s_delay_alu instid0(SALU_CYCLE_1) | instskip(NEXT) | instid1(SALU_CYCLE_1)
	s_xor_b64 s[10:11], s[10:11], s[8:9]
	s_mul_i32 s18, s10, s16
	s_delay_alu instid0(VALU_DEP_1)
	s_mul_hi_u32 s19, s10, s3
	s_mul_hi_u32 s17, s10, s16
	;; [unrolled: 1-line block ×3, first 2 shown]
	s_mul_i32 s3, s11, s3
	s_add_u32 s18, s19, s18
	s_addc_u32 s17, 0, s17
	s_mul_hi_u32 s21, s11, s16
	s_add_u32 s3, s18, s3
	s_mul_i32 s16, s11, s16
	s_addc_u32 s3, s17, s22
	s_addc_u32 s17, s21, 0
	s_add_u32 s3, s3, s16
	s_addc_u32 s16, 0, s17
	s_mul_i32 s18, s20, s3
	s_add_u32 s17, s3, 1
	v_sub_co_u32 v1, s10, s10, s18
	s_mul_hi_u32 s18, s20, s3
	s_addc_u32 s19, s16, 0
	s_mul_i32 s21, s20, s16
	s_delay_alu instid0(VALU_DEP_1)
	v_sub_co_u32 v2, s22, v1, s20
	s_add_u32 s23, s3, 2
	s_addc_u32 s24, s16, 0
	s_add_i32 s18, s18, s21
	s_cmp_lg_u32 s10, 0
	v_readfirstlane_b32 s10, v2
	s_subb_u32 s11, s11, s18
	s_cmp_lg_u32 s22, 0
	s_subb_u32 s18, s11, 0
	s_delay_alu instid0(VALU_DEP_1) | instskip(SKIP_4) | instid1(SALU_CYCLE_1)
	s_cmp_ge_u32 s10, s20
	s_cselect_b32 s10, -1, 0
	s_cmp_eq_u32 s18, 0
	v_readfirstlane_b32 s18, v1
	s_cselect_b32 s10, s10, -1
	s_cmp_lg_u32 s10, 0
	s_cselect_b32 s10, s23, s17
	s_cselect_b32 s17, s24, s19
	s_cmp_ge_u32 s18, s20
	s_cselect_b32 s18, -1, 0
	s_cmp_eq_u32 s11, 0
	s_cselect_b32 s11, s18, -1
	s_delay_alu instid0(SALU_CYCLE_1) | instskip(SKIP_2) | instid1(SALU_CYCLE_1)
	s_cmp_lg_u32 s11, 0
	s_cselect_b32 s11, s17, s16
	s_cselect_b32 s10, s10, s3
	s_xor_b64 s[10:11], s[10:11], s[8:9]
	s_delay_alu instid0(SALU_CYCLE_1)
	s_sub_u32 s16, s10, s8
	s_load_b128 s[8:11], s[0:1], 0x44
	s_and_not1_b32 vcc_lo, exec_lo, s2
	s_cbranch_vccnz .LBB39_3
.LBB39_2:
	v_cvt_f32_u32_e32 v1, s20
	s_sub_i32 s3, 0, s20
	s_delay_alu instid0(VALU_DEP_1) | instskip(SKIP_2) | instid1(VALU_DEP_1)
	v_rcp_iflag_f32_e32 v1, v1
	s_waitcnt_depctr 0xfff
	v_mul_f32_e32 v1, 0x4f7ffffe, v1
	v_cvt_u32_f32_e32 v1, v1
	s_delay_alu instid0(VALU_DEP_1) | instskip(NEXT) | instid1(VALU_DEP_1)
	v_readfirstlane_b32 s2, v1
	s_mul_i32 s3, s3, s2
	s_delay_alu instid0(SALU_CYCLE_1) | instskip(NEXT) | instid1(SALU_CYCLE_1)
	s_mul_hi_u32 s3, s2, s3
	s_add_i32 s2, s2, s3
	s_delay_alu instid0(SALU_CYCLE_1) | instskip(NEXT) | instid1(SALU_CYCLE_1)
	s_mul_hi_u32 s2, s12, s2
	s_mul_i32 s3, s2, s20
	s_waitcnt lgkmcnt(0)
	s_add_i32 s11, s2, 1
	s_sub_i32 s3, s12, s3
	s_delay_alu instid0(SALU_CYCLE_1)
	s_sub_i32 s12, s3, s20
	s_cmp_ge_u32 s3, s20
	s_cselect_b32 s2, s11, s2
	s_cselect_b32 s3, s12, s3
	s_add_i32 s11, s2, 1
	s_cmp_ge_u32 s3, s20
	s_cselect_b32 s16, s11, s2
.LBB39_3:
	s_waitcnt lgkmcnt(0)
	s_add_i32 s11, s13, 1
	s_mov_b32 s2, 0
	s_mul_hi_i32 s3, s7, s11
	s_mul_i32 s11, s7, s11
	s_cmp_lg_u64 s[2:3], 0
	s_cbranch_scc0 .LBB39_22
; %bb.4:
	v_cvt_f32_ubyte0_e32 v1, 0
	v_cvt_f32_u32_e32 v2, s20
	s_sub_u32 s18, 0, s20
	s_subb_u32 s19, 0, 0
	s_delay_alu instid0(VALU_DEP_1) | instskip(NEXT) | instid1(VALU_DEP_1)
	v_fmamk_f32 v1, v1, 0x4f800000, v2
	v_rcp_f32_e32 v1, v1
	s_waitcnt_depctr 0xfff
	v_mul_f32_e32 v1, 0x5f7ffffc, v1
	s_delay_alu instid0(VALU_DEP_1) | instskip(NEXT) | instid1(VALU_DEP_1)
	v_mul_f32_e32 v2, 0x2f800000, v1
	v_trunc_f32_e32 v2, v2
	s_delay_alu instid0(VALU_DEP_1) | instskip(SKIP_1) | instid1(VALU_DEP_2)
	v_fmamk_f32 v1, v2, 0xcf800000, v1
	v_cvt_u32_f32_e32 v2, v2
	v_cvt_u32_f32_e32 v1, v1
	s_delay_alu instid0(VALU_DEP_2) | instskip(NEXT) | instid1(VALU_DEP_2)
	v_readfirstlane_b32 s12, v2
	v_readfirstlane_b32 s17, v1
	s_delay_alu instid0(VALU_DEP_2) | instskip(NEXT) | instid1(VALU_DEP_1)
	s_mul_i32 s21, s18, s12
	s_mul_hi_u32 s23, s18, s17
	s_mul_i32 s22, s19, s17
	s_add_i32 s21, s23, s21
	s_mul_i32 s24, s18, s17
	s_add_i32 s21, s21, s22
	s_mul_hi_u32 s23, s17, s24
	s_mul_hi_u32 s25, s12, s24
	s_mul_i32 s22, s12, s24
	s_mul_hi_u32 s24, s17, s21
	s_mul_i32 s17, s17, s21
	s_mul_hi_u32 s26, s12, s21
	s_add_u32 s17, s23, s17
	s_addc_u32 s23, 0, s24
	s_add_u32 s17, s17, s22
	s_mul_i32 s21, s12, s21
	s_addc_u32 s17, s23, s25
	s_addc_u32 s22, s26, 0
	s_add_u32 s17, s17, s21
	s_addc_u32 s21, 0, s22
	v_add_co_u32 v1, s17, v1, s17
	s_delay_alu instid0(VALU_DEP_1) | instskip(SKIP_1) | instid1(VALU_DEP_1)
	s_cmp_lg_u32 s17, 0
	s_addc_u32 s12, s12, s21
	v_readfirstlane_b32 s17, v1
	s_mul_i32 s21, s18, s12
	s_delay_alu instid0(VALU_DEP_1)
	s_mul_hi_u32 s22, s18, s17
	s_mul_i32 s19, s19, s17
	s_add_i32 s21, s22, s21
	s_mul_i32 s18, s18, s17
	s_add_i32 s21, s21, s19
	s_mul_hi_u32 s22, s12, s18
	s_mul_i32 s23, s12, s18
	s_mul_hi_u32 s18, s17, s18
	s_mul_hi_u32 s24, s17, s21
	s_mul_i32 s17, s17, s21
	s_mul_hi_u32 s19, s12, s21
	s_add_u32 s17, s18, s17
	s_addc_u32 s18, 0, s24
	s_add_u32 s17, s17, s23
	s_mul_i32 s21, s12, s21
	s_addc_u32 s17, s18, s22
	s_addc_u32 s18, s19, 0
	s_add_u32 s17, s17, s21
	s_addc_u32 s18, 0, s18
	v_add_co_u32 v1, s17, v1, s17
	s_delay_alu instid0(VALU_DEP_1) | instskip(SKIP_2) | instid1(SALU_CYCLE_1)
	s_cmp_lg_u32 s17, 0
	s_addc_u32 s12, s12, s18
	s_ashr_i32 s18, s3, 31
	s_add_u32 s22, s11, s18
	s_addc_u32 s23, s3, s18
	v_readfirstlane_b32 s3, v1
	s_mov_b32 s19, s18
	s_delay_alu instid0(SALU_CYCLE_1) | instskip(NEXT) | instid1(SALU_CYCLE_1)
	s_xor_b64 s[22:23], s[22:23], s[18:19]
	s_mul_i32 s21, s22, s12
	s_delay_alu instid0(VALU_DEP_1)
	s_mul_hi_u32 s24, s22, s3
	s_mul_hi_u32 s17, s22, s12
	;; [unrolled: 1-line block ×3, first 2 shown]
	s_mul_i32 s3, s23, s3
	s_add_u32 s21, s24, s21
	s_addc_u32 s17, 0, s17
	s_mul_hi_u32 s25, s23, s12
	s_add_u32 s3, s21, s3
	s_mul_i32 s12, s23, s12
	s_addc_u32 s3, s17, s26
	s_addc_u32 s17, s25, 0
	s_add_u32 s3, s3, s12
	s_addc_u32 s12, 0, s17
	s_mul_i32 s21, s20, s3
	s_add_u32 s17, s3, 1
	v_sub_co_u32 v1, s21, s22, s21
	s_mul_hi_u32 s22, s20, s3
	s_addc_u32 s24, s12, 0
	s_mul_i32 s25, s20, s12
	s_delay_alu instid0(VALU_DEP_1)
	v_sub_co_u32 v2, s26, v1, s20
	s_add_u32 s27, s3, 2
	s_addc_u32 s28, s12, 0
	s_add_i32 s22, s22, s25
	s_cmp_lg_u32 s21, 0
	v_readfirstlane_b32 s21, v2
	s_subb_u32 s22, s23, s22
	s_cmp_lg_u32 s26, 0
	s_subb_u32 s23, s22, 0
	s_delay_alu instid0(VALU_DEP_1) | instskip(SKIP_4) | instid1(SALU_CYCLE_1)
	s_cmp_ge_u32 s21, s20
	s_cselect_b32 s21, -1, 0
	s_cmp_eq_u32 s23, 0
	v_readfirstlane_b32 s23, v1
	s_cselect_b32 s21, s21, -1
	s_cmp_lg_u32 s21, 0
	s_cselect_b32 s17, s27, s17
	s_cselect_b32 s21, s28, s24
	s_cmp_ge_u32 s23, s20
	s_cselect_b32 s23, -1, 0
	s_cmp_eq_u32 s22, 0
	s_cselect_b32 s22, s23, -1
	s_delay_alu instid0(SALU_CYCLE_1) | instskip(SKIP_2) | instid1(SALU_CYCLE_1)
	s_cmp_lg_u32 s22, 0
	s_cselect_b32 s23, s21, s12
	s_cselect_b32 s22, s17, s3
	s_xor_b64 s[22:23], s[22:23], s[18:19]
	s_delay_alu instid0(SALU_CYCLE_1)
	s_sub_u32 s18, s22, s18
	s_and_not1_b32 vcc_lo, exec_lo, s2
	s_cbranch_vccnz .LBB39_6
.LBB39_5:
	v_cvt_f32_u32_e32 v1, s20
	s_sub_i32 s3, 0, s20
	s_delay_alu instid0(VALU_DEP_1) | instskip(SKIP_2) | instid1(VALU_DEP_1)
	v_rcp_iflag_f32_e32 v1, v1
	s_waitcnt_depctr 0xfff
	v_mul_f32_e32 v1, 0x4f7ffffe, v1
	v_cvt_u32_f32_e32 v1, v1
	s_delay_alu instid0(VALU_DEP_1) | instskip(NEXT) | instid1(VALU_DEP_1)
	v_readfirstlane_b32 s2, v1
	s_mul_i32 s3, s3, s2
	s_delay_alu instid0(SALU_CYCLE_1) | instskip(NEXT) | instid1(SALU_CYCLE_1)
	s_mul_hi_u32 s3, s2, s3
	s_add_i32 s2, s2, s3
	s_delay_alu instid0(SALU_CYCLE_1) | instskip(NEXT) | instid1(SALU_CYCLE_1)
	s_mul_hi_u32 s2, s11, s2
	s_mul_i32 s3, s2, s20
	s_delay_alu instid0(SALU_CYCLE_1)
	s_sub_i32 s3, s11, s3
	s_add_i32 s11, s2, 1
	s_sub_i32 s12, s3, s20
	s_cmp_ge_u32 s3, s20
	s_cselect_b32 s2, s11, s2
	s_cselect_b32 s3, s12, s3
	s_add_i32 s11, s2, 1
	s_cmp_ge_u32 s3, s20
	s_cselect_b32 s18, s11, s2
.LBB39_6:
	s_delay_alu instid0(SALU_CYCLE_1) | instskip(SKIP_3) | instid1(SALU_CYCLE_1)
	s_cmp_eq_u32 s16, s18
	s_mul_hi_u32 s2, s16, s8
	s_cselect_b32 s3, -1, 0
	s_add_i32 s2, s2, s16
	s_lshr_b32 s11, s2, s9
	s_delay_alu instid0(SALU_CYCLE_1) | instskip(NEXT) | instid1(SALU_CYCLE_1)
	s_mul_i32 s2, s11, s10
	s_cmp_eq_u32 s2, s16
	s_mul_hi_u32 s2, s18, s8
	s_cselect_b32 s12, -1, 0
	s_add_i32 s2, s2, s18
	s_delay_alu instid0(SALU_CYCLE_1) | instskip(NEXT) | instid1(SALU_CYCLE_1)
	s_lshr_b32 s2, s2, s9
	s_cmp_eq_u32 s11, s2
	s_mul_i32 s2, s2, s10
	s_cselect_b32 s17, -1, 0
	s_cmp_lg_u32 s2, s18
	s_cselect_b32 s2, -1, 0
	s_or_b32 s3, s3, s12
	s_and_b32 s2, s17, s2
	s_delay_alu instid0(SALU_CYCLE_1) | instskip(NEXT) | instid1(SALU_CYCLE_1)
	s_or_b32 s2, s3, s2
	s_and_b32 vcc_lo, exec_lo, s2
	s_cbranch_vccnz .LBB39_24
; %bb.7:
	s_load_b256 s[24:31], s[0:1], 0x20
	s_waitcnt lgkmcnt(0)
	s_mul_hi_u32 s2, s16, s24
	s_delay_alu instid0(SALU_CYCLE_1) | instskip(NEXT) | instid1(SALU_CYCLE_1)
	s_add_i32 s2, s2, s16
	s_lshr_b32 s17, s2, s25
	s_load_b32 s2, s[0:1], 0x40
	s_mul_i32 s3, s17, s26
	s_delay_alu instid0(SALU_CYCLE_1) | instskip(NEXT) | instid1(SALU_CYCLE_1)
	s_sub_i32 s3, s16, s3
	s_mul_hi_u32 s12, s3, s27
	s_delay_alu instid0(SALU_CYCLE_1) | instskip(NEXT) | instid1(SALU_CYCLE_1)
	s_add_i32 s12, s3, s12
	s_lshr_b32 s19, s12, s28
	s_delay_alu instid0(SALU_CYCLE_1) | instskip(NEXT) | instid1(SALU_CYCLE_1)
	s_mul_i32 s12, s19, s29
	s_sub_i32 s3, s3, s12
	s_delay_alu instid0(SALU_CYCLE_1) | instskip(NEXT) | instid1(SALU_CYCLE_1)
	s_mul_hi_u32 s12, s3, s30
	s_add_i32 s12, s3, s12
	s_delay_alu instid0(SALU_CYCLE_1)
	s_lshr_b32 s12, s12, s31
	s_waitcnt lgkmcnt(0)
	s_mul_i32 s2, s12, s2
	s_lshl_b32 s21, s12, 1
	s_sub_i32 s2, s3, s2
	s_mov_b32 s12, 0
	s_mul_hi_u32 s3, s2, s8
	s_delay_alu instid0(SALU_CYCLE_1) | instskip(NEXT) | instid1(SALU_CYCLE_1)
	s_add_i32 s2, s2, s3
	s_lshr_b32 s18, s2, s9
	s_delay_alu instid0(SALU_CYCLE_1) | instskip(NEXT) | instid1(SALU_CYCLE_1)
	s_lshl_b32 s2, s18, 4
	s_add_i32 s2, s2, s14
	s_delay_alu instid0(SALU_CYCLE_1) | instskip(SKIP_2) | instid1(SALU_CYCLE_1)
	s_cmp_lt_i32 s2, s4
	s_cselect_b32 s2, -1, 0
	s_add_i32 s21, s21, s15
	s_cmp_lt_i32 s21, s6
	s_cselect_b32 s3, -1, 0
	s_delay_alu instid0(SALU_CYCLE_1) | instskip(NEXT) | instid1(SALU_CYCLE_1)
	s_and_b32 s2, s2, s3
	s_and_not1_b32 vcc_lo, exec_lo, s2
	s_cbranch_vccnz .LBB39_24
; %bb.8:
	s_load_b128 s[0:3], s[0:1], 0x0
	s_lshl_b32 s22, s20, 7
	s_mov_b32 s23, s12
	s_lshl_b32 s24, s14, 1
	s_lshl_b64 s[22:23], s[22:23], 2
	s_mul_i32 s19, s19, s6
	s_mul_i32 s4, s17, s4
	s_add_i32 s6, s24, s15
	v_cvt_f32_ubyte0_e32 v3, 0
	v_cvt_f32_u32_e32 v4, s20
	s_waitcnt lgkmcnt(0)
	s_add_u32 s15, s2, s22
	s_addc_u32 s17, s3, s23
	s_add_i32 s4, s4, s14
	s_add_i32 s14, s21, s19
	s_mul_i32 s4, s4, s5
	s_mul_i32 s5, s5, s18
	s_add_i32 s4, s14, s4
	s_mulk_i32 s5, 0x280
	s_mul_i32 s4, s4, 40
	s_delay_alu instid0(SALU_CYCLE_1) | instskip(NEXT) | instid1(VALU_DEP_1)
	v_add3_u32 v1, s5, s4, v0
	v_ashrrev_i32_e32 v2, 31, v1
	s_delay_alu instid0(VALU_DEP_1) | instskip(NEXT) | instid1(VALU_DEP_1)
	v_lshlrev_b64 v[1:2], 2, v[1:2]
	v_add_co_u32 v1, vcc_lo, s0, v1
	s_delay_alu instid0(VALU_DEP_2) | instskip(SKIP_1) | instid1(SALU_CYCLE_1)
	v_add_co_ci_u32_e32 v2, vcc_lo, s1, v2, vcc_lo
	s_lshl_b32 s0, s13, 5
	s_add_i32 s0, s6, s0
	global_load_b32 v5, v[1:2], off
	s_ashr_i32 s1, s0, 31
	s_delay_alu instid0(SALU_CYCLE_1) | instskip(NEXT) | instid1(SALU_CYCLE_1)
	s_lshl_b64 s[0:1], s[0:1], 3
	s_add_u32 s0, s2, s0
	s_addc_u32 s1, s3, s1
	s_add_i32 s18, s13, -1
	s_load_b64 s[0:1], s[0:1], 0x0
	v_fmac_f32_e32 v4, 0x4f800000, v3
	s_sub_i32 s14, 0, s20
	s_delay_alu instid0(VALU_DEP_1)
	v_rcp_f32_e32 v3, v4
	s_waitcnt_depctr 0xfff
	v_mul_f32_e32 v6, 0x5f7ffffc, v3
	v_cvt_f32_u32_e32 v3, s20
	s_waitcnt lgkmcnt(0)
	v_mov_b32_e32 v8, s0
	s_delay_alu instid0(VALU_DEP_3) | instskip(NEXT) | instid1(VALU_DEP_3)
	v_mul_f32_e32 v4, 0x2f800000, v6
	v_rcp_iflag_f32_e32 v7, v3
	s_delay_alu instid0(VALU_DEP_1) | instskip(SKIP_1) | instid1(VALU_DEP_2)
	v_trunc_f32_e32 v9, v4
	v_mad_u64_u32 v[3:4], null, s6, 40, v[0:1]
	v_fmac_f32_e32 v6, 0xcf800000, v9
	s_waitcnt_depctr 0xfff
	v_dual_mul_f32 v10, 0x4f7ffffe, v7 :: v_dual_mov_b32 v7, s1
	v_cvt_u32_f32_e32 v4, v9
	v_cvt_u32_f32_e32 v0, v6
	s_delay_alu instid0(VALU_DEP_3)
	v_cvt_u32_f32_e32 v6, v10
.LBB39_9:                               ; =>This Inner Loop Header: Depth=1
	s_mul_hi_i32 s13, s18, s7
	s_mul_i32 s4, s18, s7
	s_cmp_lg_u64 s[12:13], 0
	s_mov_b32 s5, -1
                                        ; implicit-def: $sgpr0_sgpr1
	s_cbranch_scc0 .LBB39_11
; %bb.10:                               ;   in Loop: Header=BB39_9 Depth=1
	v_readfirstlane_b32 s0, v0
	v_readfirstlane_b32 s1, v4
	s_sub_u32 s5, 0, s20
	s_subb_u32 s19, 0, 0
	s_delay_alu instid0(VALU_DEP_2) | instskip(NEXT) | instid1(VALU_DEP_1)
	s_mul_hi_u32 s21, s5, s0
	s_mul_i32 s22, s5, s1
	s_mul_i32 s23, s19, s0
	s_add_i32 s21, s21, s22
	s_mul_i32 s22, s5, s0
	s_add_i32 s21, s21, s23
	s_mul_hi_u32 s23, s0, s22
	s_mul_i32 s24, s0, s21
	s_mul_hi_u32 s0, s0, s21
	s_add_u32 s23, s23, s24
	s_mul_i32 s25, s1, s22
	s_addc_u32 s0, 0, s0
	s_mul_hi_u32 s22, s1, s22
	s_mul_hi_u32 s24, s1, s21
	s_add_u32 s23, s23, s25
	s_addc_u32 s0, s0, s22
	s_mul_i32 s21, s1, s21
	s_addc_u32 s22, s24, 0
	s_add_u32 s0, s0, s21
	s_addc_u32 s21, 0, s22
	v_add_co_u32 v9, s0, v0, s0
	s_delay_alu instid0(VALU_DEP_1) | instskip(SKIP_1) | instid1(VALU_DEP_1)
	s_cmp_lg_u32 s0, 0
	s_addc_u32 s1, s1, s21
	v_readfirstlane_b32 s0, v9
	s_mul_i32 s21, s5, s1
	s_delay_alu instid0(VALU_DEP_1)
	s_mul_hi_u32 s22, s5, s0
	s_mul_i32 s19, s19, s0
	s_add_i32 s21, s22, s21
	s_mul_i32 s5, s5, s0
	s_add_i32 s21, s21, s19
	s_mul_hi_u32 s19, s1, s5
	s_mul_i32 s23, s1, s5
	s_mul_i32 s24, s0, s21
	s_mul_hi_u32 s5, s0, s5
	s_mul_hi_u32 s0, s0, s21
	s_add_u32 s5, s5, s24
	s_addc_u32 s0, 0, s0
	s_mul_hi_u32 s22, s1, s21
	s_add_u32 s5, s5, s23
	s_addc_u32 s0, s0, s19
	s_mul_i32 s5, s1, s21
	s_addc_u32 s19, s22, 0
	s_add_u32 s0, s0, s5
	s_addc_u32 s5, 0, s19
	v_add_co_u32 v9, s0, v9, s0
	s_delay_alu instid0(VALU_DEP_1) | instskip(SKIP_2) | instid1(SALU_CYCLE_1)
	s_cmp_lg_u32 s0, 0
	s_addc_u32 s5, s1, s5
	s_ashr_i32 s0, s13, 31
	s_add_u32 s22, s4, s0
	s_addc_u32 s23, s13, s0
	v_readfirstlane_b32 s13, v9
	s_mov_b32 s1, s0
	s_delay_alu instid0(SALU_CYCLE_1) | instskip(NEXT) | instid1(SALU_CYCLE_1)
	s_xor_b64 s[22:23], s[22:23], s[0:1]
	s_mul_i32 s19, s22, s5
	s_delay_alu instid0(VALU_DEP_1)
	s_mul_hi_u32 s21, s22, s13
	s_mul_hi_u32 s24, s22, s5
	s_add_u32 s19, s21, s19
	s_mul_i32 s25, s23, s13
	s_addc_u32 s21, 0, s24
	s_mul_hi_u32 s13, s23, s13
	s_mul_hi_u32 s24, s23, s5
	s_add_u32 s19, s19, s25
	s_addc_u32 s13, s21, s13
	s_mul_i32 s5, s23, s5
	s_addc_u32 s19, s24, 0
	s_add_u32 s5, s13, s5
	s_addc_u32 s13, 0, s19
	s_mul_i32 s21, s20, s5
	s_add_u32 s19, s5, 1
	v_sub_co_u32 v9, s21, s22, s21
	s_addc_u32 s22, s13, 0
	s_mul_i32 s25, s20, s13
	s_mul_hi_u32 s27, s20, s5
	s_delay_alu instid0(VALU_DEP_1)
	v_sub_co_u32 v10, s26, v9, s20
	s_add_u32 s24, s5, 2
	s_addc_u32 s28, s13, 0
	s_add_i32 s27, s27, s25
	s_cmp_lg_u32 s21, 0
	v_readfirstlane_b32 s21, v10
	s_subb_u32 s23, s23, s27
	s_cmp_lg_u32 s26, 0
	s_subb_u32 s25, s23, 0
	s_delay_alu instid0(VALU_DEP_1) | instskip(SKIP_4) | instid1(SALU_CYCLE_1)
	s_cmp_ge_u32 s21, s20
	s_cselect_b32 s21, -1, 0
	s_cmp_eq_u32 s25, 0
	v_readfirstlane_b32 s25, v9
	s_cselect_b32 s21, s21, -1
	s_cmp_lg_u32 s21, 0
	s_cselect_b32 s19, s24, s19
	s_cselect_b32 s21, s28, s22
	s_cmp_ge_u32 s25, s20
	s_cselect_b32 s22, -1, 0
	s_cmp_eq_u32 s23, 0
	s_cselect_b32 s22, s22, -1
	s_delay_alu instid0(SALU_CYCLE_1) | instskip(SKIP_4) | instid1(SALU_CYCLE_1)
	s_cmp_lg_u32 s22, 0
	s_cselect_b32 s23, s21, s13
	s_cselect_b32 s22, s19, s5
	s_mov_b32 s5, 0
	s_xor_b64 s[22:23], s[22:23], s[0:1]
	s_sub_u32 s0, s22, s0
.LBB39_11:                              ;   in Loop: Header=BB39_9 Depth=1
	s_and_not1_b32 vcc_lo, exec_lo, s5
	s_cbranch_vccnz .LBB39_13
; %bb.12:                               ;   in Loop: Header=BB39_9 Depth=1
	v_readfirstlane_b32 s0, v6
	s_delay_alu instid0(VALU_DEP_1) | instskip(NEXT) | instid1(SALU_CYCLE_1)
	s_mul_i32 s1, s14, s0
	s_mul_hi_u32 s1, s0, s1
	s_delay_alu instid0(SALU_CYCLE_1) | instskip(NEXT) | instid1(SALU_CYCLE_1)
	s_add_i32 s0, s0, s1
	s_mul_hi_u32 s0, s4, s0
	s_delay_alu instid0(SALU_CYCLE_1) | instskip(NEXT) | instid1(SALU_CYCLE_1)
	s_mul_i32 s1, s0, s20
	s_sub_i32 s1, s4, s1
	s_add_i32 s4, s0, 1
	s_sub_i32 s5, s1, s20
	s_cmp_ge_u32 s1, s20
	s_cselect_b32 s0, s4, s0
	s_cselect_b32 s1, s5, s1
	s_add_i32 s4, s0, 1
	s_cmp_ge_u32 s1, s20
	s_cselect_b32 s0, s4, s0
.LBB39_13:                              ;   in Loop: Header=BB39_9 Depth=1
	s_delay_alu instid0(SALU_CYCLE_1)
	s_cmp_lg_u32 s16, s0
	s_cbranch_scc0 .LBB39_17
; %bb.14:                               ;   in Loop: Header=BB39_9 Depth=1
	s_add_i32 s1, s18, s20
	s_mov_b32 s5, s12
	s_lshl_b32 s1, s1, 5
	s_mov_b32 s19, s16
	s_add_i32 s4, s1, s6
	s_mul_hi_u32 s1, s0, s8
	s_lshl_b64 s[4:5], s[4:5], 3
	s_delay_alu instid0(SALU_CYCLE_1) | instskip(SKIP_2) | instid1(SALU_CYCLE_1)
	s_add_u32 s4, s2, s4
	s_addc_u32 s5, s3, s5
	s_add_i32 s1, s1, s0
	s_lshr_b32 s1, s1, s9
	s_delay_alu instid0(SALU_CYCLE_1) | instskip(NEXT) | instid1(SALU_CYCLE_1)
	s_mul_i32 s13, s1, s10
	s_cmp_eq_u32 s13, s0
	s_cselect_b32 s13, -1, 0
	s_cmp_lt_u32 s1, s11
	s_cselect_b32 s1, -1, 0
	s_delay_alu instid0(SALU_CYCLE_1)
	s_or_b32 s1, s1, s13
	s_mov_b32 s13, -1
	s_and_b32 vcc_lo, exec_lo, s1
	s_mov_b32 s1, s18
	s_cbranch_vccnz .LBB39_16
; %bb.15:                               ;   in Loop: Header=BB39_9 Depth=1
	s_add_i32 s1, s18, -1
	s_mov_b32 s13, 0
	s_mov_b32 s19, s0
.LBB39_16:                              ;   in Loop: Header=BB39_9 Depth=1
	v_mad_u64_u32 v[9:10], null, 0x500, s18, v[3:4]
	s_load_b64 s[4:5], s[4:5], 0x0
	s_delay_alu instid0(VALU_DEP_1) | instskip(NEXT) | instid1(VALU_DEP_1)
	v_ashrrev_i32_e32 v10, 31, v9
	v_lshlrev_b64 v[9:10], 2, v[9:10]
	s_delay_alu instid0(VALU_DEP_1) | instskip(NEXT) | instid1(VALU_DEP_2)
	v_add_co_u32 v9, vcc_lo, s15, v9
	v_add_co_ci_u32_e32 v10, vcc_lo, s17, v10, vcc_lo
	s_waitcnt lgkmcnt(0)
	v_max_f32_e64 v11, s4, s4
	global_load_b32 v10, v[9:10], off
	v_max_f32_e32 v9, v8, v8
	s_delay_alu instid0(VALU_DEP_1) | instskip(NEXT) | instid1(VALU_DEP_1)
	v_max_f32_e32 v9, v9, v11
	v_sub_f32_e32 v12, v8, v9
	s_delay_alu instid0(VALU_DEP_1) | instskip(NEXT) | instid1(VALU_DEP_1)
	v_dual_mul_f32 v14, 0x3fb8aa3b, v12 :: v_dual_sub_f32 v11, s4, v9
	v_rndne_f32_e32 v18, v14
	s_delay_alu instid0(VALU_DEP_2) | instskip(SKIP_2) | instid1(VALU_DEP_4)
	v_mul_f32_e32 v13, 0x3fb8aa3b, v11
	v_fma_f32 v17, 0x3fb8aa3b, v12, -v14
	v_cmp_ngt_f32_e32 vcc_lo, 0xc2ce8ed0, v11
	v_sub_f32_e32 v14, v14, v18
	s_delay_alu instid0(VALU_DEP_4) | instskip(SKIP_2) | instid1(VALU_DEP_3)
	v_fma_f32 v15, 0x3fb8aa3b, v11, -v13
	v_rndne_f32_e32 v16, v13
	v_fmac_f32_e32 v17, 0x32a5705f, v12
	v_fmac_f32_e32 v15, 0x32a5705f, v11
	s_delay_alu instid0(VALU_DEP_2) | instskip(NEXT) | instid1(VALU_DEP_1)
	v_dual_sub_f32 v13, v13, v16 :: v_dual_add_f32 v14, v14, v17
	v_add_f32_e32 v13, v13, v15
	s_delay_alu instid0(VALU_DEP_2) | instskip(SKIP_2) | instid1(VALU_DEP_3)
	v_exp_f32_e32 v14, v14
	v_cvt_i32_f32_e32 v15, v16
	v_cvt_i32_f32_e32 v16, v18
	v_exp_f32_e32 v13, v13
	s_waitcnt_depctr 0xfff
	v_ldexp_f32 v14, v14, v16
	v_ldexp_f32 v13, v13, v15
	s_delay_alu instid0(VALU_DEP_1) | instskip(SKIP_1) | instid1(VALU_DEP_4)
	v_cndmask_b32_e32 v13, 0, v13, vcc_lo
	v_cmp_ngt_f32_e32 vcc_lo, 0xc2ce8ed0, v12
	v_cndmask_b32_e32 v14, 0, v14, vcc_lo
	v_cmp_nlt_f32_e32 vcc_lo, 0x42b17218, v11
	s_delay_alu instid0(VALU_DEP_4) | instskip(SKIP_1) | instid1(VALU_DEP_4)
	v_cndmask_b32_e32 v13, 0x7f800000, v13, vcc_lo
	v_cmp_nlt_f32_e32 vcc_lo, 0x42b17218, v12
	v_cndmask_b32_e32 v14, 0x7f800000, v14, vcc_lo
	v_cmp_le_f32_e32 vcc_lo, 0xc1a00000, v11
	s_delay_alu instid0(VALU_DEP_4) | instskip(SKIP_1) | instid1(VALU_DEP_4)
	v_cndmask_b32_e32 v11, 0, v13, vcc_lo
	v_cmp_le_f32_e32 vcc_lo, 0xc1a00000, v12
	v_cndmask_b32_e32 v12, 0, v14, vcc_lo
	s_waitcnt vmcnt(0)
	s_delay_alu instid0(VALU_DEP_3) | instskip(NEXT) | instid1(VALU_DEP_1)
	v_mul_f32_e32 v10, v10, v11
	v_dual_mul_f32 v11, s5, v11 :: v_dual_fmac_f32 v10, v5, v12
	s_delay_alu instid0(VALU_DEP_1)
	v_fmac_f32_e32 v11, v7, v12
	s_cbranch_execz .LBB39_18
	s_branch .LBB39_19
.LBB39_17:                              ;   in Loop: Header=BB39_9 Depth=1
                                        ; implicit-def: $sgpr13
                                        ; implicit-def: $vgpr10
                                        ; implicit-def: $vgpr9
                                        ; implicit-def: $vgpr11
                                        ; implicit-def: $sgpr1
                                        ; implicit-def: $sgpr19
.LBB39_18:                              ;   in Loop: Header=BB39_9 Depth=1
	s_waitcnt vmcnt(0)
	v_dual_mov_b32 v11, v7 :: v_dual_mov_b32 v10, v5
	v_mov_b32_e32 v9, v8
	s_add_i32 s1, s18, -1
	s_mov_b32 s13, 0
	s_mov_b32 s19, s16
.LBB39_19:                              ;   in Loop: Header=BB39_9 Depth=1
	s_and_not1_b32 vcc_lo, exec_lo, s13
	s_cbranch_vccz .LBB39_23
; %bb.20:                               ;   in Loop: Header=BB39_9 Depth=1
	v_dual_mov_b32 v7, v11 :: v_dual_mov_b32 v8, v9
	s_waitcnt vmcnt(0)
	v_mov_b32_e32 v5, v10
	s_mov_b32 s16, s19
	s_mov_b32 s18, s1
	s_branch .LBB39_9
.LBB39_21:
                                        ; implicit-def: $sgpr16_sgpr17
	s_load_b128 s[8:11], s[0:1], 0x44
	s_branch .LBB39_2
.LBB39_22:
                                        ; implicit-def: $sgpr18_sgpr19
	s_branch .LBB39_5
.LBB39_23:
	v_div_scale_f32 v0, null, v11, v11, v10
	s_delay_alu instid0(VALU_DEP_1) | instskip(SKIP_2) | instid1(VALU_DEP_1)
	v_rcp_f32_e32 v3, v0
	s_waitcnt_depctr 0xfff
	v_fma_f32 v4, -v0, v3, 1.0
	v_fmac_f32_e32 v3, v4, v3
	v_div_scale_f32 v4, vcc_lo, v10, v11, v10
	s_waitcnt vmcnt(0)
	s_delay_alu instid0(VALU_DEP_1) | instskip(NEXT) | instid1(VALU_DEP_1)
	v_mul_f32_e32 v5, v4, v3
	v_fma_f32 v6, -v0, v5, v4
	s_delay_alu instid0(VALU_DEP_1) | instskip(NEXT) | instid1(VALU_DEP_1)
	v_fmac_f32_e32 v5, v6, v3
	v_fma_f32 v0, -v0, v5, v4
	s_delay_alu instid0(VALU_DEP_1) | instskip(NEXT) | instid1(VALU_DEP_1)
	v_div_fmas_f32 v0, v0, v3, v5
	v_div_fixup_f32 v0, v0, v11, v10
	global_store_b32 v[1:2], v0, off
.LBB39_24:
	s_nop 0
	s_sendmsg sendmsg(MSG_DEALLOC_VGPRS)
	s_endpgm
	.section	.rodata,"a",@progbits
	.p2align	6, 0x0
	.amdhsa_kernel _ZL33flash_attn_stream_k_fixup_generalILi40ELi16ELi2EEvPfPK15HIP_vector_typeIfLj2EEiiiiS1_IjLj3EES5_S5_S5_
		.amdhsa_group_segment_fixed_size 0
		.amdhsa_private_segment_fixed_size 0
		.amdhsa_kernarg_size 336
		.amdhsa_user_sgpr_count 13
		.amdhsa_user_sgpr_dispatch_ptr 0
		.amdhsa_user_sgpr_queue_ptr 0
		.amdhsa_user_sgpr_kernarg_segment_ptr 1
		.amdhsa_user_sgpr_dispatch_id 0
		.amdhsa_user_sgpr_private_segment_size 0
		.amdhsa_wavefront_size32 1
		.amdhsa_uses_dynamic_stack 0
		.amdhsa_enable_private_segment 0
		.amdhsa_system_sgpr_workgroup_id_x 1
		.amdhsa_system_sgpr_workgroup_id_y 1
		.amdhsa_system_sgpr_workgroup_id_z 1
		.amdhsa_system_sgpr_workgroup_info 0
		.amdhsa_system_vgpr_workitem_id 0
		.amdhsa_next_free_vgpr 19
		.amdhsa_next_free_sgpr 32
		.amdhsa_reserve_vcc 1
		.amdhsa_float_round_mode_32 0
		.amdhsa_float_round_mode_16_64 0
		.amdhsa_float_denorm_mode_32 3
		.amdhsa_float_denorm_mode_16_64 3
		.amdhsa_dx10_clamp 1
		.amdhsa_ieee_mode 1
		.amdhsa_fp16_overflow 0
		.amdhsa_workgroup_processor_mode 1
		.amdhsa_memory_ordered 1
		.amdhsa_forward_progress 0
		.amdhsa_shared_vgpr_count 0
		.amdhsa_exception_fp_ieee_invalid_op 0
		.amdhsa_exception_fp_denorm_src 0
		.amdhsa_exception_fp_ieee_div_zero 0
		.amdhsa_exception_fp_ieee_overflow 0
		.amdhsa_exception_fp_ieee_underflow 0
		.amdhsa_exception_fp_ieee_inexact 0
		.amdhsa_exception_int_div_zero 0
	.end_amdhsa_kernel
	.section	.text._ZL33flash_attn_stream_k_fixup_generalILi40ELi16ELi2EEvPfPK15HIP_vector_typeIfLj2EEiiiiS1_IjLj3EES5_S5_S5_,"axG",@progbits,_ZL33flash_attn_stream_k_fixup_generalILi40ELi16ELi2EEvPfPK15HIP_vector_typeIfLj2EEiiiiS1_IjLj3EES5_S5_S5_,comdat
.Lfunc_end39:
	.size	_ZL33flash_attn_stream_k_fixup_generalILi40ELi16ELi2EEvPfPK15HIP_vector_typeIfLj2EEiiiiS1_IjLj3EES5_S5_S5_, .Lfunc_end39-_ZL33flash_attn_stream_k_fixup_generalILi40ELi16ELi2EEvPfPK15HIP_vector_typeIfLj2EEiiiiS1_IjLj3EES5_S5_S5_
                                        ; -- End function
	.section	.AMDGPU.csdata,"",@progbits
; Kernel info:
; codeLenInByte = 3220
; NumSgprs: 34
; NumVgprs: 19
; ScratchSize: 0
; MemoryBound: 0
; FloatMode: 240
; IeeeMode: 1
; LDSByteSize: 0 bytes/workgroup (compile time only)
; SGPRBlocks: 4
; VGPRBlocks: 2
; NumSGPRsForWavesPerEU: 34
; NumVGPRsForWavesPerEU: 19
; Occupancy: 16
; WaveLimiterHint : 0
; COMPUTE_PGM_RSRC2:SCRATCH_EN: 0
; COMPUTE_PGM_RSRC2:USER_SGPR: 13
; COMPUTE_PGM_RSRC2:TRAP_HANDLER: 0
; COMPUTE_PGM_RSRC2:TGID_X_EN: 1
; COMPUTE_PGM_RSRC2:TGID_Y_EN: 1
; COMPUTE_PGM_RSRC2:TGID_Z_EN: 1
; COMPUTE_PGM_RSRC2:TIDIG_COMP_CNT: 0
	.section	.text._ZL15flash_attn_tileILi40ELi40ELi8ELi2ELb0EEvPKcS1_S1_S1_S1_PKiPfP15HIP_vector_typeIfLj2EEffffjfiS5_IjLj3EEiiiiiiiiiiiliiliiiiil,"axG",@progbits,_ZL15flash_attn_tileILi40ELi40ELi8ELi2ELb0EEvPKcS1_S1_S1_S1_PKiPfP15HIP_vector_typeIfLj2EEffffjfiS5_IjLj3EEiiiiiiiiiiiliiliiiiil,comdat
	.globl	_ZL15flash_attn_tileILi40ELi40ELi8ELi2ELb0EEvPKcS1_S1_S1_S1_PKiPfP15HIP_vector_typeIfLj2EEffffjfiS5_IjLj3EEiiiiiiiiiiiliiliiiiil ; -- Begin function _ZL15flash_attn_tileILi40ELi40ELi8ELi2ELb0EEvPKcS1_S1_S1_S1_PKiPfP15HIP_vector_typeIfLj2EEffffjfiS5_IjLj3EEiiiiiiiiiiiliiliiiiil
	.p2align	8
	.type	_ZL15flash_attn_tileILi40ELi40ELi8ELi2ELb0EEvPKcS1_S1_S1_S1_PKiPfP15HIP_vector_typeIfLj2EEffffjfiS5_IjLj3EEiiiiiiiiiiiliiliiiiil,@function
_ZL15flash_attn_tileILi40ELi40ELi8ELi2ELb0EEvPKcS1_S1_S1_S1_PKiPfP15HIP_vector_typeIfLj2EEffffjfiS5_IjLj3EEiiiiiiiiiiiliiliiiiil: ; @_ZL15flash_attn_tileILi40ELi40ELi8ELi2ELb0EEvPKcS1_S1_S1_S1_PKiPfP15HIP_vector_typeIfLj2EEffffjfiS5_IjLj3EEiiiiiiiiiiiliiliiiiil
; %bb.0:
	s_clause 0x1
	s_load_b128 s[8:11], s[0:1], 0x5c
	s_load_b64 s[34:35], s[0:1], 0x80
	s_mov_b64 s[36:37], 0
	s_waitcnt lgkmcnt(0)
	s_lshr_b32 s2, s11, 31
	s_delay_alu instid0(SALU_CYCLE_1) | instskip(NEXT) | instid1(SALU_CYCLE_1)
	s_add_i32 s2, s11, s2
	s_ashr_i32 s2, s2, 1
	s_delay_alu instid0(SALU_CYCLE_1) | instskip(SKIP_1) | instid1(VALU_DEP_1)
	v_cvt_f32_u32_e32 v1, s2
	s_sub_i32 s4, 0, s2
	v_rcp_iflag_f32_e32 v1, v1
	s_waitcnt_depctr 0xfff
	v_mul_f32_e32 v1, 0x4f7ffffe, v1
	s_delay_alu instid0(VALU_DEP_1) | instskip(NEXT) | instid1(VALU_DEP_1)
	v_cvt_u32_f32_e32 v1, v1
	v_readfirstlane_b32 s3, v1
	s_delay_alu instid0(VALU_DEP_1) | instskip(NEXT) | instid1(SALU_CYCLE_1)
	s_mul_i32 s4, s4, s3
	s_mul_hi_u32 s4, s3, s4
	s_delay_alu instid0(SALU_CYCLE_1) | instskip(NEXT) | instid1(SALU_CYCLE_1)
	s_add_i32 s3, s3, s4
	s_mul_hi_u32 s3, s15, s3
	s_delay_alu instid0(SALU_CYCLE_1) | instskip(SKIP_2) | instid1(SALU_CYCLE_1)
	s_mul_i32 s4, s3, s2
	s_add_i32 s5, s3, 1
	s_sub_i32 s4, s15, s4
	s_sub_i32 s6, s4, s2
	s_cmp_ge_u32 s4, s2
	s_cselect_b32 s3, s5, s3
	s_cselect_b32 s4, s6, s4
	s_add_i32 s5, s3, 1
	s_cmp_ge_u32 s4, s2
	s_cselect_b32 s33, s5, s3
	s_abs_i32 s2, s35
	s_abs_i32 s5, s11
	v_cvt_f32_u32_e32 v1, s2
	s_sub_i32 s4, 0, s2
	s_xor_b32 s6, s11, s35
	s_delay_alu instid0(SALU_CYCLE_1) | instskip(NEXT) | instid1(VALU_DEP_1)
	s_ashr_i32 s6, s6, 31
	v_rcp_iflag_f32_e32 v1, v1
	s_waitcnt_depctr 0xfff
	v_mul_f32_e32 v1, 0x4f7ffffe, v1
	s_delay_alu instid0(VALU_DEP_1) | instskip(NEXT) | instid1(VALU_DEP_1)
	v_cvt_u32_f32_e32 v1, v1
	v_readfirstlane_b32 s3, v1
	s_delay_alu instid0(VALU_DEP_1) | instskip(NEXT) | instid1(SALU_CYCLE_1)
	s_mul_i32 s4, s4, s3
	s_mul_hi_u32 s4, s3, s4
	s_delay_alu instid0(SALU_CYCLE_1) | instskip(SKIP_2) | instid1(SALU_CYCLE_1)
	s_add_i32 s3, s3, s4
	s_lshl_b32 s4, s15, 1
	s_mul_hi_u32 s3, s5, s3
	s_mul_i32 s7, s3, s2
	s_delay_alu instid0(SALU_CYCLE_1)
	s_sub_i32 s5, s5, s7
	s_add_i32 s7, s3, 1
	s_sub_i32 s12, s5, s2
	s_cmp_ge_u32 s5, s2
	s_cselect_b32 s3, s7, s3
	s_cselect_b32 s5, s12, s5
	s_add_i32 s7, s3, 1
	s_cmp_ge_u32 s5, s2
	s_mul_i32 s5, s33, s11
	s_cselect_b32 s2, s7, s3
	s_delay_alu instid0(SALU_CYCLE_1) | instskip(NEXT) | instid1(SALU_CYCLE_1)
	s_xor_b32 s2, s2, s6
	s_sub_i32 s15, s2, s6
	s_clause 0x1
	s_load_b512 s[16:31], s[0:1], 0x0
	s_load_b64 s[2:3], s[0:1], 0xb8
	s_abs_i32 s35, s15
	s_delay_alu instid0(SALU_CYCLE_1) | instskip(NEXT) | instid1(VALU_DEP_1)
	v_cvt_f32_u32_e32 v1, s35
	v_rcp_iflag_f32_e32 v1, v1
	s_waitcnt_depctr 0xfff
	v_mul_f32_e32 v1, 0x4f7ffffe, v1
	s_waitcnt lgkmcnt(0)
	s_cmp_eq_u64 s[22:23], 0
	s_delay_alu instid0(VALU_DEP_1) | instskip(NEXT) | instid1(VALU_DEP_1)
	v_cvt_u32_f32_e32 v1, v1
	v_readfirstlane_b32 s38, v1
	s_cbranch_scc1 .LBB40_2
; %bb.1:
	s_abs_i32 s2, s2
	s_abs_i32 s12, s33
	v_cvt_f32_u32_e32 v1, s2
	s_sub_i32 s7, 0, s2
	s_delay_alu instid0(VALU_DEP_1) | instskip(SKIP_2) | instid1(VALU_DEP_1)
	v_rcp_iflag_f32_e32 v1, v1
	s_waitcnt_depctr 0xfff
	v_mul_f32_e32 v1, 0x4f7ffffe, v1
	v_cvt_u32_f32_e32 v1, v1
	s_delay_alu instid0(VALU_DEP_1) | instskip(NEXT) | instid1(VALU_DEP_1)
	v_readfirstlane_b32 s6, v1
	s_mul_i32 s7, s7, s6
	s_delay_alu instid0(SALU_CYCLE_1) | instskip(NEXT) | instid1(SALU_CYCLE_1)
	s_mul_hi_u32 s7, s6, s7
	s_add_i32 s36, s6, s7
	s_load_b64 s[6:7], s[0:1], 0xc8
	s_mul_hi_u32 s36, s12, s36
	s_delay_alu instid0(SALU_CYCLE_1) | instskip(NEXT) | instid1(SALU_CYCLE_1)
	s_mul_i32 s36, s36, s2
	s_sub_i32 s12, s12, s36
	s_ashr_i32 s36, s33, 31
	s_sub_i32 s37, s12, s2
	s_cmp_ge_u32 s12, s2
	s_cselect_b32 s12, s37, s12
	s_delay_alu instid0(SALU_CYCLE_1) | instskip(SKIP_2) | instid1(SALU_CYCLE_1)
	s_sub_i32 s37, s12, s2
	s_cmp_ge_u32 s12, s2
	s_cselect_b32 s2, s37, s12
	s_xor_b32 s2, s2, s36
	s_delay_alu instid0(SALU_CYCLE_1)
	s_sub_i32 s2, s2, s36
	s_waitcnt lgkmcnt(0)
	s_mul_i32 s7, s2, s7
	s_mul_hi_u32 s12, s2, s6
	s_ashr_i32 s36, s2, 31
	s_add_i32 s7, s12, s7
	s_mul_i32 s36, s36, s6
	s_mul_i32 s2, s2, s6
	s_add_i32 s7, s7, s36
	s_add_u32 s36, s22, s2
	s_addc_u32 s37, s23, s7
.LBB40_2:
	v_bfe_u32 v7, v0, 10, 10
	s_sub_i32 s12, s4, s5
	s_delay_alu instid0(VALU_DEP_1) | instskip(NEXT) | instid1(VALU_DEP_1)
	v_lshl_add_u32 v2, s13, 3, v7
	v_mul_hi_u32 v1, s8, v2
	s_delay_alu instid0(VALU_DEP_1) | instskip(NEXT) | instid1(VALU_DEP_1)
	v_add_nc_u32_e32 v1, v2, v1
	v_lshrrev_b32_e32 v1, s9, v1
	s_delay_alu instid0(VALU_DEP_1) | instskip(SKIP_1) | instid1(VALU_DEP_1)
	v_mul_lo_u32 v3, v1, s10
	v_and_b32_e32 v1, 0x3ff, v0
	v_cmp_gt_u32_e64 s2, 20, v1
	v_lshlrev_b32_e32 v0, 1, v1
	s_delay_alu instid0(VALU_DEP_4) | instskip(NEXT) | instid1(VALU_DEP_3)
	v_sub_nc_u32_e32 v8, v2, v3
	s_and_saveexec_b32 s4, s2
	s_cbranch_execz .LBB40_4
; %bb.3:
	s_load_b128 s[40:43], s[0:1], 0x70
	v_mul_u32_u24_e32 v9, 40, v7
	s_delay_alu instid0(VALU_DEP_1)
	v_add_lshl_u32 v9, v9, v1, 2
	s_waitcnt lgkmcnt(0)
	s_mul_i32 s5, s33, s42
	s_mul_i32 s6, s12, s41
	s_ashr_i32 s7, s5, 31
	s_add_u32 s5, s16, s5
	s_addc_u32 s7, s17, s7
	s_ashr_i32 s8, s6, 31
	s_add_u32 s5, s5, s6
	s_addc_u32 s6, s7, s8
	s_ashr_i32 s7, s40, 31
	s_delay_alu instid0(SALU_CYCLE_1) | instskip(SKIP_1) | instid1(VALU_DEP_1)
	v_alignbit_b32 v5, s7, s40, 2
	s_lshr_b32 s7, s7, 2
	v_mad_u64_u32 v[3:4], null, v5, v8, 0
	s_delay_alu instid0(VALU_DEP_1) | instskip(NEXT) | instid1(VALU_DEP_1)
	v_mad_u64_u32 v[5:6], null, s7, v8, v[4:5]
	v_dual_mov_b32 v4, v5 :: v_dual_lshlrev_b32 v5, 2, v0
	s_delay_alu instid0(VALU_DEP_1) | instskip(NEXT) | instid1(VALU_DEP_1)
	v_lshlrev_b64 v[3:4], 2, v[3:4]
	v_add_co_u32 v3, vcc_lo, s5, v3
	s_delay_alu instid0(VALU_DEP_2) | instskip(SKIP_1) | instid1(VALU_DEP_2)
	v_add_co_ci_u32_e32 v4, vcc_lo, s6, v4, vcc_lo
	s_and_b32 s6, s41, -4
	v_add_co_u32 v3, vcc_lo, v3, v5
	s_delay_alu instid0(VALU_DEP_2) | instskip(SKIP_1) | instid1(VALU_DEP_2)
	v_add_co_ci_u32_e32 v4, vcc_lo, 0, v4, vcc_lo
	s_ashr_i32 s5, s41, 31
	v_add_co_u32 v5, vcc_lo, v3, s6
	s_delay_alu instid0(VALU_DEP_2)
	v_add_co_ci_u32_e32 v6, vcc_lo, s5, v4, vcc_lo
	s_clause 0x1
	global_load_b64 v[3:4], v[3:4], off
	global_load_b64 v[5:6], v[5:6], off
	s_load_b32 s5, s[0:1], 0x40
	s_waitcnt vmcnt(1) lgkmcnt(0)
	v_fma_mixlo_f16 v3, v3, s5, 0
	s_waitcnt vmcnt(0)
	v_fma_mixlo_f16 v5, v5, s5, 0
	s_delay_alu instid0(VALU_DEP_2) | instskip(NEXT) | instid1(VALU_DEP_2)
	v_fma_mixhi_f16 v3, v4, s5, 0
	v_fma_mixhi_f16 v5, v6, s5, 0
	v_add_nc_u32_e32 v4, 0xc00, v9
	ds_store_2addr_b32 v4, v3, v5 offset0:24 offset1:44
.LBB40_4:
	s_or_b32 exec_lo, exec_lo, s4
	s_cmp_eq_u64 s[26:27], 0
	s_waitcnt lgkmcnt(0)
	s_barrier
	buffer_gl0_inv
	s_cbranch_scc1 .LBB40_6
; %bb.5:
	s_load_b32 s4, s[0:1], 0xd0
	s_mov_b32 s5, 0
	s_waitcnt lgkmcnt(0)
	s_mul_i32 s4, s4, s33
	s_delay_alu instid0(SALU_CYCLE_1) | instskip(NEXT) | instid1(SALU_CYCLE_1)
	s_add_i32 s4, s4, s13
	s_lshl_b64 s[4:5], s[4:5], 2
	s_delay_alu instid0(SALU_CYCLE_1)
	s_add_u32 s4, s26, s4
	s_addc_u32 s5, s27, s5
	s_load_b32 s34, s[4:5], 0x0
.LBB40_6:
	v_mbcnt_lo_u32_b32 v15, -1, 0
	s_lshl_b32 s9, s14, 5
	s_waitcnt lgkmcnt(0)
	s_cmp_lt_i32 s9, s34
	s_cbranch_scc1 .LBB40_8
; %bb.7:
	v_mbcnt_lo_u32_b32 v5, -1, 0
	v_mov_b32_e32 v17, 32
	s_mov_b32 s4, 0
	s_mov_b32 s5, 0xfeffffff
	s_delay_alu instid0(VALU_DEP_2)
	v_xor_b32_e32 v22, 16, v5
	v_xor_b32_e32 v21, 8, v5
	;; [unrolled: 1-line block ×5, first 2 shown]
	s_branch .LBB40_9
.LBB40_8:
	s_mov_b32 s4, -1
                                        ; implicit-def: $sgpr5
                                        ; implicit-def: $vgpr5
                                        ; implicit-def: $vgpr17
                                        ; implicit-def: $vgpr22
                                        ; implicit-def: $vgpr21
                                        ; implicit-def: $vgpr20
                                        ; implicit-def: $vgpr19
                                        ; implicit-def: $vgpr18
.LBB40_9:
	s_delay_alu instid0(SALU_CYCLE_1) | instskip(SKIP_3) | instid1(VALU_DEP_4)
	v_cndmask_b32_e64 v3, 0, 1, s4
	v_dual_mov_b32 v4, s5 :: v_dual_mov_b32 v37, s4
	v_mov_b32_e32 v16, s4
	v_mov_b32_e32 v38, s4
	v_cmp_ne_u32_e32 vcc_lo, 1, v3
	v_dual_mov_b32 v3, s5 :: v_dual_mov_b32 v14, s4
	s_cbranch_vccnz .LBB40_22
; %bb.10:
	s_clause 0x1
	s_load_b128 s[4:7], s[0:1], 0x98
	s_load_b64 s[16:17], s[0:1], 0x8c
	s_sub_i32 s8, 0, s35
	s_abs_i32 s26, s12
	s_mul_i32 s8, s8, s38
	s_ashr_i32 s39, s15, 31
	s_mul_hi_u32 s8, s38, s8
	s_ashr_i32 s27, s12, 31
	s_add_i32 s38, s38, s8
	s_ashr_i32 s8, s3, 1
	s_mul_hi_u32 s3, s26, s38
	s_ashr_i32 s38, s33, 31
	s_load_b64 s[22:23], s[0:1], 0xa8
	s_mul_i32 s40, s3, s35
	v_lshrrev_b32_e32 v3, 2, v1
	v_lshl_add_u32 v12, v7, 5, v1
	v_dual_mov_b32 v14, 0 :: v_dual_lshlrev_b32 v23, 2, v1
	v_mov_b32_e32 v35, 0xfeffffff
	s_delay_alu instid0(VALU_DEP_4)
	v_lshl_add_u32 v13, v7, 3, v3
	s_waitcnt lgkmcnt(0)
	s_ashr_i32 s13, s6, 2
	s_mul_i32 s5, s33, s5
	s_mul_hi_u32 s6, s33, s4
	s_ashr_i32 s15, s16, 2
	s_mul_i32 s16, s38, s4
	s_add_i32 s5, s6, s5
	s_mul_i32 s4, s33, s4
	s_add_i32 s5, s5, s16
	s_add_u32 s4, s18, s4
	s_addc_u32 s5, s19, s5
	s_sub_i32 s16, s26, s40
	s_xor_b32 s6, s27, s39
	s_add_i32 s18, s3, 1
	s_sub_i32 s19, s16, s35
	s_cmp_ge_u32 s16, s35
	v_mul_lo_u32 v3, s15, v13
	s_cselect_b32 s3, s18, s3
	s_cselect_b32 s16, s19, s16
	s_add_i32 s18, s3, 1
	s_cmp_ge_u32 s16, s35
	v_mul_lo_u32 v9, s15, v12
	s_cselect_b32 s3, s18, s3
	v_mul_lo_u32 v11, s13, v12
	s_xor_b32 s3, s3, s6
	v_mul_lo_u32 v32, s13, v13
	s_sub_i32 s3, s3, s6
	v_and_b32_e32 v16, 12, v23
	s_mul_i32 s6, s3, s17
	s_mul_i32 s16, s33, s23
	s_mul_hi_u32 s23, s33, s22
	s_ashr_i32 s19, s6, 31
	s_add_u32 s18, s4, s6
	s_mul_i32 s38, s38, s22
	s_addc_u32 s19, s5, s19
	s_add_i32 s4, s23, s16
	v_cmp_gt_u32_e32 vcc_lo, 32, v12
	v_lshlrev_b32_e32 v17, 2, v16
	v_ashrrev_i32_e32 v4, 31, v3
	v_ashrrev_i32_e32 v10, 31, v9
	v_mad_u32_u24 v27, 0x60, v12, 64
	v_mad_u32_u24 v29, 0x50, v12, 64
	v_ashrrev_i32_e32 v12, 31, v11
	v_ashrrev_i32_e32 v33, 31, v32
	s_mul_i32 s17, s33, s22
	v_lshl_add_u32 v28, v7, 7, 0x1160
	s_mul_i32 s3, s3, s7
	s_add_i32 s4, s4, s38
	s_add_u32 s5, s20, s17
	v_mad_u64_u32 v[5:6], null, v8, s8, v[1:2]
	s_addc_u32 s4, s21, s4
	s_ashr_i32 s6, s3, 31
	s_add_u32 s20, s5, s3
	v_cmp_gt_u32_e64 s3, 32, v13
	v_mul_u32_u24_e32 v25, 0xa0, v7
	v_mad_u32_u24 v26, 0x60, v13, v17
	v_mad_u32_u24 v30, 0x50, v13, v17
	v_lshlrev_b64 v[6:7], 2, v[9:10]
	v_lshlrev_b64 v[8:9], 2, v[3:4]
	;; [unrolled: 1-line block ×4, first 2 shown]
	v_mul_u32_u24_e32 v24, 0x60, v1
	v_dual_mov_b32 v17, 32 :: v_dual_lshlrev_b32 v32, 2, v16
	v_xor_b32_e32 v22, 16, v15
	v_xor_b32_e32 v21, 8, v15
	;; [unrolled: 1-line block ×5, first 2 shown]
	v_dual_mov_b32 v36, 0xfeffffff :: v_dual_add_nc_u32 v31, v28, v23
	v_dual_mov_b32 v16, 0 :: v_dual_mov_b32 v33, 0
	v_mov_b32_e32 v34, 0
	s_addc_u32 s21, s4, s6
	s_add_u32 s16, s0, 0xd0
	s_addc_u32 s17, s1, 0
.LBB40_11:                              ; =>This Inner Loop Header: Depth=1
	s_mul_hi_i32 s5, s9, s15
	s_mul_i32 s4, s9, s15
	s_delay_alu instid0(SALU_CYCLE_1) | instskip(NEXT) | instid1(SALU_CYCLE_1)
	s_lshl_b64 s[6:7], s[4:5], 2
	s_add_u32 s5, s18, s6
	s_addc_u32 s6, s19, s7
	s_and_saveexec_b32 s7, vcc_lo
	s_cbranch_execz .LBB40_13
; %bb.12:                               ;   in Loop: Header=BB40_11 Depth=1
	v_add_co_u32 v3, s4, s5, v6
	s_delay_alu instid0(VALU_DEP_1)
	v_add_co_ci_u32_e64 v4, s4, s6, v7, s4
	global_load_b128 v[37:40], v[3:4], off offset:64
	s_waitcnt vmcnt(0)
	ds_store_b128 v27, v[37:40]
.LBB40_13:                              ;   in Loop: Header=BB40_11 Depth=1
	s_or_b32 exec_lo, exec_lo, s7
	s_and_saveexec_b32 s7, s3
	s_cbranch_execz .LBB40_15
; %bb.14:                               ;   in Loop: Header=BB40_11 Depth=1
	v_add_co_u32 v3, s4, s5, v8
	s_delay_alu instid0(VALU_DEP_1) | instskip(NEXT) | instid1(VALU_DEP_2)
	v_add_co_ci_u32_e64 v4, s4, s6, v9, s4
	v_add_co_u32 v3, s4, v3, v32
	s_delay_alu instid0(VALU_DEP_1)
	v_add_co_ci_u32_e64 v4, s4, 0, v4, s4
	global_load_b128 v[37:40], v[3:4], off
	s_waitcnt vmcnt(0)
	ds_store_b128 v26, v[37:40]
.LBB40_15:                              ;   in Loop: Header=BB40_11 Depth=1
	s_or_b32 exec_lo, exec_lo, s7
	s_waitcnt lgkmcnt(0)
	s_barrier
	buffer_gl0_inv
	ds_load_b128 v[37:40], v24
	ds_load_b128 v[41:44], v25 offset:3168
	ds_load_b128 v[45:48], v25 offset:3248
	v_dual_mov_b32 v49, 0 :: v_dual_mov_b32 v50, 0
	v_add_nc_u32_e32 v3, s9, v5
	s_mul_hi_i32 s23, s9, s13
	s_mul_i32 s22, s9, s13
	s_waitcnt lgkmcnt(1)
	;;#ASMSTART
	v_dot2_f32_f16 v49, v37, v41, v49
	;;#ASMEND
	;;#ASMSTART
	v_dot2_f32_f16 v49, v38, v42, v49
	;;#ASMEND
	;; [unrolled: 3-line block ×4, first 2 shown]
	s_waitcnt lgkmcnt(0)
	;;#ASMSTART
	v_dot2_f32_f16 v50, v37, v45, v50
	;;#ASMEND
	;;#ASMSTART
	v_dot2_f32_f16 v50, v38, v46, v50
	;;#ASMEND
	;; [unrolled: 3-line block ×4, first 2 shown]
	ds_load_b128 v[37:40], v24 offset:16
	ds_load_b128 v[41:44], v25 offset:3184
	;; [unrolled: 1-line block ×3, first 2 shown]
	v_ashrrev_i32_e32 v4, 31, v3
	s_lshl_b64 s[22:23], s[22:23], 2
	s_waitcnt lgkmcnt(1)
	;;#ASMSTART
	v_dot2_f32_f16 v49, v37, v41, v49
	;;#ASMEND
	;;#ASMSTART
	v_dot2_f32_f16 v49, v38, v42, v49
	;;#ASMEND
	;; [unrolled: 3-line block ×4, first 2 shown]
	s_waitcnt lgkmcnt(0)
	;;#ASMSTART
	v_dot2_f32_f16 v50, v37, v45, v50
	;;#ASMEND
	;;#ASMSTART
	v_dot2_f32_f16 v50, v38, v46, v50
	;;#ASMEND
	;; [unrolled: 3-line block ×4, first 2 shown]
	ds_load_b128 v[37:40], v24 offset:32
	ds_load_b128 v[41:44], v25 offset:3200
	;; [unrolled: 1-line block ×3, first 2 shown]
	v_lshlrev_b64 v[3:4], 1, v[3:4]
	s_add_u32 s22, s20, s22
	s_addc_u32 s23, s21, s23
	s_waitcnt lgkmcnt(1)
	;;#ASMSTART
	v_dot2_f32_f16 v49, v37, v41, v49
	;;#ASMEND
	;;#ASMSTART
	v_dot2_f32_f16 v49, v38, v42, v49
	;;#ASMEND
	;; [unrolled: 3-line block ×4, first 2 shown]
	s_waitcnt lgkmcnt(0)
	;;#ASMSTART
	v_dot2_f32_f16 v50, v37, v45, v50
	;;#ASMEND
	;;#ASMSTART
	v_dot2_f32_f16 v50, v38, v46, v50
	;;#ASMEND
	;; [unrolled: 3-line block ×4, first 2 shown]
	ds_load_b128 v[37:40], v24 offset:48
	ds_load_b128 v[41:44], v25 offset:3216
	;; [unrolled: 1-line block ×3, first 2 shown]
	v_add_co_u32 v3, s4, s36, v3
	s_delay_alu instid0(VALU_DEP_1)
	v_add_co_ci_u32_e64 v4, s4, s37, v4, s4
	v_cmp_gt_i32_e64 s4, 32, v22
	s_waitcnt lgkmcnt(1)
	;;#ASMSTART
	v_dot2_f32_f16 v49, v37, v41, v49
	;;#ASMEND
	;;#ASMSTART
	v_dot2_f32_f16 v49, v38, v42, v49
	;;#ASMEND
	;; [unrolled: 3-line block ×4, first 2 shown]
	s_waitcnt lgkmcnt(0)
	;;#ASMSTART
	v_dot2_f32_f16 v50, v37, v45, v50
	;;#ASMEND
	;;#ASMSTART
	v_dot2_f32_f16 v50, v38, v46, v50
	;;#ASMEND
	;; [unrolled: 3-line block ×4, first 2 shown]
	ds_load_b128 v[37:40], v24 offset:64
	ds_load_b128 v[41:44], v25 offset:3232
	;; [unrolled: 1-line block ×3, first 2 shown]
	s_waitcnt lgkmcnt(1)
	;;#ASMSTART
	v_dot2_f32_f16 v49, v37, v41, v49
	;;#ASMEND
	;;#ASMSTART
	v_dot2_f32_f16 v49, v38, v42, v49
	;;#ASMEND
	;; [unrolled: 3-line block ×4, first 2 shown]
	s_waitcnt lgkmcnt(0)
	;;#ASMSTART
	v_dot2_f32_f16 v50, v37, v45, v50
	;;#ASMEND
	;;#ASMSTART
	v_dot2_f32_f16 v50, v38, v46, v50
	;;#ASMEND
	;; [unrolled: 3-line block ×4, first 2 shown]
	flat_load_u16 v3, v[3:4]
	v_max_f32_e32 v4, v36, v36
	s_waitcnt vmcnt(0) lgkmcnt(0)
	s_barrier
	buffer_gl0_inv
	v_cvt_f32_f16_e32 v3, v3
	s_delay_alu instid0(VALU_DEP_1) | instskip(SKIP_3) | instid1(VALU_DEP_4)
	v_add_f32_e32 v37, v50, v3
	v_add_f32_e32 v38, v49, v3
	v_cndmask_b32_e64 v3, v15, v22, s4
	v_cmp_gt_i32_e64 s4, 32, v21
	v_dual_add_f32 v39, 0x40051340, v37 :: v_dual_max_f32 v40, v35, v35
	s_delay_alu instid0(VALU_DEP_1) | instskip(NEXT) | instid1(VALU_DEP_1)
	v_dual_add_f32 v41, 0x40051340, v38 :: v_dual_max_f32 v4, v4, v39
	v_max_f32_e32 v39, v40, v41
	s_delay_alu instid0(VALU_DEP_4) | instskip(SKIP_1) | instid1(VALU_DEP_2)
	v_cndmask_b32_e64 v41, v15, v21, s4
	v_cmp_gt_i32_e64 s4, 32, v20
	v_lshlrev_b32_e32 v41, 2, v41
	v_lshlrev_b32_e32 v3, 2, v3
	ds_bpermute_b32 v40, v3, v4
	s_waitcnt lgkmcnt(0)
	v_max_f32_e32 v40, v40, v40
	s_delay_alu instid0(VALU_DEP_1) | instskip(SKIP_3) | instid1(VALU_DEP_1)
	v_max_f32_e32 v4, v4, v40
	ds_bpermute_b32 v3, v3, v39
	s_waitcnt lgkmcnt(0)
	v_max_f32_e32 v3, v3, v3
	v_max_f32_e32 v3, v39, v3
	ds_bpermute_b32 v39, v41, v4
	ds_bpermute_b32 v40, v41, v3
	v_cndmask_b32_e64 v41, v15, v20, s4
	v_cmp_gt_i32_e64 s4, 32, v19
	s_waitcnt lgkmcnt(1)
	v_max_f32_e32 v39, v39, v39
	s_waitcnt lgkmcnt(0)
	v_dual_max_f32 v40, v40, v40 :: v_dual_lshlrev_b32 v41, 2, v41
	s_delay_alu instid0(VALU_DEP_2) | instskip(SKIP_3) | instid1(VALU_DEP_1)
	v_max_f32_e32 v4, v4, v39
	ds_bpermute_b32 v39, v41, v4
	s_waitcnt lgkmcnt(0)
	v_max_f32_e32 v39, v39, v39
	v_dual_max_f32 v3, v3, v40 :: v_dual_max_f32 v4, v4, v39
	ds_bpermute_b32 v40, v41, v3
	v_cndmask_b32_e64 v41, v15, v19, s4
	v_cmp_gt_i32_e64 s4, 32, v18
	s_delay_alu instid0(VALU_DEP_2) | instskip(SKIP_3) | instid1(VALU_DEP_1)
	v_lshlrev_b32_e32 v41, 2, v41
	ds_bpermute_b32 v39, v41, v4
	s_waitcnt lgkmcnt(0)
	v_dual_max_f32 v40, v40, v40 :: v_dual_max_f32 v39, v39, v39
	v_dual_max_f32 v4, v4, v39 :: v_dual_max_f32 v3, v3, v40
	ds_bpermute_b32 v40, v41, v3
	v_cndmask_b32_e64 v41, v15, v18, s4
	s_delay_alu instid0(VALU_DEP_1) | instskip(SKIP_3) | instid1(VALU_DEP_1)
	v_lshlrev_b32_e32 v41, 2, v41
	ds_bpermute_b32 v39, v41, v4
	s_waitcnt lgkmcnt(0)
	v_dual_max_f32 v40, v40, v40 :: v_dual_max_f32 v39, v39, v39
	v_dual_max_f32 v4, v4, v39 :: v_dual_max_f32 v3, v3, v40
	s_delay_alu instid0(VALU_DEP_1) | instskip(SKIP_3) | instid1(VALU_DEP_2)
	v_sub_f32_e32 v37, v37, v4
	ds_bpermute_b32 v40, v41, v3
	v_dual_sub_f32 v36, v36, v4 :: v_dual_mul_f32 v39, 0x3fb8aa3b, v37
	v_cmp_ngt_f32_e64 s4, 0xc2ce8ed0, v37
	v_cmp_ngt_f32_e64 s6, 0xc2ce8ed0, v36
	v_cmp_nlt_f32_e64 s5, 0x42b17218, v36
	s_delay_alu instid0(VALU_DEP_4) | instskip(SKIP_1) | instid1(VALU_DEP_2)
	v_fma_f32 v41, 0x3fb8aa3b, v37, -v39
	v_rndne_f32_e32 v42, v39
	v_fmac_f32_e32 v41, 0x32a5705f, v37
	s_waitcnt lgkmcnt(0)
	s_delay_alu instid0(VALU_DEP_2) | instskip(NEXT) | instid1(VALU_DEP_1)
	v_dual_sub_f32 v39, v39, v42 :: v_dual_max_f32 v40, v40, v40
	v_add_f32_e32 v39, v39, v41
	v_cvt_i32_f32_e32 v41, v42
	s_delay_alu instid0(VALU_DEP_3) | instskip(NEXT) | instid1(VALU_DEP_3)
	v_max_f32_e32 v3, v3, v40
	v_exp_f32_e32 v39, v39
	s_delay_alu instid0(VALU_DEP_1) | instskip(NEXT) | instid1(VALU_DEP_1)
	v_sub_f32_e32 v38, v38, v3
	v_dual_sub_f32 v35, v35, v3 :: v_dual_mul_f32 v40, 0x3fb8aa3b, v38
	s_waitcnt_depctr 0xfff
	v_ldexp_f32 v39, v39, v41
	v_cmp_ngt_f32_e64 s7, 0xc2ce8ed0, v35
	v_fma_f32 v43, 0x3fb8aa3b, v38, -v40
	v_rndne_f32_e32 v44, v40
	s_delay_alu instid0(VALU_DEP_4) | instskip(SKIP_1) | instid1(VALU_DEP_3)
	v_cndmask_b32_e64 v39, 0, v39, s4
	v_cmp_ngt_f32_e64 s4, 0xc2ce8ed0, v38
	v_dual_fmac_f32 v43, 0x32a5705f, v38 :: v_dual_sub_f32 v40, v40, v44
	v_cvt_i32_f32_e32 v42, v44
	s_delay_alu instid0(VALU_DEP_2) | instskip(NEXT) | instid1(VALU_DEP_1)
	v_add_f32_e32 v40, v40, v43
	v_exp_f32_e32 v40, v40
	s_waitcnt_depctr 0xfff
	v_ldexp_f32 v40, v40, v42
	s_delay_alu instid0(VALU_DEP_1) | instskip(SKIP_1) | instid1(VALU_DEP_1)
	v_cndmask_b32_e64 v40, 0, v40, s4
	v_cmp_nlt_f32_e64 s4, 0x42b17218, v37
	v_cndmask_b32_e64 v37, 0x7f800000, v39, s4
	v_cmp_nlt_f32_e64 s4, 0x42b17218, v38
	s_delay_alu instid0(VALU_DEP_2) | instskip(NEXT) | instid1(VALU_DEP_2)
	v_cvt_f16_f32_e32 v39, v37
	v_cndmask_b32_e64 v38, 0x7f800000, v40, s4
	v_cmp_nlt_f32_e64 s4, 0x42b17218, v35
	s_delay_alu instid0(VALU_DEP_2) | instskip(NEXT) | instid1(VALU_DEP_1)
	v_cvt_f16_f32_e32 v40, v38
	v_pack_b32_f16 v39, v40, v39
	ds_store_b32 v31, v39
	s_and_saveexec_b32 s26, vcc_lo
	s_cbranch_execz .LBB40_17
; %bb.16:                               ;   in Loop: Header=BB40_11 Depth=1
	v_add_co_u32 v39, s8, s22, v10
	s_delay_alu instid0(VALU_DEP_1)
	v_add_co_ci_u32_e64 v40, s8, s23, v11, s8
	global_load_b128 v[39:42], v[39:40], off offset:64
	s_waitcnt vmcnt(0)
	ds_store_b128 v29, v[39:42]
.LBB40_17:                              ;   in Loop: Header=BB40_11 Depth=1
	s_or_b32 exec_lo, exec_lo, s26
	s_and_saveexec_b32 s26, s3
	s_cbranch_execz .LBB40_19
; %bb.18:                               ;   in Loop: Header=BB40_11 Depth=1
	v_add_co_u32 v39, s8, s22, v12
	s_delay_alu instid0(VALU_DEP_1) | instskip(NEXT) | instid1(VALU_DEP_2)
	v_add_co_ci_u32_e64 v40, s8, s23, v13, s8
	v_add_co_u32 v39, s8, v39, v32
	s_delay_alu instid0(VALU_DEP_1)
	v_add_co_ci_u32_e64 v40, s8, 0, v40, s8
	global_load_b128 v[39:42], v[39:40], off
	s_waitcnt vmcnt(0)
	ds_store_b128 v30, v[39:42]
.LBB40_19:                              ;   in Loop: Header=BB40_11 Depth=1
	s_or_b32 exec_lo, exec_lo, s26
	v_dual_mul_f32 v39, 0x3fb8aa3b, v35 :: v_dual_mul_f32 v40, 0x3fb8aa3b, v36
	s_waitcnt lgkmcnt(0)
	s_barrier
	buffer_gl0_inv
	v_fma_f32 v41, 0x3fb8aa3b, v35, -v39
	v_rndne_f32_e32 v43, v39
	v_fma_f32 v42, 0x3fb8aa3b, v36, -v40
	v_rndne_f32_e32 v44, v40
	v_add_nc_u32_e32 v55, 0x400, v23
	v_fmac_f32_e32 v41, 0x32a5705f, v35
	s_delay_alu instid0(VALU_DEP_4) | instskip(NEXT) | instid1(VALU_DEP_4)
	v_dual_sub_f32 v35, v39, v43 :: v_dual_fmac_f32 v42, 0x32a5705f, v36
	v_sub_f32_e32 v36, v40, v44
	v_cvt_i32_f32_e32 v43, v43
	v_cvt_i32_f32_e32 v44, v44
	s_delay_alu instid0(VALU_DEP_4) | instskip(NEXT) | instid1(VALU_DEP_1)
	v_add_f32_e32 v35, v35, v41
	v_exp_f32_e32 v46, v35
	s_waitcnt_depctr 0xfff
	v_ldexp_f32 v43, v46, v43
	s_delay_alu instid0(VALU_DEP_1) | instskip(NEXT) | instid1(VALU_DEP_1)
	v_cndmask_b32_e64 v43, 0, v43, s7
	v_cndmask_b32_e64 v53, 0x7f800000, v43, s4
	v_add_f32_e32 v45, v36, v42
	ds_load_2addr_b32 v[35:36], v23 offset1:20
	ds_load_b128 v[39:42], v28
	ds_load_2addr_b32 v[47:48], v23 offset0:40 offset1:60
	v_fmac_f32_e32 v38, v33, v53
	v_exp_f32_e32 v45, v45
	v_cvt_f16_f32_e32 v52, v53
	s_waitcnt_depctr 0xfff
	v_ldexp_f32 v44, v45, v44
	s_delay_alu instid0(VALU_DEP_1)
	v_cndmask_b32_e64 v49, 0, v44, s6
	s_waitcnt lgkmcnt(1)
	v_pk_mul_f16 v51, v35, v39 op_sel_hi:[1,0]
	v_pk_mul_f16 v35, v35, v39 op_sel:[0,1]
	ds_load_b128 v[43:46], v28 offset:16
	v_cndmask_b32_e64 v54, 0x7f800000, v49, s5
	ds_load_2addr_b32 v[49:50], v23 offset0:80 offset1:100
	v_pk_fma_f16 v16, v52, v16, v51 op_sel_hi:[0,1,1]
	ds_load_2addr_b32 v[51:52], v23 offset0:160 offset1:180
	v_cvt_f16_f32_e32 v39, v54
	v_fmac_f32_e32 v37, v34, v54
	v_pk_fma_f16 v16, v36, v40, v16 op_sel_hi:[1,0,1]
	s_delay_alu instid0(VALU_DEP_3) | instskip(SKIP_1) | instid1(VALU_DEP_2)
	v_pk_fma_f16 v14, v14, v39, v35 op_sel_hi:[1,0,1]
	s_waitcnt lgkmcnt(3)
	v_pk_fma_f16 v16, v47, v41, v16 op_sel_hi:[1,0,1]
	s_delay_alu instid0(VALU_DEP_2) | instskip(SKIP_3) | instid1(VALU_DEP_1)
	v_pk_fma_f16 v14, v36, v40, v14 op_sel:[0,1,0]
	ds_load_2addr_b32 v[35:36], v23 offset0:120 offset1:140
	v_pk_fma_f16 v16, v48, v42, v16 op_sel_hi:[1,0,1]
	v_pk_fma_f16 v14, v47, v41, v14 op_sel:[0,1,0]
	v_pk_fma_f16 v14, v48, v42, v14 op_sel:[0,1,0]
	ds_load_b128 v[39:42], v28 offset:32
	s_waitcnt lgkmcnt(3)
	v_pk_fma_f16 v16, v49, v43, v16 op_sel_hi:[1,0,1]
	v_pk_fma_f16 v14, v49, v43, v14 op_sel:[0,1,0]
	s_delay_alu instid0(VALU_DEP_2) | instskip(NEXT) | instid1(VALU_DEP_2)
	v_pk_fma_f16 v16, v50, v44, v16 op_sel_hi:[1,0,1]
	v_pk_fma_f16 v14, v50, v44, v14 op_sel:[0,1,0]
	ds_load_2addr_b32 v[43:44], v23 offset0:200 offset1:220
	s_waitcnt lgkmcnt(2)
	v_pk_fma_f16 v16, v35, v45, v16 op_sel_hi:[1,0,1]
	ds_load_b128 v[47:50], v28 offset:48
	v_pk_fma_f16 v14, v35, v45, v14 op_sel:[0,1,0]
	v_add_nc_u32_e32 v35, 0x200, v23
	v_pk_fma_f16 v16, v36, v46, v16 op_sel_hi:[1,0,1]
	s_delay_alu instid0(VALU_DEP_3)
	v_pk_fma_f16 v14, v36, v46, v14 op_sel:[0,1,0]
	ds_load_2addr_b32 v[35:36], v35 offset0:112 offset1:132
	s_waitcnt lgkmcnt(3)
	v_pk_fma_f16 v16, v51, v39, v16 op_sel_hi:[1,0,1]
	ds_load_2addr_b32 v[45:46], v55 offset0:24 offset1:44
	v_pk_fma_f16 v14, v51, v39, v14 op_sel:[0,1,0]
	v_pk_fma_f16 v16, v52, v40, v16 op_sel_hi:[1,0,1]
	s_delay_alu instid0(VALU_DEP_2) | instskip(SKIP_4) | instid1(VALU_DEP_2)
	v_pk_fma_f16 v14, v52, v40, v14 op_sel:[0,1,0]
	ds_load_2addr_b32 v[51:52], v55 offset0:64 offset1:84
	s_waitcnt lgkmcnt(4)
	v_pk_fma_f16 v16, v43, v41, v16 op_sel_hi:[1,0,1]
	v_pk_fma_f16 v14, v43, v41, v14 op_sel:[0,1,0]
	v_pk_fma_f16 v16, v44, v42, v16 op_sel_hi:[1,0,1]
	s_delay_alu instid0(VALU_DEP_2) | instskip(SKIP_4) | instid1(VALU_DEP_2)
	v_pk_fma_f16 v14, v44, v42, v14 op_sel:[0,1,0]
	ds_load_b128 v[39:42], v28 offset:64
	s_waitcnt lgkmcnt(3)
	v_pk_fma_f16 v16, v35, v47, v16 op_sel_hi:[1,0,1]
	v_pk_fma_f16 v14, v35, v47, v14 op_sel:[0,1,0]
	v_pk_fma_f16 v16, v36, v48, v16 op_sel_hi:[1,0,1]
	s_delay_alu instid0(VALU_DEP_2) | instskip(SKIP_4) | instid1(VALU_DEP_2)
	v_pk_fma_f16 v14, v36, v48, v14 op_sel:[0,1,0]
	ds_load_2addr_b32 v[35:36], v55 offset0:104 offset1:124
	s_waitcnt lgkmcnt(3)
	v_pk_fma_f16 v16, v45, v49, v16 op_sel_hi:[1,0,1]
	v_pk_fma_f16 v14, v45, v49, v14 op_sel:[0,1,0]
	v_pk_fma_f16 v16, v46, v50, v16 op_sel_hi:[1,0,1]
	s_delay_alu instid0(VALU_DEP_2)
	v_pk_fma_f16 v14, v46, v50, v14 op_sel:[0,1,0]
	ds_load_b128 v[43:46], v28 offset:80
	ds_load_2addr_b32 v[47:48], v55 offset0:144 offset1:164
	s_waitcnt lgkmcnt(3)
	v_pk_fma_f16 v16, v51, v39, v16 op_sel_hi:[1,0,1]
	ds_load_2addr_b32 v[49:50], v55 offset0:184 offset1:204
	v_pk_fma_f16 v14, v51, v39, v14 op_sel:[0,1,0]
	v_add_nc_u32_e32 v51, 0x800, v23
	v_pk_fma_f16 v16, v52, v40, v16 op_sel_hi:[1,0,1]
	s_delay_alu instid0(VALU_DEP_3) | instskip(SKIP_1) | instid1(VALU_DEP_2)
	v_pk_fma_f16 v14, v52, v40, v14 op_sel:[0,1,0]
	s_waitcnt lgkmcnt(3)
	v_pk_fma_f16 v16, v35, v41, v16 op_sel_hi:[1,0,1]
	s_delay_alu instid0(VALU_DEP_2) | instskip(NEXT) | instid1(VALU_DEP_2)
	v_pk_fma_f16 v14, v35, v41, v14 op_sel:[0,1,0]
	v_pk_fma_f16 v16, v36, v42, v16 op_sel_hi:[1,0,1]
	s_delay_alu instid0(VALU_DEP_2)
	v_pk_fma_f16 v14, v36, v42, v14 op_sel:[0,1,0]
	ds_load_2addr_b32 v[35:36], v55 offset0:224 offset1:244
	s_waitcnt lgkmcnt(2)
	v_pk_fma_f16 v16, v47, v43, v16 op_sel_hi:[1,0,1]
	ds_load_b128 v[39:42], v28 offset:96
	v_pk_fma_f16 v14, v47, v43, v14 op_sel:[0,1,0]
	v_pk_fma_f16 v16, v48, v44, v16 op_sel_hi:[1,0,1]
	s_delay_alu instid0(VALU_DEP_2) | instskip(SKIP_4) | instid1(VALU_DEP_2)
	v_pk_fma_f16 v14, v48, v44, v14 op_sel:[0,1,0]
	ds_load_2addr_b32 v[47:48], v51 offset0:8 offset1:28
	s_waitcnt lgkmcnt(3)
	v_pk_fma_f16 v16, v49, v45, v16 op_sel_hi:[1,0,1]
	v_pk_fma_f16 v14, v49, v45, v14 op_sel:[0,1,0]
	v_pk_fma_f16 v16, v50, v46, v16 op_sel_hi:[1,0,1]
	s_delay_alu instid0(VALU_DEP_2)
	v_pk_fma_f16 v14, v50, v46, v14 op_sel:[0,1,0]
	ds_load_b128 v[43:46], v28 offset:112
	ds_load_2addr_b32 v[49:50], v51 offset0:48 offset1:68
	ds_load_2addr_b32 v[51:52], v51 offset0:88 offset1:108
	s_waitcnt lgkmcnt(4)
	v_pk_fma_f16 v16, v35, v39, v16 op_sel_hi:[1,0,1]
	s_waitcnt lgkmcnt(0)
	v_pk_fma_f16 v14, v35, v39, v14 op_sel:[0,1,0]
	s_barrier
	buffer_gl0_inv
	v_pk_fma_f16 v16, v36, v40, v16 op_sel_hi:[1,0,1]
	s_load_b32 s4, s[16:17], 0x4
	v_pk_fma_f16 v14, v36, v40, v14 op_sel:[0,1,0]
	s_delay_alu instid0(VALU_DEP_2) | instskip(NEXT) | instid1(VALU_DEP_2)
	v_pk_fma_f16 v16, v47, v41, v16 op_sel_hi:[1,0,1]
	v_pk_fma_f16 v14, v47, v41, v14 op_sel:[0,1,0]
	s_delay_alu instid0(VALU_DEP_2) | instskip(NEXT) | instid1(VALU_DEP_2)
	v_pk_fma_f16 v16, v48, v42, v16 op_sel_hi:[1,0,1]
	;; [unrolled: 3-line block ×3, first 2 shown]
	v_pk_fma_f16 v14, v49, v43, v14 op_sel:[0,1,0]
	s_delay_alu instid0(VALU_DEP_2) | instskip(SKIP_2) | instid1(VALU_DEP_2)
	v_pk_fma_f16 v16, v50, v44, v16 op_sel_hi:[1,0,1]
	s_waitcnt lgkmcnt(0)
	s_lshl_b32 s4, s4, 5
	v_pk_fma_f16 v14, v50, v44, v14 op_sel:[0,1,0]
	s_add_i32 s9, s4, s9
	v_pk_fma_f16 v16, v51, v45, v16 op_sel_hi:[1,0,1]
	s_cmp_ge_i32 s9, s34
	s_delay_alu instid0(VALU_DEP_2) | instskip(NEXT) | instid1(VALU_DEP_2)
	v_pk_fma_f16 v14, v51, v45, v14 op_sel:[0,1,0]
	v_pk_fma_f16 v16, v52, v46, v16 op_sel_hi:[1,0,1]
	s_delay_alu instid0(VALU_DEP_2)
	v_pk_fma_f16 v14, v52, v46, v14 op_sel:[0,1,0]
	s_cbranch_scc1 .LBB40_21
; %bb.20:                               ;   in Loop: Header=BB40_11 Depth=1
	v_dual_mov_b32 v35, v3 :: v_dual_mov_b32 v36, v4
	v_dual_mov_b32 v33, v38 :: v_dual_mov_b32 v34, v37
	s_branch .LBB40_11
.LBB40_21:
	v_mov_b32_e32 v5, v15
.LBB40_22:
	v_cmp_lt_i32_e32 vcc_lo, v22, v17
	s_cmp_lg_u64 s[24:25], 0
	s_cselect_b32 s3, -1, 0
	s_cmp_eq_u32 s14, 0
	v_cndmask_b32_e32 v6, v5, v22, vcc_lo
	v_cmp_lt_i32_e32 vcc_lo, v21, v17
	s_cselect_b32 s4, -1, 0
	s_delay_alu instid0(SALU_CYCLE_1) | instskip(NEXT) | instid1(VALU_DEP_2)
	s_and_b32 s3, s4, s3
	v_lshlrev_b32_e32 v6, 2, v6
	v_cndmask_b32_e32 v8, v5, v21, vcc_lo
	v_cmp_lt_i32_e32 vcc_lo, v20, v17
	ds_bpermute_b32 v7, v6, v38
	v_lshlrev_b32_e32 v8, 2, v8
	v_cndmask_b32_e32 v10, v5, v20, vcc_lo
	v_cmp_lt_i32_e32 vcc_lo, v19, v17
	s_waitcnt lgkmcnt(0)
	s_delay_alu instid0(VALU_DEP_2)
	v_dual_add_f32 v7, v38, v7 :: v_dual_lshlrev_b32 v10, 2, v10
	ds_bpermute_b32 v9, v8, v7
	s_waitcnt lgkmcnt(0)
	v_add_f32_e32 v7, v7, v9
	ds_bpermute_b32 v6, v6, v37
	s_waitcnt lgkmcnt(0)
	v_add_f32_e32 v6, v37, v6
	;; [unrolled: 3-line block ×3, first 2 shown]
	ds_bpermute_b32 v8, v10, v7
	ds_bpermute_b32 v9, v10, v6
	v_cndmask_b32_e32 v10, v5, v19, vcc_lo
	v_cmp_lt_i32_e32 vcc_lo, v18, v17
	s_delay_alu instid0(VALU_DEP_2) | instskip(SKIP_2) | instid1(VALU_DEP_1)
	v_lshlrev_b32_e32 v10, 2, v10
	v_cndmask_b32_e32 v5, v5, v18, vcc_lo
	s_and_b32 vcc_lo, exec_lo, s3
	v_lshlrev_b32_e32 v5, 2, v5
	s_waitcnt lgkmcnt(0)
	v_dual_add_f32 v7, v7, v8 :: v_dual_add_f32 v6, v6, v9
	ds_bpermute_b32 v8, v10, v7
	ds_bpermute_b32 v9, v10, v6
	s_waitcnt lgkmcnt(0)
	v_dual_add_f32 v7, v7, v8 :: v_dual_add_f32 v6, v6, v9
	ds_bpermute_b32 v8, v5, v7
	ds_bpermute_b32 v9, v5, v6
	s_waitcnt lgkmcnt(0)
	v_dual_add_f32 v5, v7, v8 :: v_dual_add_f32 v6, v6, v9
	s_cbranch_vccz .LBB40_25
; %bb.23:
	s_ashr_i32 s13, s12, 31
	v_mov_b32_e32 v7, 0
	s_lshl_b64 s[4:5], s[12:13], 2
	v_max_f32_e32 v9, v3, v3
	s_add_u32 s4, s24, s4
	s_addc_u32 s5, s25, s5
	v_max_f32_e32 v11, v4, v4
	global_load_b64 v[7:8], v7, s[4:5]
	s_waitcnt vmcnt(0)
	v_max_f32_e32 v10, v7, v7
	s_delay_alu instid0(VALU_DEP_1) | instskip(NEXT) | instid1(VALU_DEP_1)
	v_dual_max_f32 v12, v8, v8 :: v_dual_max_f32 v9, v9, v10
	v_max_f32_e32 v10, v11, v12
	s_delay_alu instid0(VALU_DEP_1) | instskip(SKIP_1) | instid1(VALU_DEP_2)
	v_dual_sub_f32 v3, v3, v9 :: v_dual_sub_f32 v8, v8, v10
	v_dual_sub_f32 v7, v7, v9 :: v_dual_sub_f32 v4, v4, v10
	v_mul_f32_e32 v11, 0x3fb8aa3b, v3
	v_cmp_ngt_f32_e32 vcc_lo, 0xc2ce8ed0, v3
	s_delay_alu instid0(VALU_DEP_3) | instskip(NEXT) | instid1(VALU_DEP_3)
	v_dual_mul_f32 v12, 0x3fb8aa3b, v7 :: v_dual_mul_f32 v13, 0x3fb8aa3b, v4
	v_fma_f32 v17, 0x3fb8aa3b, v3, -v11
	v_rndne_f32_e32 v18, v11
	s_delay_alu instid0(VALU_DEP_3)
	v_fma_f32 v19, 0x3fb8aa3b, v7, -v12
	v_rndne_f32_e32 v20, v12
	v_fma_f32 v21, 0x3fb8aa3b, v4, -v13
	v_fmac_f32_e32 v17, 0x32a5705f, v3
	v_sub_f32_e32 v11, v11, v18
	v_rndne_f32_e32 v22, v13
	v_dual_sub_f32 v12, v12, v20 :: v_dual_fmac_f32 v19, 0x32a5705f, v7
	v_mul_f32_e32 v15, 0x3fb8aa3b, v8
	s_delay_alu instid0(VALU_DEP_4) | instskip(SKIP_1) | instid1(VALU_DEP_4)
	v_add_f32_e32 v11, v11, v17
	v_fmac_f32_e32 v21, 0x32a5705f, v4
	v_dual_sub_f32 v13, v13, v22 :: v_dual_add_f32 v12, v12, v19
	s_delay_alu instid0(VALU_DEP_4) | instskip(SKIP_2) | instid1(VALU_DEP_3)
	v_fma_f32 v23, 0x3fb8aa3b, v8, -v15
	v_rndne_f32_e32 v24, v15
	v_exp_f32_e32 v11, v11
	v_add_f32_e32 v13, v13, v21
	v_exp_f32_e32 v12, v12
	v_fmac_f32_e32 v23, 0x32a5705f, v8
	v_sub_f32_e32 v15, v15, v24
	v_cvt_i32_f32_e32 v17, v18
	v_exp_f32_e32 v13, v13
	v_cvt_i32_f32_e32 v18, v20
	v_cvt_i32_f32_e32 v19, v22
	v_add_f32_e32 v15, v15, v23
	v_ldexp_f32 v11, v11, v17
	v_cvt_i32_f32_e32 v20, v24
	v_ldexp_f32 v12, v12, v18
	s_delay_alu instid0(VALU_DEP_4) | instskip(NEXT) | instid1(VALU_DEP_3)
	v_exp_f32_e32 v15, v15
	v_cndmask_b32_e32 v11, 0, v11, vcc_lo
	v_cmp_ngt_f32_e32 vcc_lo, 0xc2ce8ed0, v7
	v_ldexp_f32 v13, v13, v19
	v_cndmask_b32_e32 v12, 0, v12, vcc_lo
	v_cmp_ngt_f32_e32 vcc_lo, 0xc2ce8ed0, v4
	s_waitcnt_depctr 0xfff
	v_ldexp_f32 v15, v15, v20
	v_cndmask_b32_e32 v13, 0, v13, vcc_lo
	v_cmp_ngt_f32_e32 vcc_lo, 0xc2ce8ed0, v8
	s_delay_alu instid0(VALU_DEP_3) | instskip(SKIP_3) | instid1(VALU_DEP_2)
	v_cndmask_b32_e32 v15, 0, v15, vcc_lo
	v_cmp_nlt_f32_e32 vcc_lo, 0x42b17218, v3
	v_cndmask_b32_e32 v3, 0x7f800000, v11, vcc_lo
	v_cmp_nlt_f32_e32 vcc_lo, 0x42b17218, v7
	v_cvt_f16_f32_e32 v11, v3
	v_cndmask_b32_e32 v7, 0x7f800000, v12, vcc_lo
	v_cmp_nlt_f32_e32 vcc_lo, 0x42b17218, v4
	s_delay_alu instid0(VALU_DEP_3) | instskip(NEXT) | instid1(VALU_DEP_3)
	v_pk_mul_f16 v16, v16, v11 op_sel_hi:[1,0]
	v_dual_fmac_f32 v7, v5, v3 :: v_dual_cndmask_b32 v4, 0x7f800000, v13
	v_cmp_nlt_f32_e32 vcc_lo, 0x42b17218, v8
	s_delay_alu instid0(VALU_DEP_2) | instskip(NEXT) | instid1(VALU_DEP_3)
	v_mov_b32_e32 v5, v7
	v_cvt_f16_f32_e32 v12, v4
	v_cndmask_b32_e32 v8, 0x7f800000, v15, vcc_lo
	s_delay_alu instid0(VALU_DEP_2) | instskip(NEXT) | instid1(VALU_DEP_2)
	v_pk_mul_f16 v14, v14, v12 op_sel_hi:[1,0]
	v_dual_fmac_f32 v8, v6, v4 :: v_dual_mov_b32 v3, v9
	v_mov_b32_e32 v4, v10
	s_delay_alu instid0(VALU_DEP_2)
	v_mov_b32_e32 v6, v8
	s_mov_b32 s3, exec_lo
	v_cmpx_gt_i32_e64 s10, v2
	s_cbranch_execnz .LBB40_26
.LBB40_24:
	s_nop 0
	s_sendmsg sendmsg(MSG_DEALLOC_VGPRS)
	s_endpgm
.LBB40_25:
	s_delay_alu instid0(VALU_DEP_1)
	v_dual_mov_b32 v8, v6 :: v_dual_mov_b32 v7, v5
	s_mov_b32 s3, exec_lo
	v_cmpx_gt_i32_e64 s10, v2
	s_cbranch_execz .LBB40_24
.LBB40_26:
	s_load_b32 s0, s[0:1], 0xd4
	v_mov_b32_e32 v11, 1.0
	s_waitcnt lgkmcnt(0)
	s_cmp_lg_u32 s0, 1
	s_cselect_b32 s3, -1, 0
	s_cmp_eq_u32 s0, 1
	s_cselect_b32 s1, -1, 0
	s_and_b32 vcc_lo, exec_lo, s3
	s_cbranch_vccnz .LBB40_28
; %bb.27:
	v_div_scale_f32 v9, null, v5, v5, 1.0
	s_delay_alu instid0(VALU_DEP_1) | instskip(SKIP_2) | instid1(VALU_DEP_1)
	v_rcp_f32_e32 v10, v9
	s_waitcnt_depctr 0xfff
	v_fma_f32 v11, -v9, v10, 1.0
	v_fmac_f32_e32 v10, v11, v10
	v_div_scale_f32 v11, vcc_lo, 1.0, v5, 1.0
	s_delay_alu instid0(VALU_DEP_1) | instskip(NEXT) | instid1(VALU_DEP_1)
	v_mul_f32_e32 v12, v11, v10
	v_fma_f32 v13, -v9, v12, v11
	s_delay_alu instid0(VALU_DEP_1) | instskip(NEXT) | instid1(VALU_DEP_1)
	v_fmac_f32_e32 v12, v13, v10
	v_fma_f32 v9, -v9, v12, v11
	s_delay_alu instid0(VALU_DEP_1) | instskip(NEXT) | instid1(VALU_DEP_1)
	v_div_fmas_f32 v9, v9, v10, v12
	v_div_fixup_f32 v11, v9, v5, 1.0
.LBB40_28:
	v_mad_u64_u32 v[9:10], null, s33, s10, v[2:3]
	s_delay_alu instid0(VALU_DEP_1) | instskip(NEXT) | instid1(VALU_DEP_1)
	v_mad_u64_u32 v[12:13], null, v9, s11, s[12:13]
	v_mad_u64_u32 v[9:10], null, s0, v12, s[14:15]
	s_and_saveexec_b32 s4, s2
	s_cbranch_execz .LBB40_30
; %bb.29:
	s_delay_alu instid0(VALU_DEP_1) | instskip(SKIP_3) | instid1(VALU_DEP_3)
	v_mad_u64_u32 v[12:13], null, v9, 40, v[0:1]
	v_cvt_f32_f16_e32 v5, v16
	v_mov_b32_e32 v13, 0
	v_lshrrev_b32_e32 v2, 16, v16
	v_mul_f32_e32 v10, v11, v5
	s_delay_alu instid0(VALU_DEP_3) | instskip(NEXT) | instid1(VALU_DEP_3)
	v_lshlrev_b64 v[12:13], 2, v[12:13]
	v_cvt_f32_f16_e32 v2, v2
	s_delay_alu instid0(VALU_DEP_1) | instskip(NEXT) | instid1(VALU_DEP_3)
	v_mul_f32_e32 v11, v11, v2
	v_add_co_u32 v12, vcc_lo, s28, v12
	s_delay_alu instid0(VALU_DEP_4)
	v_add_co_ci_u32_e32 v13, vcc_lo, s29, v13, vcc_lo
	global_store_b64 v[12:13], v[10:11], off
.LBB40_30:
	s_or_b32 exec_lo, exec_lo, s4
	v_cmp_eq_u32_e32 vcc_lo, 0, v1
	s_and_b32 s3, vcc_lo, s3
	s_delay_alu instid0(SALU_CYCLE_1)
	s_and_saveexec_b32 s4, s3
	s_cbranch_execnz .LBB40_34
; %bb.31:
	s_or_b32 exec_lo, exec_lo, s4
	v_mov_b32_e32 v2, 1.0
	s_and_not1_b32 vcc_lo, exec_lo, s1
	s_cbranch_vccz .LBB40_35
.LBB40_32:
	v_add_nc_u32_e32 v1, s0, v9
	s_and_saveexec_b32 s0, s2
	s_cbranch_execnz .LBB40_36
.LBB40_33:
	s_or_b32 exec_lo, exec_lo, s0
	s_delay_alu instid0(SALU_CYCLE_1)
	s_and_b32 exec_lo, exec_lo, s3
	s_cbranch_execz .LBB40_24
	s_branch .LBB40_37
.LBB40_34:
	v_ashrrev_i32_e32 v10, 31, v9
	v_mov_b32_e32 v11, v7
	s_delay_alu instid0(VALU_DEP_2) | instskip(SKIP_1) | instid1(VALU_DEP_2)
	v_lshlrev_b64 v[1:2], 3, v[9:10]
	v_mov_b32_e32 v10, v3
	v_add_co_u32 v1, vcc_lo, s30, v1
	s_delay_alu instid0(VALU_DEP_3)
	v_add_co_ci_u32_e32 v2, vcc_lo, s31, v2, vcc_lo
	global_store_b64 v[1:2], v[10:11], off
	s_or_b32 exec_lo, exec_lo, s4
	v_mov_b32_e32 v2, 1.0
	s_and_not1_b32 vcc_lo, exec_lo, s1
	s_cbranch_vccnz .LBB40_32
.LBB40_35:
	v_div_scale_f32 v1, null, v6, v6, 1.0
	s_delay_alu instid0(VALU_DEP_1) | instskip(SKIP_2) | instid1(VALU_DEP_1)
	v_rcp_f32_e32 v2, v1
	s_waitcnt_depctr 0xfff
	v_fma_f32 v3, -v1, v2, 1.0
	v_fmac_f32_e32 v2, v3, v2
	v_div_scale_f32 v3, vcc_lo, 1.0, v6, 1.0
	s_delay_alu instid0(VALU_DEP_1) | instskip(NEXT) | instid1(VALU_DEP_1)
	v_mul_f32_e32 v5, v3, v2
	v_fma_f32 v7, -v1, v5, v3
	s_delay_alu instid0(VALU_DEP_1) | instskip(NEXT) | instid1(VALU_DEP_1)
	v_fmac_f32_e32 v5, v7, v2
	v_fma_f32 v1, -v1, v5, v3
	s_delay_alu instid0(VALU_DEP_1) | instskip(NEXT) | instid1(VALU_DEP_1)
	v_div_fmas_f32 v1, v1, v2, v5
	v_div_fixup_f32 v2, v1, v6, 1.0
	v_add_nc_u32_e32 v1, s0, v9
	s_and_saveexec_b32 s0, s2
	s_cbranch_execz .LBB40_33
.LBB40_36:
	s_delay_alu instid0(VALU_DEP_1) | instskip(SKIP_3) | instid1(VALU_DEP_3)
	v_mad_u64_u32 v[5:6], null, v1, 40, v[0:1]
	v_cvt_f32_f16_e32 v3, v14
	v_mov_b32_e32 v6, 0
	v_lshrrev_b32_e32 v0, 16, v14
	v_mul_f32_e32 v9, v2, v3
	s_delay_alu instid0(VALU_DEP_3) | instskip(NEXT) | instid1(VALU_DEP_3)
	v_lshlrev_b64 v[5:6], 2, v[5:6]
	v_cvt_f32_f16_e32 v0, v0
	s_delay_alu instid0(VALU_DEP_1) | instskip(NEXT) | instid1(VALU_DEP_3)
	v_mul_f32_e32 v10, v2, v0
	v_add_co_u32 v2, vcc_lo, s28, v5
	s_delay_alu instid0(VALU_DEP_4) | instskip(SKIP_2) | instid1(SALU_CYCLE_1)
	v_add_co_ci_u32_e32 v3, vcc_lo, s29, v6, vcc_lo
	global_store_b64 v[2:3], v[9:10], off
	s_or_b32 exec_lo, exec_lo, s0
	s_and_b32 exec_lo, exec_lo, s3
	s_cbranch_execz .LBB40_24
.LBB40_37:
	v_ashrrev_i32_e32 v2, 31, v1
	v_mov_b32_e32 v7, v4
	s_delay_alu instid0(VALU_DEP_2) | instskip(NEXT) | instid1(VALU_DEP_1)
	v_lshlrev_b64 v[0:1], 3, v[1:2]
	v_add_co_u32 v0, vcc_lo, s30, v0
	s_delay_alu instid0(VALU_DEP_2)
	v_add_co_ci_u32_e32 v1, vcc_lo, s31, v1, vcc_lo
	global_store_b64 v[0:1], v[7:8], off
	s_nop 0
	s_sendmsg sendmsg(MSG_DEALLOC_VGPRS)
	s_endpgm
	.section	.rodata,"a",@progbits
	.p2align	6, 0x0
	.amdhsa_kernel _ZL15flash_attn_tileILi40ELi40ELi8ELi2ELb0EEvPKcS1_S1_S1_S1_PKiPfP15HIP_vector_typeIfLj2EEffffjfiS5_IjLj3EEiiiiiiiiiiiliiliiiiil
		.amdhsa_group_segment_fixed_size 5472
		.amdhsa_private_segment_fixed_size 0
		.amdhsa_kernarg_size 464
		.amdhsa_user_sgpr_count 13
		.amdhsa_user_sgpr_dispatch_ptr 0
		.amdhsa_user_sgpr_queue_ptr 0
		.amdhsa_user_sgpr_kernarg_segment_ptr 1
		.amdhsa_user_sgpr_dispatch_id 0
		.amdhsa_user_sgpr_private_segment_size 0
		.amdhsa_wavefront_size32 1
		.amdhsa_uses_dynamic_stack 0
		.amdhsa_enable_private_segment 0
		.amdhsa_system_sgpr_workgroup_id_x 1
		.amdhsa_system_sgpr_workgroup_id_y 1
		.amdhsa_system_sgpr_workgroup_id_z 1
		.amdhsa_system_sgpr_workgroup_info 0
		.amdhsa_system_vgpr_workitem_id 1
		.amdhsa_next_free_vgpr 56
		.amdhsa_next_free_sgpr 44
		.amdhsa_reserve_vcc 1
		.amdhsa_float_round_mode_32 0
		.amdhsa_float_round_mode_16_64 0
		.amdhsa_float_denorm_mode_32 3
		.amdhsa_float_denorm_mode_16_64 3
		.amdhsa_dx10_clamp 1
		.amdhsa_ieee_mode 1
		.amdhsa_fp16_overflow 0
		.amdhsa_workgroup_processor_mode 1
		.amdhsa_memory_ordered 1
		.amdhsa_forward_progress 0
		.amdhsa_shared_vgpr_count 0
		.amdhsa_exception_fp_ieee_invalid_op 0
		.amdhsa_exception_fp_denorm_src 0
		.amdhsa_exception_fp_ieee_div_zero 0
		.amdhsa_exception_fp_ieee_overflow 0
		.amdhsa_exception_fp_ieee_underflow 0
		.amdhsa_exception_fp_ieee_inexact 0
		.amdhsa_exception_int_div_zero 0
	.end_amdhsa_kernel
	.section	.text._ZL15flash_attn_tileILi40ELi40ELi8ELi2ELb0EEvPKcS1_S1_S1_S1_PKiPfP15HIP_vector_typeIfLj2EEffffjfiS5_IjLj3EEiiiiiiiiiiiliiliiiiil,"axG",@progbits,_ZL15flash_attn_tileILi40ELi40ELi8ELi2ELb0EEvPKcS1_S1_S1_S1_PKiPfP15HIP_vector_typeIfLj2EEffffjfiS5_IjLj3EEiiiiiiiiiiiliiliiiiil,comdat
.Lfunc_end40:
	.size	_ZL15flash_attn_tileILi40ELi40ELi8ELi2ELb0EEvPKcS1_S1_S1_S1_PKiPfP15HIP_vector_typeIfLj2EEffffjfiS5_IjLj3EEiiiiiiiiiiiliiliiiiil, .Lfunc_end40-_ZL15flash_attn_tileILi40ELi40ELi8ELi2ELb0EEvPKcS1_S1_S1_S1_PKiPfP15HIP_vector_typeIfLj2EEffffjfiS5_IjLj3EEiiiiiiiiiiiliiliiiiil
                                        ; -- End function
	.section	.AMDGPU.csdata,"",@progbits
; Kernel info:
; codeLenInByte = 6232
; NumSgprs: 46
; NumVgprs: 56
; ScratchSize: 0
; MemoryBound: 0
; FloatMode: 240
; IeeeMode: 1
; LDSByteSize: 5472 bytes/workgroup (compile time only)
; SGPRBlocks: 5
; VGPRBlocks: 6
; NumSGPRsForWavesPerEU: 46
; NumVGPRsForWavesPerEU: 56
; Occupancy: 16
; WaveLimiterHint : 1
; COMPUTE_PGM_RSRC2:SCRATCH_EN: 0
; COMPUTE_PGM_RSRC2:USER_SGPR: 13
; COMPUTE_PGM_RSRC2:TRAP_HANDLER: 0
; COMPUTE_PGM_RSRC2:TGID_X_EN: 1
; COMPUTE_PGM_RSRC2:TGID_Y_EN: 1
; COMPUTE_PGM_RSRC2:TGID_Z_EN: 1
; COMPUTE_PGM_RSRC2:TIDIG_COMP_CNT: 1
	.section	.text._ZL33flash_attn_stream_k_fixup_uniformILi40ELi8ELi2EEvPfPK15HIP_vector_typeIfLj2EEiiiiiiS1_IjLj3EES5_S5_,"axG",@progbits,_ZL33flash_attn_stream_k_fixup_uniformILi40ELi8ELi2EEvPfPK15HIP_vector_typeIfLj2EEiiiiiiS1_IjLj3EES5_S5_,comdat
	.globl	_ZL33flash_attn_stream_k_fixup_uniformILi40ELi8ELi2EEvPfPK15HIP_vector_typeIfLj2EEiiiiiiS1_IjLj3EES5_S5_ ; -- Begin function _ZL33flash_attn_stream_k_fixup_uniformILi40ELi8ELi2EEvPfPK15HIP_vector_typeIfLj2EEiiiiiiS1_IjLj3EES5_S5_
	.p2align	8
	.type	_ZL33flash_attn_stream_k_fixup_uniformILi40ELi8ELi2EEvPfPK15HIP_vector_typeIfLj2EEiiiiiiS1_IjLj3EES5_S5_,@function
_ZL33flash_attn_stream_k_fixup_uniformILi40ELi8ELi2EEvPfPK15HIP_vector_typeIfLj2EEiiiiiiS1_IjLj3EES5_S5_: ; @_ZL33flash_attn_stream_k_fixup_uniformILi40ELi8ELi2EEvPfPK15HIP_vector_typeIfLj2EEiiiiiiS1_IjLj3EES5_S5_
; %bb.0:
	s_clause 0x1
	s_load_b256 s[4:11], s[0:1], 0x1c
	s_load_b128 s[16:19], s[0:1], 0x3c
	s_waitcnt lgkmcnt(0)
	s_mul_hi_u32 s2, s7, s13
	s_delay_alu instid0(SALU_CYCLE_1) | instskip(NEXT) | instid1(SALU_CYCLE_1)
	s_add_i32 s2, s13, s2
	s_lshr_b32 s2, s2, s8
	s_delay_alu instid0(SALU_CYCLE_1) | instskip(SKIP_2) | instid1(SALU_CYCLE_1)
	s_mul_i32 s3, s2, s9
	s_load_b64 s[8:9], s[0:1], 0x10
	s_sub_i32 s3, s13, s3
	s_mul_hi_u32 s7, s3, s10
	s_delay_alu instid0(SALU_CYCLE_1) | instskip(NEXT) | instid1(SALU_CYCLE_1)
	s_add_i32 s7, s3, s7
	s_lshr_b32 s7, s7, s11
	s_delay_alu instid0(SALU_CYCLE_1) | instskip(NEXT) | instid1(SALU_CYCLE_1)
	s_mul_i32 s10, s7, s16
	s_sub_i32 s3, s3, s10
	s_delay_alu instid0(SALU_CYCLE_1) | instskip(NEXT) | instid1(SALU_CYCLE_1)
	s_mul_hi_u32 s10, s3, s17
	s_add_i32 s10, s3, s10
	s_delay_alu instid0(SALU_CYCLE_1) | instskip(NEXT) | instid1(SALU_CYCLE_1)
	s_lshr_b32 s11, s10, s18
	s_mul_i32 s10, s11, s19
	s_lshl_b32 s11, s11, 1
	s_sub_i32 s10, s3, s10
	s_delay_alu instid0(SALU_CYCLE_1) | instskip(NEXT) | instid1(SALU_CYCLE_1)
	s_lshl_b32 s3, s10, 3
	s_add_i32 s3, s3, s14
	s_waitcnt lgkmcnt(0)
	s_cmp_lt_i32 s3, s8
	s_cselect_b32 s3, -1, 0
	s_add_i32 s11, s11, s15
	s_delay_alu instid0(SALU_CYCLE_1) | instskip(SKIP_1) | instid1(SALU_CYCLE_1)
	s_cmp_lt_i32 s11, s5
	s_cselect_b32 s12, -1, 0
	s_and_b32 s3, s3, s12
	s_delay_alu instid0(SALU_CYCLE_1)
	s_and_not1_b32 vcc_lo, exec_lo, s3
	s_cbranch_vccnz .LBB41_6
; %bb.1:
	s_mul_i32 s8, s2, s8
	s_mul_i32 s7, s7, s5
	s_add_i32 s8, s8, s14
	s_add_i32 s5, s11, s7
	s_mul_i32 s8, s8, s9
	s_load_b128 s[0:3], s[0:1], 0x0
	s_mul_i32 s7, s9, s10
	s_add_i32 s5, s5, s8
	s_mulk_i32 s7, 0x140
	s_mul_i32 s5, s5, 40
	s_lshl_b32 s9, s14, 1
	v_add3_u32 v1, s5, s7, v0
	s_mul_i32 s5, s13, s6
	s_delay_alu instid0(SALU_CYCLE_1) | instskip(NEXT) | instid1(VALU_DEP_1)
	s_add_i32 s10, s5, s6
	v_ashrrev_i32_e32 v2, 31, v1
	s_delay_alu instid0(VALU_DEP_1) | instskip(SKIP_1) | instid1(VALU_DEP_1)
	v_lshlrev_b64 v[1:2], 2, v[1:2]
	s_waitcnt lgkmcnt(0)
	v_add_co_u32 v1, vcc_lo, s0, v1
	s_delay_alu instid0(VALU_DEP_2) | instskip(SKIP_4) | instid1(SALU_CYCLE_1)
	v_add_co_ci_u32_e32 v2, vcc_lo, s1, v2, vcc_lo
	s_add_i32 s0, s9, s15
	s_lshl_b32 s1, s10, 4
	global_load_b32 v5, v[1:2], off
	s_add_i32 s0, s0, s1
	s_add_i32 s0, s0, -16
	s_delay_alu instid0(SALU_CYCLE_1) | instskip(NEXT) | instid1(SALU_CYCLE_1)
	s_ashr_i32 s1, s0, 31
	s_lshl_b64 s[0:1], s[0:1], 3
	s_delay_alu instid0(SALU_CYCLE_1)
	s_add_u32 s0, s2, s0
	s_addc_u32 s1, s3, s1
	s_add_i32 s7, s10, -2
	s_load_b32 s11, s[0:1], 0x4
	s_cmp_lt_i32 s7, s5
	s_cbranch_scc1 .LBB41_4
; %bb.2:
	s_load_b32 s12, s[0:1], 0x0
	s_lshl_b32 s16, s4, 6
	s_mulk_i32 s14, 0x50
	s_ashr_i32 s17, s16, 31
	s_waitcnt lgkmcnt(0)
	v_mov_b32_e32 v6, s11
	s_lshl_b64 s[0:1], s[16:17], 2
	s_delay_alu instid0(SALU_CYCLE_1)
	s_add_u32 s7, s2, s0
	s_addc_u32 s8, s3, s1
	s_add_i32 s13, s13, 1
	s_lshl_b32 s4, s4, 4
	s_mul_i32 s0, s6, s13
	s_mul_i32 s6, s15, 40
	s_lshl_b32 s1, s0, 4
	s_mulk_i32 s0, 0x280
	s_add_i32 s6, s6, s14
	s_add_i32 s1, s15, s1
	s_add_i32 s6, s6, s0
	s_add_i32 s0, s1, s4
	v_add3_u32 v3, s6, v0, 0xfffffb00
	v_mov_b32_e32 v0, s12
	s_add_i32 s0, s0, s9
	s_add_i32 s4, s10, -1
	s_sub_i32 s0, s0, 32
.LBB41_3:                               ; =>This Inner Loop Header: Depth=1
	s_delay_alu instid0(VALU_DEP_2) | instskip(SKIP_1) | instid1(SALU_CYCLE_1)
	v_ashrrev_i32_e32 v4, 31, v3
	s_ashr_i32 s1, s0, 31
	s_lshl_b64 s[10:11], s[0:1], 3
	s_delay_alu instid0(SALU_CYCLE_1) | instskip(NEXT) | instid1(VALU_DEP_1)
	s_add_u32 s10, s2, s10
	v_lshlrev_b64 v[7:8], 2, v[3:4]
	s_addc_u32 s11, s3, s11
	s_add_i32 s4, s4, -1
	s_add_i32 s0, s0, -16
	s_cmp_le_i32 s4, s5
	s_load_b64 s[10:11], s[10:11], 0x0
	v_add_co_u32 v7, vcc_lo, s7, v7
	v_add_co_ci_u32_e32 v8, vcc_lo, s8, v8, vcc_lo
	global_load_b32 v4, v[7:8], off
	v_max_f32_e32 v7, v0, v0
	s_waitcnt lgkmcnt(0)
	v_max_f32_e64 v8, s10, s10
	s_delay_alu instid0(VALU_DEP_1) | instskip(NEXT) | instid1(VALU_DEP_1)
	v_max_f32_e32 v7, v7, v8
	v_sub_f32_e32 v8, s10, v7
	s_delay_alu instid0(VALU_DEP_1) | instskip(NEXT) | instid1(VALU_DEP_1)
	v_dual_sub_f32 v0, v0, v7 :: v_dual_mul_f32 v9, 0x3fb8aa3b, v8
	v_fma_f32 v10, 0x3fb8aa3b, v8, -v9
	v_rndne_f32_e32 v11, v9
	s_delay_alu instid0(VALU_DEP_3) | instskip(NEXT) | instid1(VALU_DEP_2)
	v_mul_f32_e32 v12, 0x3fb8aa3b, v0
	v_dual_fmac_f32 v10, 0x32a5705f, v8 :: v_dual_sub_f32 v9, v9, v11
	v_cvt_i32_f32_e32 v11, v11
	s_delay_alu instid0(VALU_DEP_3) | instskip(SKIP_1) | instid1(VALU_DEP_4)
	v_fma_f32 v13, 0x3fb8aa3b, v0, -v12
	v_rndne_f32_e32 v14, v12
	v_add_f32_e32 v9, v9, v10
	v_cmp_ngt_f32_e32 vcc_lo, 0xc2ce8ed0, v8
	s_delay_alu instid0(VALU_DEP_3) | instskip(NEXT) | instid1(VALU_DEP_3)
	v_sub_f32_e32 v10, v12, v14
	v_exp_f32_e32 v9, v9
	s_waitcnt_depctr 0xfff
	v_ldexp_f32 v9, v9, v11
	v_cvt_i32_f32_e32 v11, v14
	s_delay_alu instid0(VALU_DEP_2) | instskip(SKIP_1) | instid1(VALU_DEP_2)
	v_cndmask_b32_e32 v9, 0, v9, vcc_lo
	v_cmp_nlt_f32_e32 vcc_lo, 0x42b17218, v8
	v_cndmask_b32_e32 v9, 0x7f800000, v9, vcc_lo
	v_cmp_ngt_f32_e32 vcc_lo, 0xc2ce8ed0, v0
	v_fmac_f32_e32 v13, 0x32a5705f, v0
	s_delay_alu instid0(VALU_DEP_1) | instskip(NEXT) | instid1(VALU_DEP_1)
	v_add_f32_e32 v10, v10, v13
	v_exp_f32_e32 v10, v10
	s_waitcnt_depctr 0xfff
	v_ldexp_f32 v10, v10, v11
	s_delay_alu instid0(VALU_DEP_1)
	v_dual_mov_b32 v11, v6 :: v_dual_cndmask_b32 v10, 0, v10
	v_cmp_le_f32_e32 vcc_lo, 0xc1a00000, v8
	s_waitcnt vmcnt(1)
	v_dual_cndmask_b32 v8, 0, v9 :: v_dual_mov_b32 v9, v5
	v_cmp_nlt_f32_e32 vcc_lo, 0x42b17218, v0
	v_cndmask_b32_e32 v5, 0x7f800000, v10, vcc_lo
	s_delay_alu instid0(VALU_DEP_3) | instskip(SKIP_2) | instid1(VALU_DEP_3)
	v_mul_f32_e32 v10, s11, v8
	v_cmp_le_f32_e32 vcc_lo, 0xc1a00000, v0
	v_mov_b32_e32 v0, v7
	v_mov_b32_e32 v6, v10
	s_waitcnt vmcnt(0)
	v_dual_cndmask_b32 v12, 0, v5 :: v_dual_mul_f32 v5, v4, v8
	s_delay_alu instid0(VALU_DEP_1) | instskip(NEXT) | instid1(VALU_DEP_2)
	v_dual_fmac_f32 v6, v11, v12 :: v_dual_add_nc_u32 v3, 0xfffffd80, v3
	v_fmac_f32_e32 v5, v9, v12
	s_cbranch_scc0 .LBB41_3
	s_branch .LBB41_5
.LBB41_4:
	s_waitcnt lgkmcnt(0)
	v_mov_b32_e32 v6, s11
.LBB41_5:
	s_waitcnt vmcnt(0)
	s_delay_alu instid0(VALU_DEP_1) | instskip(NEXT) | instid1(VALU_DEP_1)
	v_div_scale_f32 v0, null, v6, v6, v5
	v_rcp_f32_e32 v3, v0
	s_waitcnt_depctr 0xfff
	v_fma_f32 v4, -v0, v3, 1.0
	s_delay_alu instid0(VALU_DEP_1) | instskip(SKIP_1) | instid1(VALU_DEP_1)
	v_fmac_f32_e32 v3, v4, v3
	v_div_scale_f32 v4, vcc_lo, v5, v6, v5
	v_mul_f32_e32 v7, v4, v3
	s_delay_alu instid0(VALU_DEP_1) | instskip(NEXT) | instid1(VALU_DEP_1)
	v_fma_f32 v8, -v0, v7, v4
	v_fmac_f32_e32 v7, v8, v3
	s_delay_alu instid0(VALU_DEP_1) | instskip(NEXT) | instid1(VALU_DEP_1)
	v_fma_f32 v0, -v0, v7, v4
	v_div_fmas_f32 v0, v0, v3, v7
	s_delay_alu instid0(VALU_DEP_1)
	v_div_fixup_f32 v0, v0, v6, v5
	global_store_b32 v[1:2], v0, off
.LBB41_6:
	s_nop 0
	s_sendmsg sendmsg(MSG_DEALLOC_VGPRS)
	s_endpgm
	.section	.rodata,"a",@progbits
	.p2align	6, 0x0
	.amdhsa_kernel _ZL33flash_attn_stream_k_fixup_uniformILi40ELi8ELi2EEvPfPK15HIP_vector_typeIfLj2EEiiiiiiS1_IjLj3EES5_S5_
		.amdhsa_group_segment_fixed_size 0
		.amdhsa_private_segment_fixed_size 0
		.amdhsa_kernarg_size 76
		.amdhsa_user_sgpr_count 13
		.amdhsa_user_sgpr_dispatch_ptr 0
		.amdhsa_user_sgpr_queue_ptr 0
		.amdhsa_user_sgpr_kernarg_segment_ptr 1
		.amdhsa_user_sgpr_dispatch_id 0
		.amdhsa_user_sgpr_private_segment_size 0
		.amdhsa_wavefront_size32 1
		.amdhsa_uses_dynamic_stack 0
		.amdhsa_enable_private_segment 0
		.amdhsa_system_sgpr_workgroup_id_x 1
		.amdhsa_system_sgpr_workgroup_id_y 1
		.amdhsa_system_sgpr_workgroup_id_z 1
		.amdhsa_system_sgpr_workgroup_info 0
		.amdhsa_system_vgpr_workitem_id 0
		.amdhsa_next_free_vgpr 15
		.amdhsa_next_free_sgpr 20
		.amdhsa_reserve_vcc 1
		.amdhsa_float_round_mode_32 0
		.amdhsa_float_round_mode_16_64 0
		.amdhsa_float_denorm_mode_32 3
		.amdhsa_float_denorm_mode_16_64 3
		.amdhsa_dx10_clamp 1
		.amdhsa_ieee_mode 1
		.amdhsa_fp16_overflow 0
		.amdhsa_workgroup_processor_mode 1
		.amdhsa_memory_ordered 1
		.amdhsa_forward_progress 0
		.amdhsa_shared_vgpr_count 0
		.amdhsa_exception_fp_ieee_invalid_op 0
		.amdhsa_exception_fp_denorm_src 0
		.amdhsa_exception_fp_ieee_div_zero 0
		.amdhsa_exception_fp_ieee_overflow 0
		.amdhsa_exception_fp_ieee_underflow 0
		.amdhsa_exception_fp_ieee_inexact 0
		.amdhsa_exception_int_div_zero 0
	.end_amdhsa_kernel
	.section	.text._ZL33flash_attn_stream_k_fixup_uniformILi40ELi8ELi2EEvPfPK15HIP_vector_typeIfLj2EEiiiiiiS1_IjLj3EES5_S5_,"axG",@progbits,_ZL33flash_attn_stream_k_fixup_uniformILi40ELi8ELi2EEvPfPK15HIP_vector_typeIfLj2EEiiiiiiS1_IjLj3EES5_S5_,comdat
.Lfunc_end41:
	.size	_ZL33flash_attn_stream_k_fixup_uniformILi40ELi8ELi2EEvPfPK15HIP_vector_typeIfLj2EEiiiiiiS1_IjLj3EES5_S5_, .Lfunc_end41-_ZL33flash_attn_stream_k_fixup_uniformILi40ELi8ELi2EEvPfPK15HIP_vector_typeIfLj2EEiiiiiiS1_IjLj3EES5_S5_
                                        ; -- End function
	.section	.AMDGPU.csdata,"",@progbits
; Kernel info:
; codeLenInByte = 988
; NumSgprs: 22
; NumVgprs: 15
; ScratchSize: 0
; MemoryBound: 0
; FloatMode: 240
; IeeeMode: 1
; LDSByteSize: 0 bytes/workgroup (compile time only)
; SGPRBlocks: 2
; VGPRBlocks: 1
; NumSGPRsForWavesPerEU: 22
; NumVGPRsForWavesPerEU: 15
; Occupancy: 16
; WaveLimiterHint : 0
; COMPUTE_PGM_RSRC2:SCRATCH_EN: 0
; COMPUTE_PGM_RSRC2:USER_SGPR: 13
; COMPUTE_PGM_RSRC2:TRAP_HANDLER: 0
; COMPUTE_PGM_RSRC2:TGID_X_EN: 1
; COMPUTE_PGM_RSRC2:TGID_Y_EN: 1
; COMPUTE_PGM_RSRC2:TGID_Z_EN: 1
; COMPUTE_PGM_RSRC2:TIDIG_COMP_CNT: 0
	.section	.text._ZL33flash_attn_stream_k_fixup_generalILi40ELi8ELi2EEvPfPK15HIP_vector_typeIfLj2EEiiiiS1_IjLj3EES5_S5_S5_,"axG",@progbits,_ZL33flash_attn_stream_k_fixup_generalILi40ELi8ELi2EEvPfPK15HIP_vector_typeIfLj2EEiiiiS1_IjLj3EES5_S5_S5_,comdat
	.globl	_ZL33flash_attn_stream_k_fixup_generalILi40ELi8ELi2EEvPfPK15HIP_vector_typeIfLj2EEiiiiS1_IjLj3EES5_S5_S5_ ; -- Begin function _ZL33flash_attn_stream_k_fixup_generalILi40ELi8ELi2EEvPfPK15HIP_vector_typeIfLj2EEiiiiS1_IjLj3EES5_S5_S5_
	.p2align	8
	.type	_ZL33flash_attn_stream_k_fixup_generalILi40ELi8ELi2EEvPfPK15HIP_vector_typeIfLj2EEiiiiS1_IjLj3EES5_S5_S5_,@function
_ZL33flash_attn_stream_k_fixup_generalILi40ELi8ELi2EEvPfPK15HIP_vector_typeIfLj2EEiiiiS1_IjLj3EES5_S5_S5_: ; @_ZL33flash_attn_stream_k_fixup_generalILi40ELi8ELi2EEvPfPK15HIP_vector_typeIfLj2EEiiiiS1_IjLj3EES5_S5_S5_
; %bb.0:
	s_clause 0x1
	s_load_b128 s[4:7], s[0:1], 0x10
	s_load_b32 s20, s[0:1], 0x50
	s_mov_b32 s2, 0
	s_waitcnt lgkmcnt(0)
	s_mul_hi_i32 s3, s7, s13
	s_mul_i32 s12, s7, s13
	s_cmp_lg_u64 s[2:3], 0
	s_cbranch_scc0 .LBB42_21
; %bb.1:
	v_cvt_f32_ubyte0_e32 v1, 0
	v_cvt_f32_u32_e32 v2, s20
	s_sub_u32 s10, 0, s20
	s_subb_u32 s11, 0, 0
	s_delay_alu instid0(VALU_DEP_1) | instskip(NEXT) | instid1(VALU_DEP_1)
	v_fmamk_f32 v1, v1, 0x4f800000, v2
	v_rcp_f32_e32 v1, v1
	s_waitcnt_depctr 0xfff
	v_mul_f32_e32 v1, 0x5f7ffffc, v1
	s_delay_alu instid0(VALU_DEP_1) | instskip(NEXT) | instid1(VALU_DEP_1)
	v_mul_f32_e32 v2, 0x2f800000, v1
	v_trunc_f32_e32 v2, v2
	s_delay_alu instid0(VALU_DEP_1) | instskip(SKIP_1) | instid1(VALU_DEP_2)
	v_fmamk_f32 v1, v2, 0xcf800000, v1
	v_cvt_u32_f32_e32 v2, v2
	v_cvt_u32_f32_e32 v1, v1
	s_delay_alu instid0(VALU_DEP_2) | instskip(NEXT) | instid1(VALU_DEP_2)
	v_readfirstlane_b32 s8, v2
	v_readfirstlane_b32 s9, v1
	s_delay_alu instid0(VALU_DEP_2) | instskip(NEXT) | instid1(VALU_DEP_1)
	s_mul_i32 s16, s10, s8
	s_mul_hi_u32 s18, s10, s9
	s_mul_i32 s17, s11, s9
	s_add_i32 s16, s18, s16
	s_mul_i32 s19, s10, s9
	s_add_i32 s16, s16, s17
	s_mul_hi_u32 s18, s9, s19
	s_mul_hi_u32 s21, s8, s19
	s_mul_i32 s17, s8, s19
	s_mul_hi_u32 s19, s9, s16
	s_mul_i32 s9, s9, s16
	s_mul_hi_u32 s22, s8, s16
	s_add_u32 s9, s18, s9
	s_addc_u32 s18, 0, s19
	s_add_u32 s9, s9, s17
	s_mul_i32 s16, s8, s16
	s_addc_u32 s9, s18, s21
	s_addc_u32 s17, s22, 0
	s_add_u32 s9, s9, s16
	s_addc_u32 s16, 0, s17
	v_add_co_u32 v1, s9, v1, s9
	s_delay_alu instid0(VALU_DEP_1) | instskip(SKIP_1) | instid1(VALU_DEP_1)
	s_cmp_lg_u32 s9, 0
	s_addc_u32 s8, s8, s16
	v_readfirstlane_b32 s9, v1
	s_mul_i32 s16, s10, s8
	s_delay_alu instid0(VALU_DEP_1)
	s_mul_hi_u32 s17, s10, s9
	s_mul_i32 s11, s11, s9
	s_add_i32 s16, s17, s16
	s_mul_i32 s10, s10, s9
	s_add_i32 s16, s16, s11
	s_mul_hi_u32 s17, s8, s10
	s_mul_i32 s18, s8, s10
	s_mul_hi_u32 s10, s9, s10
	s_mul_hi_u32 s19, s9, s16
	s_mul_i32 s9, s9, s16
	s_mul_hi_u32 s11, s8, s16
	s_add_u32 s9, s10, s9
	s_addc_u32 s10, 0, s19
	s_add_u32 s9, s9, s18
	s_mul_i32 s16, s8, s16
	s_addc_u32 s9, s10, s17
	s_addc_u32 s10, s11, 0
	s_add_u32 s9, s9, s16
	s_addc_u32 s10, 0, s10
	v_add_co_u32 v1, s9, v1, s9
	s_delay_alu instid0(VALU_DEP_1) | instskip(SKIP_2) | instid1(SALU_CYCLE_1)
	s_cmp_lg_u32 s9, 0
	s_addc_u32 s16, s8, s10
	s_ashr_i32 s8, s3, 31
	s_add_u32 s10, s12, s8
	s_addc_u32 s11, s3, s8
	v_readfirstlane_b32 s3, v1
	s_mov_b32 s9, s8
	s_delay_alu instid0(SALU_CYCLE_1) | instskip(NEXT) | instid1(SALU_CYCLE_1)
	s_xor_b64 s[10:11], s[10:11], s[8:9]
	s_mul_i32 s18, s10, s16
	s_delay_alu instid0(VALU_DEP_1)
	s_mul_hi_u32 s19, s10, s3
	s_mul_hi_u32 s17, s10, s16
	;; [unrolled: 1-line block ×3, first 2 shown]
	s_mul_i32 s3, s11, s3
	s_add_u32 s18, s19, s18
	s_addc_u32 s17, 0, s17
	s_mul_hi_u32 s21, s11, s16
	s_add_u32 s3, s18, s3
	s_mul_i32 s16, s11, s16
	s_addc_u32 s3, s17, s22
	s_addc_u32 s17, s21, 0
	s_add_u32 s3, s3, s16
	s_addc_u32 s16, 0, s17
	s_mul_i32 s18, s20, s3
	s_add_u32 s17, s3, 1
	v_sub_co_u32 v1, s10, s10, s18
	s_mul_hi_u32 s18, s20, s3
	s_addc_u32 s19, s16, 0
	s_mul_i32 s21, s20, s16
	s_delay_alu instid0(VALU_DEP_1)
	v_sub_co_u32 v2, s22, v1, s20
	s_add_u32 s23, s3, 2
	s_addc_u32 s24, s16, 0
	s_add_i32 s18, s18, s21
	s_cmp_lg_u32 s10, 0
	v_readfirstlane_b32 s10, v2
	s_subb_u32 s11, s11, s18
	s_cmp_lg_u32 s22, 0
	s_subb_u32 s18, s11, 0
	s_delay_alu instid0(VALU_DEP_1) | instskip(SKIP_4) | instid1(SALU_CYCLE_1)
	s_cmp_ge_u32 s10, s20
	s_cselect_b32 s10, -1, 0
	s_cmp_eq_u32 s18, 0
	v_readfirstlane_b32 s18, v1
	s_cselect_b32 s10, s10, -1
	s_cmp_lg_u32 s10, 0
	s_cselect_b32 s10, s23, s17
	s_cselect_b32 s17, s24, s19
	s_cmp_ge_u32 s18, s20
	s_cselect_b32 s18, -1, 0
	s_cmp_eq_u32 s11, 0
	s_cselect_b32 s11, s18, -1
	s_delay_alu instid0(SALU_CYCLE_1) | instskip(SKIP_2) | instid1(SALU_CYCLE_1)
	s_cmp_lg_u32 s11, 0
	s_cselect_b32 s11, s17, s16
	s_cselect_b32 s10, s10, s3
	s_xor_b64 s[10:11], s[10:11], s[8:9]
	s_delay_alu instid0(SALU_CYCLE_1)
	s_sub_u32 s16, s10, s8
	s_load_b128 s[8:11], s[0:1], 0x44
	s_and_not1_b32 vcc_lo, exec_lo, s2
	s_cbranch_vccnz .LBB42_3
.LBB42_2:
	v_cvt_f32_u32_e32 v1, s20
	s_sub_i32 s3, 0, s20
	s_delay_alu instid0(VALU_DEP_1) | instskip(SKIP_2) | instid1(VALU_DEP_1)
	v_rcp_iflag_f32_e32 v1, v1
	s_waitcnt_depctr 0xfff
	v_mul_f32_e32 v1, 0x4f7ffffe, v1
	v_cvt_u32_f32_e32 v1, v1
	s_delay_alu instid0(VALU_DEP_1) | instskip(NEXT) | instid1(VALU_DEP_1)
	v_readfirstlane_b32 s2, v1
	s_mul_i32 s3, s3, s2
	s_delay_alu instid0(SALU_CYCLE_1) | instskip(NEXT) | instid1(SALU_CYCLE_1)
	s_mul_hi_u32 s3, s2, s3
	s_add_i32 s2, s2, s3
	s_delay_alu instid0(SALU_CYCLE_1) | instskip(NEXT) | instid1(SALU_CYCLE_1)
	s_mul_hi_u32 s2, s12, s2
	s_mul_i32 s3, s2, s20
	s_waitcnt lgkmcnt(0)
	s_add_i32 s11, s2, 1
	s_sub_i32 s3, s12, s3
	s_delay_alu instid0(SALU_CYCLE_1)
	s_sub_i32 s12, s3, s20
	s_cmp_ge_u32 s3, s20
	s_cselect_b32 s2, s11, s2
	s_cselect_b32 s3, s12, s3
	s_add_i32 s11, s2, 1
	s_cmp_ge_u32 s3, s20
	s_cselect_b32 s16, s11, s2
.LBB42_3:
	s_waitcnt lgkmcnt(0)
	s_add_i32 s11, s13, 1
	s_mov_b32 s2, 0
	s_mul_hi_i32 s3, s7, s11
	s_mul_i32 s11, s7, s11
	s_cmp_lg_u64 s[2:3], 0
	s_cbranch_scc0 .LBB42_22
; %bb.4:
	v_cvt_f32_ubyte0_e32 v1, 0
	v_cvt_f32_u32_e32 v2, s20
	s_sub_u32 s18, 0, s20
	s_subb_u32 s19, 0, 0
	s_delay_alu instid0(VALU_DEP_1) | instskip(NEXT) | instid1(VALU_DEP_1)
	v_fmamk_f32 v1, v1, 0x4f800000, v2
	v_rcp_f32_e32 v1, v1
	s_waitcnt_depctr 0xfff
	v_mul_f32_e32 v1, 0x5f7ffffc, v1
	s_delay_alu instid0(VALU_DEP_1) | instskip(NEXT) | instid1(VALU_DEP_1)
	v_mul_f32_e32 v2, 0x2f800000, v1
	v_trunc_f32_e32 v2, v2
	s_delay_alu instid0(VALU_DEP_1) | instskip(SKIP_1) | instid1(VALU_DEP_2)
	v_fmamk_f32 v1, v2, 0xcf800000, v1
	v_cvt_u32_f32_e32 v2, v2
	v_cvt_u32_f32_e32 v1, v1
	s_delay_alu instid0(VALU_DEP_2) | instskip(NEXT) | instid1(VALU_DEP_2)
	v_readfirstlane_b32 s12, v2
	v_readfirstlane_b32 s17, v1
	s_delay_alu instid0(VALU_DEP_2) | instskip(NEXT) | instid1(VALU_DEP_1)
	s_mul_i32 s21, s18, s12
	s_mul_hi_u32 s23, s18, s17
	s_mul_i32 s22, s19, s17
	s_add_i32 s21, s23, s21
	s_mul_i32 s24, s18, s17
	s_add_i32 s21, s21, s22
	s_mul_hi_u32 s23, s17, s24
	s_mul_hi_u32 s25, s12, s24
	s_mul_i32 s22, s12, s24
	s_mul_hi_u32 s24, s17, s21
	s_mul_i32 s17, s17, s21
	s_mul_hi_u32 s26, s12, s21
	s_add_u32 s17, s23, s17
	s_addc_u32 s23, 0, s24
	s_add_u32 s17, s17, s22
	s_mul_i32 s21, s12, s21
	s_addc_u32 s17, s23, s25
	s_addc_u32 s22, s26, 0
	s_add_u32 s17, s17, s21
	s_addc_u32 s21, 0, s22
	v_add_co_u32 v1, s17, v1, s17
	s_delay_alu instid0(VALU_DEP_1) | instskip(SKIP_1) | instid1(VALU_DEP_1)
	s_cmp_lg_u32 s17, 0
	s_addc_u32 s12, s12, s21
	v_readfirstlane_b32 s17, v1
	s_mul_i32 s21, s18, s12
	s_delay_alu instid0(VALU_DEP_1)
	s_mul_hi_u32 s22, s18, s17
	s_mul_i32 s19, s19, s17
	s_add_i32 s21, s22, s21
	s_mul_i32 s18, s18, s17
	s_add_i32 s21, s21, s19
	s_mul_hi_u32 s22, s12, s18
	s_mul_i32 s23, s12, s18
	s_mul_hi_u32 s18, s17, s18
	s_mul_hi_u32 s24, s17, s21
	s_mul_i32 s17, s17, s21
	s_mul_hi_u32 s19, s12, s21
	s_add_u32 s17, s18, s17
	s_addc_u32 s18, 0, s24
	s_add_u32 s17, s17, s23
	s_mul_i32 s21, s12, s21
	s_addc_u32 s17, s18, s22
	s_addc_u32 s18, s19, 0
	s_add_u32 s17, s17, s21
	s_addc_u32 s18, 0, s18
	v_add_co_u32 v1, s17, v1, s17
	s_delay_alu instid0(VALU_DEP_1) | instskip(SKIP_2) | instid1(SALU_CYCLE_1)
	s_cmp_lg_u32 s17, 0
	s_addc_u32 s12, s12, s18
	s_ashr_i32 s18, s3, 31
	s_add_u32 s22, s11, s18
	s_addc_u32 s23, s3, s18
	v_readfirstlane_b32 s3, v1
	s_mov_b32 s19, s18
	s_delay_alu instid0(SALU_CYCLE_1) | instskip(NEXT) | instid1(SALU_CYCLE_1)
	s_xor_b64 s[22:23], s[22:23], s[18:19]
	s_mul_i32 s21, s22, s12
	s_delay_alu instid0(VALU_DEP_1)
	s_mul_hi_u32 s24, s22, s3
	s_mul_hi_u32 s17, s22, s12
	s_mul_hi_u32 s26, s23, s3
	s_mul_i32 s3, s23, s3
	s_add_u32 s21, s24, s21
	s_addc_u32 s17, 0, s17
	s_mul_hi_u32 s25, s23, s12
	s_add_u32 s3, s21, s3
	s_mul_i32 s12, s23, s12
	s_addc_u32 s3, s17, s26
	s_addc_u32 s17, s25, 0
	s_add_u32 s3, s3, s12
	s_addc_u32 s12, 0, s17
	s_mul_i32 s21, s20, s3
	s_add_u32 s17, s3, 1
	v_sub_co_u32 v1, s21, s22, s21
	s_mul_hi_u32 s22, s20, s3
	s_addc_u32 s24, s12, 0
	s_mul_i32 s25, s20, s12
	s_delay_alu instid0(VALU_DEP_1)
	v_sub_co_u32 v2, s26, v1, s20
	s_add_u32 s27, s3, 2
	s_addc_u32 s28, s12, 0
	s_add_i32 s22, s22, s25
	s_cmp_lg_u32 s21, 0
	v_readfirstlane_b32 s21, v2
	s_subb_u32 s22, s23, s22
	s_cmp_lg_u32 s26, 0
	s_subb_u32 s23, s22, 0
	s_delay_alu instid0(VALU_DEP_1) | instskip(SKIP_4) | instid1(SALU_CYCLE_1)
	s_cmp_ge_u32 s21, s20
	s_cselect_b32 s21, -1, 0
	s_cmp_eq_u32 s23, 0
	v_readfirstlane_b32 s23, v1
	s_cselect_b32 s21, s21, -1
	s_cmp_lg_u32 s21, 0
	s_cselect_b32 s17, s27, s17
	s_cselect_b32 s21, s28, s24
	s_cmp_ge_u32 s23, s20
	s_cselect_b32 s23, -1, 0
	s_cmp_eq_u32 s22, 0
	s_cselect_b32 s22, s23, -1
	s_delay_alu instid0(SALU_CYCLE_1) | instskip(SKIP_2) | instid1(SALU_CYCLE_1)
	s_cmp_lg_u32 s22, 0
	s_cselect_b32 s23, s21, s12
	s_cselect_b32 s22, s17, s3
	s_xor_b64 s[22:23], s[22:23], s[18:19]
	s_delay_alu instid0(SALU_CYCLE_1)
	s_sub_u32 s18, s22, s18
	s_and_not1_b32 vcc_lo, exec_lo, s2
	s_cbranch_vccnz .LBB42_6
.LBB42_5:
	v_cvt_f32_u32_e32 v1, s20
	s_sub_i32 s3, 0, s20
	s_delay_alu instid0(VALU_DEP_1) | instskip(SKIP_2) | instid1(VALU_DEP_1)
	v_rcp_iflag_f32_e32 v1, v1
	s_waitcnt_depctr 0xfff
	v_mul_f32_e32 v1, 0x4f7ffffe, v1
	v_cvt_u32_f32_e32 v1, v1
	s_delay_alu instid0(VALU_DEP_1) | instskip(NEXT) | instid1(VALU_DEP_1)
	v_readfirstlane_b32 s2, v1
	s_mul_i32 s3, s3, s2
	s_delay_alu instid0(SALU_CYCLE_1) | instskip(NEXT) | instid1(SALU_CYCLE_1)
	s_mul_hi_u32 s3, s2, s3
	s_add_i32 s2, s2, s3
	s_delay_alu instid0(SALU_CYCLE_1) | instskip(NEXT) | instid1(SALU_CYCLE_1)
	s_mul_hi_u32 s2, s11, s2
	s_mul_i32 s3, s2, s20
	s_delay_alu instid0(SALU_CYCLE_1)
	s_sub_i32 s3, s11, s3
	s_add_i32 s11, s2, 1
	s_sub_i32 s12, s3, s20
	s_cmp_ge_u32 s3, s20
	s_cselect_b32 s2, s11, s2
	s_cselect_b32 s3, s12, s3
	s_add_i32 s11, s2, 1
	s_cmp_ge_u32 s3, s20
	s_cselect_b32 s18, s11, s2
.LBB42_6:
	s_delay_alu instid0(SALU_CYCLE_1) | instskip(SKIP_3) | instid1(SALU_CYCLE_1)
	s_cmp_eq_u32 s16, s18
	s_mul_hi_u32 s2, s16, s8
	s_cselect_b32 s3, -1, 0
	s_add_i32 s2, s2, s16
	s_lshr_b32 s11, s2, s9
	s_delay_alu instid0(SALU_CYCLE_1) | instskip(NEXT) | instid1(SALU_CYCLE_1)
	s_mul_i32 s2, s11, s10
	s_cmp_eq_u32 s2, s16
	s_mul_hi_u32 s2, s18, s8
	s_cselect_b32 s12, -1, 0
	s_add_i32 s2, s2, s18
	s_delay_alu instid0(SALU_CYCLE_1) | instskip(NEXT) | instid1(SALU_CYCLE_1)
	s_lshr_b32 s2, s2, s9
	s_cmp_eq_u32 s11, s2
	s_mul_i32 s2, s2, s10
	s_cselect_b32 s17, -1, 0
	s_cmp_lg_u32 s2, s18
	s_cselect_b32 s2, -1, 0
	s_or_b32 s3, s3, s12
	s_and_b32 s2, s17, s2
	s_delay_alu instid0(SALU_CYCLE_1) | instskip(NEXT) | instid1(SALU_CYCLE_1)
	s_or_b32 s2, s3, s2
	s_and_b32 vcc_lo, exec_lo, s2
	s_cbranch_vccnz .LBB42_24
; %bb.7:
	s_load_b256 s[24:31], s[0:1], 0x20
	s_waitcnt lgkmcnt(0)
	s_mul_hi_u32 s2, s16, s24
	s_delay_alu instid0(SALU_CYCLE_1) | instskip(NEXT) | instid1(SALU_CYCLE_1)
	s_add_i32 s2, s2, s16
	s_lshr_b32 s17, s2, s25
	s_load_b32 s2, s[0:1], 0x40
	s_mul_i32 s3, s17, s26
	s_delay_alu instid0(SALU_CYCLE_1) | instskip(NEXT) | instid1(SALU_CYCLE_1)
	s_sub_i32 s3, s16, s3
	s_mul_hi_u32 s12, s3, s27
	s_delay_alu instid0(SALU_CYCLE_1) | instskip(NEXT) | instid1(SALU_CYCLE_1)
	s_add_i32 s12, s3, s12
	s_lshr_b32 s19, s12, s28
	s_delay_alu instid0(SALU_CYCLE_1) | instskip(NEXT) | instid1(SALU_CYCLE_1)
	s_mul_i32 s12, s19, s29
	s_sub_i32 s3, s3, s12
	s_delay_alu instid0(SALU_CYCLE_1) | instskip(NEXT) | instid1(SALU_CYCLE_1)
	s_mul_hi_u32 s12, s3, s30
	s_add_i32 s12, s3, s12
	s_delay_alu instid0(SALU_CYCLE_1)
	s_lshr_b32 s12, s12, s31
	s_waitcnt lgkmcnt(0)
	s_mul_i32 s2, s12, s2
	s_lshl_b32 s21, s12, 1
	s_sub_i32 s2, s3, s2
	s_mov_b32 s12, 0
	s_mul_hi_u32 s3, s2, s8
	s_delay_alu instid0(SALU_CYCLE_1) | instskip(NEXT) | instid1(SALU_CYCLE_1)
	s_add_i32 s2, s2, s3
	s_lshr_b32 s18, s2, s9
	s_delay_alu instid0(SALU_CYCLE_1) | instskip(NEXT) | instid1(SALU_CYCLE_1)
	s_lshl_b32 s2, s18, 3
	s_add_i32 s2, s2, s14
	s_delay_alu instid0(SALU_CYCLE_1) | instskip(SKIP_2) | instid1(SALU_CYCLE_1)
	s_cmp_lt_i32 s2, s4
	s_cselect_b32 s2, -1, 0
	s_add_i32 s21, s21, s15
	s_cmp_lt_i32 s21, s6
	s_cselect_b32 s3, -1, 0
	s_delay_alu instid0(SALU_CYCLE_1) | instskip(NEXT) | instid1(SALU_CYCLE_1)
	s_and_b32 s2, s2, s3
	s_and_not1_b32 vcc_lo, exec_lo, s2
	s_cbranch_vccnz .LBB42_24
; %bb.8:
	s_load_b128 s[0:3], s[0:1], 0x0
	s_lshl_b32 s22, s20, 6
	s_mov_b32 s23, s12
	s_lshl_b32 s24, s14, 1
	s_lshl_b64 s[22:23], s[22:23], 2
	s_mul_i32 s19, s19, s6
	s_mul_i32 s4, s17, s4
	s_add_i32 s6, s24, s15
	v_cvt_f32_ubyte0_e32 v3, 0
	v_cvt_f32_u32_e32 v4, s20
	s_waitcnt lgkmcnt(0)
	s_add_u32 s15, s2, s22
	s_addc_u32 s17, s3, s23
	s_add_i32 s4, s4, s14
	s_add_i32 s14, s21, s19
	s_mul_i32 s4, s4, s5
	s_mul_i32 s5, s5, s18
	s_add_i32 s4, s14, s4
	s_mulk_i32 s5, 0x140
	s_mul_i32 s4, s4, 40
	s_delay_alu instid0(SALU_CYCLE_1) | instskip(NEXT) | instid1(VALU_DEP_1)
	v_add3_u32 v1, s5, s4, v0
	v_ashrrev_i32_e32 v2, 31, v1
	s_delay_alu instid0(VALU_DEP_1) | instskip(NEXT) | instid1(VALU_DEP_1)
	v_lshlrev_b64 v[1:2], 2, v[1:2]
	v_add_co_u32 v1, vcc_lo, s0, v1
	s_delay_alu instid0(VALU_DEP_2) | instskip(SKIP_1) | instid1(SALU_CYCLE_1)
	v_add_co_ci_u32_e32 v2, vcc_lo, s1, v2, vcc_lo
	s_lshl_b32 s0, s13, 4
	s_add_i32 s0, s6, s0
	global_load_b32 v5, v[1:2], off
	s_ashr_i32 s1, s0, 31
	s_delay_alu instid0(SALU_CYCLE_1) | instskip(NEXT) | instid1(SALU_CYCLE_1)
	s_lshl_b64 s[0:1], s[0:1], 3
	s_add_u32 s0, s2, s0
	s_addc_u32 s1, s3, s1
	s_add_i32 s18, s13, -1
	s_load_b64 s[0:1], s[0:1], 0x0
	v_fmac_f32_e32 v4, 0x4f800000, v3
	s_sub_i32 s14, 0, s20
	s_delay_alu instid0(VALU_DEP_1)
	v_rcp_f32_e32 v3, v4
	s_waitcnt_depctr 0xfff
	v_mul_f32_e32 v6, 0x5f7ffffc, v3
	v_cvt_f32_u32_e32 v3, s20
	s_waitcnt lgkmcnt(0)
	v_mov_b32_e32 v8, s0
	s_delay_alu instid0(VALU_DEP_3) | instskip(NEXT) | instid1(VALU_DEP_3)
	v_mul_f32_e32 v4, 0x2f800000, v6
	v_rcp_iflag_f32_e32 v7, v3
	s_delay_alu instid0(VALU_DEP_1) | instskip(SKIP_1) | instid1(VALU_DEP_2)
	v_trunc_f32_e32 v9, v4
	v_mad_u64_u32 v[3:4], null, s6, 40, v[0:1]
	v_fmac_f32_e32 v6, 0xcf800000, v9
	s_waitcnt_depctr 0xfff
	v_dual_mul_f32 v10, 0x4f7ffffe, v7 :: v_dual_mov_b32 v7, s1
	v_cvt_u32_f32_e32 v4, v9
	v_cvt_u32_f32_e32 v0, v6
	s_delay_alu instid0(VALU_DEP_3)
	v_cvt_u32_f32_e32 v6, v10
.LBB42_9:                               ; =>This Inner Loop Header: Depth=1
	s_mul_hi_i32 s13, s18, s7
	s_mul_i32 s4, s18, s7
	s_cmp_lg_u64 s[12:13], 0
	s_mov_b32 s5, -1
                                        ; implicit-def: $sgpr0_sgpr1
	s_cbranch_scc0 .LBB42_11
; %bb.10:                               ;   in Loop: Header=BB42_9 Depth=1
	v_readfirstlane_b32 s0, v0
	v_readfirstlane_b32 s1, v4
	s_sub_u32 s5, 0, s20
	s_subb_u32 s19, 0, 0
	s_delay_alu instid0(VALU_DEP_2) | instskip(NEXT) | instid1(VALU_DEP_1)
	s_mul_hi_u32 s21, s5, s0
	s_mul_i32 s22, s5, s1
	s_mul_i32 s23, s19, s0
	s_add_i32 s21, s21, s22
	s_mul_i32 s22, s5, s0
	s_add_i32 s21, s21, s23
	s_mul_hi_u32 s23, s0, s22
	s_mul_i32 s24, s0, s21
	s_mul_hi_u32 s0, s0, s21
	s_add_u32 s23, s23, s24
	s_mul_i32 s25, s1, s22
	s_addc_u32 s0, 0, s0
	s_mul_hi_u32 s22, s1, s22
	s_mul_hi_u32 s24, s1, s21
	s_add_u32 s23, s23, s25
	s_addc_u32 s0, s0, s22
	s_mul_i32 s21, s1, s21
	s_addc_u32 s22, s24, 0
	s_add_u32 s0, s0, s21
	s_addc_u32 s21, 0, s22
	v_add_co_u32 v9, s0, v0, s0
	s_delay_alu instid0(VALU_DEP_1) | instskip(SKIP_1) | instid1(VALU_DEP_1)
	s_cmp_lg_u32 s0, 0
	s_addc_u32 s1, s1, s21
	v_readfirstlane_b32 s0, v9
	s_mul_i32 s21, s5, s1
	s_delay_alu instid0(VALU_DEP_1)
	s_mul_hi_u32 s22, s5, s0
	s_mul_i32 s19, s19, s0
	s_add_i32 s21, s22, s21
	s_mul_i32 s5, s5, s0
	s_add_i32 s21, s21, s19
	s_mul_hi_u32 s19, s1, s5
	s_mul_i32 s23, s1, s5
	s_mul_i32 s24, s0, s21
	s_mul_hi_u32 s5, s0, s5
	s_mul_hi_u32 s0, s0, s21
	s_add_u32 s5, s5, s24
	s_addc_u32 s0, 0, s0
	s_mul_hi_u32 s22, s1, s21
	s_add_u32 s5, s5, s23
	s_addc_u32 s0, s0, s19
	s_mul_i32 s5, s1, s21
	s_addc_u32 s19, s22, 0
	s_add_u32 s0, s0, s5
	s_addc_u32 s5, 0, s19
	v_add_co_u32 v9, s0, v9, s0
	s_delay_alu instid0(VALU_DEP_1) | instskip(SKIP_2) | instid1(SALU_CYCLE_1)
	s_cmp_lg_u32 s0, 0
	s_addc_u32 s5, s1, s5
	s_ashr_i32 s0, s13, 31
	s_add_u32 s22, s4, s0
	s_addc_u32 s23, s13, s0
	v_readfirstlane_b32 s13, v9
	s_mov_b32 s1, s0
	s_delay_alu instid0(SALU_CYCLE_1) | instskip(NEXT) | instid1(SALU_CYCLE_1)
	s_xor_b64 s[22:23], s[22:23], s[0:1]
	s_mul_i32 s19, s22, s5
	s_delay_alu instid0(VALU_DEP_1)
	s_mul_hi_u32 s21, s22, s13
	s_mul_hi_u32 s24, s22, s5
	s_add_u32 s19, s21, s19
	s_mul_i32 s25, s23, s13
	s_addc_u32 s21, 0, s24
	s_mul_hi_u32 s13, s23, s13
	s_mul_hi_u32 s24, s23, s5
	s_add_u32 s19, s19, s25
	s_addc_u32 s13, s21, s13
	s_mul_i32 s5, s23, s5
	s_addc_u32 s19, s24, 0
	s_add_u32 s5, s13, s5
	s_addc_u32 s13, 0, s19
	s_mul_i32 s21, s20, s5
	s_add_u32 s19, s5, 1
	v_sub_co_u32 v9, s21, s22, s21
	s_addc_u32 s22, s13, 0
	s_mul_i32 s25, s20, s13
	s_mul_hi_u32 s27, s20, s5
	s_delay_alu instid0(VALU_DEP_1)
	v_sub_co_u32 v10, s26, v9, s20
	s_add_u32 s24, s5, 2
	s_addc_u32 s28, s13, 0
	s_add_i32 s27, s27, s25
	s_cmp_lg_u32 s21, 0
	v_readfirstlane_b32 s21, v10
	s_subb_u32 s23, s23, s27
	s_cmp_lg_u32 s26, 0
	s_subb_u32 s25, s23, 0
	s_delay_alu instid0(VALU_DEP_1) | instskip(SKIP_4) | instid1(SALU_CYCLE_1)
	s_cmp_ge_u32 s21, s20
	s_cselect_b32 s21, -1, 0
	s_cmp_eq_u32 s25, 0
	v_readfirstlane_b32 s25, v9
	s_cselect_b32 s21, s21, -1
	s_cmp_lg_u32 s21, 0
	s_cselect_b32 s19, s24, s19
	s_cselect_b32 s21, s28, s22
	s_cmp_ge_u32 s25, s20
	s_cselect_b32 s22, -1, 0
	s_cmp_eq_u32 s23, 0
	s_cselect_b32 s22, s22, -1
	s_delay_alu instid0(SALU_CYCLE_1) | instskip(SKIP_4) | instid1(SALU_CYCLE_1)
	s_cmp_lg_u32 s22, 0
	s_cselect_b32 s23, s21, s13
	s_cselect_b32 s22, s19, s5
	s_mov_b32 s5, 0
	s_xor_b64 s[22:23], s[22:23], s[0:1]
	s_sub_u32 s0, s22, s0
.LBB42_11:                              ;   in Loop: Header=BB42_9 Depth=1
	s_and_not1_b32 vcc_lo, exec_lo, s5
	s_cbranch_vccnz .LBB42_13
; %bb.12:                               ;   in Loop: Header=BB42_9 Depth=1
	v_readfirstlane_b32 s0, v6
	s_delay_alu instid0(VALU_DEP_1) | instskip(NEXT) | instid1(SALU_CYCLE_1)
	s_mul_i32 s1, s14, s0
	s_mul_hi_u32 s1, s0, s1
	s_delay_alu instid0(SALU_CYCLE_1) | instskip(NEXT) | instid1(SALU_CYCLE_1)
	s_add_i32 s0, s0, s1
	s_mul_hi_u32 s0, s4, s0
	s_delay_alu instid0(SALU_CYCLE_1) | instskip(NEXT) | instid1(SALU_CYCLE_1)
	s_mul_i32 s1, s0, s20
	s_sub_i32 s1, s4, s1
	s_add_i32 s4, s0, 1
	s_sub_i32 s5, s1, s20
	s_cmp_ge_u32 s1, s20
	s_cselect_b32 s0, s4, s0
	s_cselect_b32 s1, s5, s1
	s_add_i32 s4, s0, 1
	s_cmp_ge_u32 s1, s20
	s_cselect_b32 s0, s4, s0
.LBB42_13:                              ;   in Loop: Header=BB42_9 Depth=1
	s_delay_alu instid0(SALU_CYCLE_1)
	s_cmp_lg_u32 s16, s0
	s_cbranch_scc0 .LBB42_17
; %bb.14:                               ;   in Loop: Header=BB42_9 Depth=1
	s_add_i32 s1, s18, s20
	s_mov_b32 s5, s12
	s_lshl_b32 s1, s1, 4
	s_mov_b32 s19, s16
	s_add_i32 s4, s1, s6
	s_mul_hi_u32 s1, s0, s8
	s_lshl_b64 s[4:5], s[4:5], 3
	s_delay_alu instid0(SALU_CYCLE_1) | instskip(SKIP_2) | instid1(SALU_CYCLE_1)
	s_add_u32 s4, s2, s4
	s_addc_u32 s5, s3, s5
	s_add_i32 s1, s1, s0
	s_lshr_b32 s1, s1, s9
	s_delay_alu instid0(SALU_CYCLE_1) | instskip(NEXT) | instid1(SALU_CYCLE_1)
	s_mul_i32 s13, s1, s10
	s_cmp_eq_u32 s13, s0
	s_cselect_b32 s13, -1, 0
	s_cmp_lt_u32 s1, s11
	s_cselect_b32 s1, -1, 0
	s_delay_alu instid0(SALU_CYCLE_1)
	s_or_b32 s1, s1, s13
	s_mov_b32 s13, -1
	s_and_b32 vcc_lo, exec_lo, s1
	s_mov_b32 s1, s18
	s_cbranch_vccnz .LBB42_16
; %bb.15:                               ;   in Loop: Header=BB42_9 Depth=1
	s_add_i32 s1, s18, -1
	s_mov_b32 s13, 0
	s_mov_b32 s19, s0
.LBB42_16:                              ;   in Loop: Header=BB42_9 Depth=1
	v_mad_u64_u32 v[9:10], null, 0x280, s18, v[3:4]
	s_load_b64 s[4:5], s[4:5], 0x0
	s_delay_alu instid0(VALU_DEP_1) | instskip(NEXT) | instid1(VALU_DEP_1)
	v_ashrrev_i32_e32 v10, 31, v9
	v_lshlrev_b64 v[9:10], 2, v[9:10]
	s_delay_alu instid0(VALU_DEP_1) | instskip(NEXT) | instid1(VALU_DEP_2)
	v_add_co_u32 v9, vcc_lo, s15, v9
	v_add_co_ci_u32_e32 v10, vcc_lo, s17, v10, vcc_lo
	s_waitcnt lgkmcnt(0)
	v_max_f32_e64 v11, s4, s4
	global_load_b32 v10, v[9:10], off
	v_max_f32_e32 v9, v8, v8
	s_delay_alu instid0(VALU_DEP_1) | instskip(NEXT) | instid1(VALU_DEP_1)
	v_max_f32_e32 v9, v9, v11
	v_sub_f32_e32 v12, v8, v9
	s_delay_alu instid0(VALU_DEP_1) | instskip(NEXT) | instid1(VALU_DEP_1)
	v_dual_mul_f32 v14, 0x3fb8aa3b, v12 :: v_dual_sub_f32 v11, s4, v9
	v_rndne_f32_e32 v18, v14
	s_delay_alu instid0(VALU_DEP_2) | instskip(SKIP_2) | instid1(VALU_DEP_4)
	v_mul_f32_e32 v13, 0x3fb8aa3b, v11
	v_fma_f32 v17, 0x3fb8aa3b, v12, -v14
	v_cmp_ngt_f32_e32 vcc_lo, 0xc2ce8ed0, v11
	v_sub_f32_e32 v14, v14, v18
	s_delay_alu instid0(VALU_DEP_4) | instskip(SKIP_2) | instid1(VALU_DEP_3)
	v_fma_f32 v15, 0x3fb8aa3b, v11, -v13
	v_rndne_f32_e32 v16, v13
	v_fmac_f32_e32 v17, 0x32a5705f, v12
	v_fmac_f32_e32 v15, 0x32a5705f, v11
	s_delay_alu instid0(VALU_DEP_2) | instskip(NEXT) | instid1(VALU_DEP_1)
	v_dual_sub_f32 v13, v13, v16 :: v_dual_add_f32 v14, v14, v17
	v_add_f32_e32 v13, v13, v15
	s_delay_alu instid0(VALU_DEP_2) | instskip(SKIP_2) | instid1(VALU_DEP_3)
	v_exp_f32_e32 v14, v14
	v_cvt_i32_f32_e32 v15, v16
	v_cvt_i32_f32_e32 v16, v18
	v_exp_f32_e32 v13, v13
	s_waitcnt_depctr 0xfff
	v_ldexp_f32 v14, v14, v16
	v_ldexp_f32 v13, v13, v15
	s_delay_alu instid0(VALU_DEP_1) | instskip(SKIP_1) | instid1(VALU_DEP_4)
	v_cndmask_b32_e32 v13, 0, v13, vcc_lo
	v_cmp_ngt_f32_e32 vcc_lo, 0xc2ce8ed0, v12
	v_cndmask_b32_e32 v14, 0, v14, vcc_lo
	v_cmp_nlt_f32_e32 vcc_lo, 0x42b17218, v11
	s_delay_alu instid0(VALU_DEP_4) | instskip(SKIP_1) | instid1(VALU_DEP_4)
	v_cndmask_b32_e32 v13, 0x7f800000, v13, vcc_lo
	v_cmp_nlt_f32_e32 vcc_lo, 0x42b17218, v12
	v_cndmask_b32_e32 v14, 0x7f800000, v14, vcc_lo
	v_cmp_le_f32_e32 vcc_lo, 0xc1a00000, v11
	s_delay_alu instid0(VALU_DEP_4) | instskip(SKIP_1) | instid1(VALU_DEP_4)
	v_cndmask_b32_e32 v11, 0, v13, vcc_lo
	v_cmp_le_f32_e32 vcc_lo, 0xc1a00000, v12
	v_cndmask_b32_e32 v12, 0, v14, vcc_lo
	s_waitcnt vmcnt(0)
	s_delay_alu instid0(VALU_DEP_3) | instskip(NEXT) | instid1(VALU_DEP_1)
	v_mul_f32_e32 v10, v10, v11
	v_dual_mul_f32 v11, s5, v11 :: v_dual_fmac_f32 v10, v5, v12
	s_delay_alu instid0(VALU_DEP_1)
	v_fmac_f32_e32 v11, v7, v12
	s_cbranch_execz .LBB42_18
	s_branch .LBB42_19
.LBB42_17:                              ;   in Loop: Header=BB42_9 Depth=1
                                        ; implicit-def: $sgpr13
                                        ; implicit-def: $vgpr10
                                        ; implicit-def: $vgpr9
                                        ; implicit-def: $vgpr11
                                        ; implicit-def: $sgpr1
                                        ; implicit-def: $sgpr19
.LBB42_18:                              ;   in Loop: Header=BB42_9 Depth=1
	s_waitcnt vmcnt(0)
	v_dual_mov_b32 v11, v7 :: v_dual_mov_b32 v10, v5
	v_mov_b32_e32 v9, v8
	s_add_i32 s1, s18, -1
	s_mov_b32 s13, 0
	s_mov_b32 s19, s16
.LBB42_19:                              ;   in Loop: Header=BB42_9 Depth=1
	s_and_not1_b32 vcc_lo, exec_lo, s13
	s_cbranch_vccz .LBB42_23
; %bb.20:                               ;   in Loop: Header=BB42_9 Depth=1
	v_dual_mov_b32 v7, v11 :: v_dual_mov_b32 v8, v9
	s_waitcnt vmcnt(0)
	v_mov_b32_e32 v5, v10
	s_mov_b32 s16, s19
	s_mov_b32 s18, s1
	s_branch .LBB42_9
.LBB42_21:
                                        ; implicit-def: $sgpr16_sgpr17
	s_load_b128 s[8:11], s[0:1], 0x44
	s_branch .LBB42_2
.LBB42_22:
                                        ; implicit-def: $sgpr18_sgpr19
	s_branch .LBB42_5
.LBB42_23:
	v_div_scale_f32 v0, null, v11, v11, v10
	s_delay_alu instid0(VALU_DEP_1) | instskip(SKIP_2) | instid1(VALU_DEP_1)
	v_rcp_f32_e32 v3, v0
	s_waitcnt_depctr 0xfff
	v_fma_f32 v4, -v0, v3, 1.0
	v_fmac_f32_e32 v3, v4, v3
	v_div_scale_f32 v4, vcc_lo, v10, v11, v10
	s_waitcnt vmcnt(0)
	s_delay_alu instid0(VALU_DEP_1) | instskip(NEXT) | instid1(VALU_DEP_1)
	v_mul_f32_e32 v5, v4, v3
	v_fma_f32 v6, -v0, v5, v4
	s_delay_alu instid0(VALU_DEP_1) | instskip(NEXT) | instid1(VALU_DEP_1)
	v_fmac_f32_e32 v5, v6, v3
	v_fma_f32 v0, -v0, v5, v4
	s_delay_alu instid0(VALU_DEP_1) | instskip(NEXT) | instid1(VALU_DEP_1)
	v_div_fmas_f32 v0, v0, v3, v5
	v_div_fixup_f32 v0, v0, v11, v10
	global_store_b32 v[1:2], v0, off
.LBB42_24:
	s_nop 0
	s_sendmsg sendmsg(MSG_DEALLOC_VGPRS)
	s_endpgm
	.section	.rodata,"a",@progbits
	.p2align	6, 0x0
	.amdhsa_kernel _ZL33flash_attn_stream_k_fixup_generalILi40ELi8ELi2EEvPfPK15HIP_vector_typeIfLj2EEiiiiS1_IjLj3EES5_S5_S5_
		.amdhsa_group_segment_fixed_size 0
		.amdhsa_private_segment_fixed_size 0
		.amdhsa_kernarg_size 336
		.amdhsa_user_sgpr_count 13
		.amdhsa_user_sgpr_dispatch_ptr 0
		.amdhsa_user_sgpr_queue_ptr 0
		.amdhsa_user_sgpr_kernarg_segment_ptr 1
		.amdhsa_user_sgpr_dispatch_id 0
		.amdhsa_user_sgpr_private_segment_size 0
		.amdhsa_wavefront_size32 1
		.amdhsa_uses_dynamic_stack 0
		.amdhsa_enable_private_segment 0
		.amdhsa_system_sgpr_workgroup_id_x 1
		.amdhsa_system_sgpr_workgroup_id_y 1
		.amdhsa_system_sgpr_workgroup_id_z 1
		.amdhsa_system_sgpr_workgroup_info 0
		.amdhsa_system_vgpr_workitem_id 0
		.amdhsa_next_free_vgpr 19
		.amdhsa_next_free_sgpr 32
		.amdhsa_reserve_vcc 1
		.amdhsa_float_round_mode_32 0
		.amdhsa_float_round_mode_16_64 0
		.amdhsa_float_denorm_mode_32 3
		.amdhsa_float_denorm_mode_16_64 3
		.amdhsa_dx10_clamp 1
		.amdhsa_ieee_mode 1
		.amdhsa_fp16_overflow 0
		.amdhsa_workgroup_processor_mode 1
		.amdhsa_memory_ordered 1
		.amdhsa_forward_progress 0
		.amdhsa_shared_vgpr_count 0
		.amdhsa_exception_fp_ieee_invalid_op 0
		.amdhsa_exception_fp_denorm_src 0
		.amdhsa_exception_fp_ieee_div_zero 0
		.amdhsa_exception_fp_ieee_overflow 0
		.amdhsa_exception_fp_ieee_underflow 0
		.amdhsa_exception_fp_ieee_inexact 0
		.amdhsa_exception_int_div_zero 0
	.end_amdhsa_kernel
	.section	.text._ZL33flash_attn_stream_k_fixup_generalILi40ELi8ELi2EEvPfPK15HIP_vector_typeIfLj2EEiiiiS1_IjLj3EES5_S5_S5_,"axG",@progbits,_ZL33flash_attn_stream_k_fixup_generalILi40ELi8ELi2EEvPfPK15HIP_vector_typeIfLj2EEiiiiS1_IjLj3EES5_S5_S5_,comdat
.Lfunc_end42:
	.size	_ZL33flash_attn_stream_k_fixup_generalILi40ELi8ELi2EEvPfPK15HIP_vector_typeIfLj2EEiiiiS1_IjLj3EES5_S5_S5_, .Lfunc_end42-_ZL33flash_attn_stream_k_fixup_generalILi40ELi8ELi2EEvPfPK15HIP_vector_typeIfLj2EEiiiiS1_IjLj3EES5_S5_S5_
                                        ; -- End function
	.section	.AMDGPU.csdata,"",@progbits
; Kernel info:
; codeLenInByte = 3220
; NumSgprs: 34
; NumVgprs: 19
; ScratchSize: 0
; MemoryBound: 0
; FloatMode: 240
; IeeeMode: 1
; LDSByteSize: 0 bytes/workgroup (compile time only)
; SGPRBlocks: 4
; VGPRBlocks: 2
; NumSGPRsForWavesPerEU: 34
; NumVGPRsForWavesPerEU: 19
; Occupancy: 16
; WaveLimiterHint : 0
; COMPUTE_PGM_RSRC2:SCRATCH_EN: 0
; COMPUTE_PGM_RSRC2:USER_SGPR: 13
; COMPUTE_PGM_RSRC2:TRAP_HANDLER: 0
; COMPUTE_PGM_RSRC2:TGID_X_EN: 1
; COMPUTE_PGM_RSRC2:TGID_Y_EN: 1
; COMPUTE_PGM_RSRC2:TGID_Z_EN: 1
; COMPUTE_PGM_RSRC2:TIDIG_COMP_CNT: 0
	.section	.text._ZL15flash_attn_tileILi40ELi40ELi4ELi2ELb0EEvPKcS1_S1_S1_S1_PKiPfP15HIP_vector_typeIfLj2EEffffjfiS5_IjLj3EEiiiiiiiiiiiliiliiiiil,"axG",@progbits,_ZL15flash_attn_tileILi40ELi40ELi4ELi2ELb0EEvPKcS1_S1_S1_S1_PKiPfP15HIP_vector_typeIfLj2EEffffjfiS5_IjLj3EEiiiiiiiiiiiliiliiiiil,comdat
	.globl	_ZL15flash_attn_tileILi40ELi40ELi4ELi2ELb0EEvPKcS1_S1_S1_S1_PKiPfP15HIP_vector_typeIfLj2EEffffjfiS5_IjLj3EEiiiiiiiiiiiliiliiiiil ; -- Begin function _ZL15flash_attn_tileILi40ELi40ELi4ELi2ELb0EEvPKcS1_S1_S1_S1_PKiPfP15HIP_vector_typeIfLj2EEffffjfiS5_IjLj3EEiiiiiiiiiiiliiliiiiil
	.p2align	8
	.type	_ZL15flash_attn_tileILi40ELi40ELi4ELi2ELb0EEvPKcS1_S1_S1_S1_PKiPfP15HIP_vector_typeIfLj2EEffffjfiS5_IjLj3EEiiiiiiiiiiiliiliiiiil,@function
_ZL15flash_attn_tileILi40ELi40ELi4ELi2ELb0EEvPKcS1_S1_S1_S1_PKiPfP15HIP_vector_typeIfLj2EEffffjfiS5_IjLj3EEiiiiiiiiiiiliiliiiiil: ; @_ZL15flash_attn_tileILi40ELi40ELi4ELi2ELb0EEvPKcS1_S1_S1_S1_PKiPfP15HIP_vector_typeIfLj2EEffffjfiS5_IjLj3EEiiiiiiiiiiiliiliiiiil
; %bb.0:
	s_clause 0x1
	s_load_b128 s[4:7], s[0:1], 0x5c
	s_load_b64 s[34:35], s[0:1], 0x80
	s_mov_b64 s[36:37], 0
	s_waitcnt lgkmcnt(0)
	s_lshr_b32 s2, s7, 31
	s_delay_alu instid0(SALU_CYCLE_1) | instskip(NEXT) | instid1(SALU_CYCLE_1)
	s_add_i32 s2, s7, s2
	s_ashr_i32 s2, s2, 1
	s_delay_alu instid0(SALU_CYCLE_1) | instskip(SKIP_1) | instid1(VALU_DEP_1)
	v_cvt_f32_u32_e32 v1, s2
	s_sub_i32 s8, 0, s2
	v_rcp_iflag_f32_e32 v1, v1
	s_waitcnt_depctr 0xfff
	v_mul_f32_e32 v1, 0x4f7ffffe, v1
	s_delay_alu instid0(VALU_DEP_1) | instskip(NEXT) | instid1(VALU_DEP_1)
	v_cvt_u32_f32_e32 v1, v1
	v_readfirstlane_b32 s3, v1
	s_delay_alu instid0(VALU_DEP_1) | instskip(NEXT) | instid1(SALU_CYCLE_1)
	s_mul_i32 s8, s8, s3
	s_mul_hi_u32 s8, s3, s8
	s_delay_alu instid0(SALU_CYCLE_1) | instskip(NEXT) | instid1(SALU_CYCLE_1)
	s_add_i32 s3, s3, s8
	s_mul_hi_u32 s3, s15, s3
	s_delay_alu instid0(SALU_CYCLE_1) | instskip(SKIP_2) | instid1(SALU_CYCLE_1)
	s_mul_i32 s8, s3, s2
	s_add_i32 s9, s3, 1
	s_sub_i32 s8, s15, s8
	s_sub_i32 s10, s8, s2
	s_cmp_ge_u32 s8, s2
	s_cselect_b32 s3, s9, s3
	s_cselect_b32 s8, s10, s8
	s_add_i32 s9, s3, 1
	s_cmp_ge_u32 s8, s2
	s_cselect_b32 s12, s9, s3
	s_abs_i32 s2, s35
	s_abs_i32 s9, s7
	v_cvt_f32_u32_e32 v1, s2
	s_sub_i32 s8, 0, s2
	s_xor_b32 s10, s7, s35
	s_delay_alu instid0(SALU_CYCLE_1) | instskip(NEXT) | instid1(VALU_DEP_1)
	s_ashr_i32 s10, s10, 31
	v_rcp_iflag_f32_e32 v1, v1
	s_waitcnt_depctr 0xfff
	v_mul_f32_e32 v1, 0x4f7ffffe, v1
	s_delay_alu instid0(VALU_DEP_1) | instskip(NEXT) | instid1(VALU_DEP_1)
	v_cvt_u32_f32_e32 v1, v1
	v_readfirstlane_b32 s3, v1
	s_delay_alu instid0(VALU_DEP_1) | instskip(NEXT) | instid1(SALU_CYCLE_1)
	s_mul_i32 s8, s8, s3
	s_mul_hi_u32 s8, s3, s8
	s_delay_alu instid0(SALU_CYCLE_1) | instskip(SKIP_2) | instid1(SALU_CYCLE_1)
	s_add_i32 s3, s3, s8
	s_lshl_b32 s8, s15, 1
	s_mul_hi_u32 s3, s9, s3
	s_mul_i32 s11, s3, s2
	s_delay_alu instid0(SALU_CYCLE_1)
	s_sub_i32 s9, s9, s11
	s_add_i32 s11, s3, 1
	s_sub_i32 s15, s9, s2
	s_cmp_ge_u32 s9, s2
	s_cselect_b32 s3, s11, s3
	s_cselect_b32 s9, s15, s9
	s_add_i32 s11, s3, 1
	s_cmp_ge_u32 s9, s2
	s_mul_i32 s9, s12, s7
	s_cselect_b32 s2, s11, s3
	s_delay_alu instid0(SALU_CYCLE_1) | instskip(NEXT) | instid1(SALU_CYCLE_1)
	s_xor_b32 s2, s2, s10
	s_sub_i32 s35, s2, s10
	s_clause 0x1
	s_load_b512 s[16:31], s[0:1], 0x0
	s_load_b64 s[2:3], s[0:1], 0xb8
	s_abs_i32 s33, s35
	s_delay_alu instid0(SALU_CYCLE_1) | instskip(NEXT) | instid1(VALU_DEP_1)
	v_cvt_f32_u32_e32 v1, s33
	v_rcp_iflag_f32_e32 v1, v1
	s_waitcnt_depctr 0xfff
	v_mul_f32_e32 v1, 0x4f7ffffe, v1
	s_waitcnt lgkmcnt(0)
	s_cmp_eq_u64 s[22:23], 0
	s_delay_alu instid0(VALU_DEP_1) | instskip(NEXT) | instid1(VALU_DEP_1)
	v_cvt_u32_f32_e32 v1, v1
	v_readfirstlane_b32 s38, v1
	s_cbranch_scc1 .LBB43_2
; %bb.1:
	s_abs_i32 s2, s2
	s_abs_i32 s15, s12
	v_cvt_f32_u32_e32 v1, s2
	s_sub_i32 s11, 0, s2
	s_delay_alu instid0(VALU_DEP_1) | instskip(SKIP_2) | instid1(VALU_DEP_1)
	v_rcp_iflag_f32_e32 v1, v1
	s_waitcnt_depctr 0xfff
	v_mul_f32_e32 v1, 0x4f7ffffe, v1
	v_cvt_u32_f32_e32 v1, v1
	s_delay_alu instid0(VALU_DEP_1) | instskip(NEXT) | instid1(VALU_DEP_1)
	v_readfirstlane_b32 s10, v1
	s_mul_i32 s11, s11, s10
	s_delay_alu instid0(SALU_CYCLE_1) | instskip(NEXT) | instid1(SALU_CYCLE_1)
	s_mul_hi_u32 s11, s10, s11
	s_add_i32 s36, s10, s11
	s_load_b64 s[10:11], s[0:1], 0xc8
	s_mul_hi_u32 s36, s15, s36
	s_delay_alu instid0(SALU_CYCLE_1) | instskip(NEXT) | instid1(SALU_CYCLE_1)
	s_mul_i32 s36, s36, s2
	s_sub_i32 s15, s15, s36
	s_ashr_i32 s36, s12, 31
	s_sub_i32 s37, s15, s2
	s_cmp_ge_u32 s15, s2
	s_cselect_b32 s15, s37, s15
	s_delay_alu instid0(SALU_CYCLE_1) | instskip(SKIP_2) | instid1(SALU_CYCLE_1)
	s_sub_i32 s37, s15, s2
	s_cmp_ge_u32 s15, s2
	s_cselect_b32 s2, s37, s15
	s_xor_b32 s2, s2, s36
	s_delay_alu instid0(SALU_CYCLE_1)
	s_sub_i32 s2, s2, s36
	s_waitcnt lgkmcnt(0)
	s_mul_i32 s11, s2, s11
	s_mul_hi_u32 s15, s2, s10
	s_ashr_i32 s36, s2, 31
	s_add_i32 s11, s15, s11
	s_mul_i32 s36, s36, s10
	s_mul_i32 s2, s2, s10
	s_add_i32 s11, s11, s36
	s_add_u32 s36, s22, s2
	s_addc_u32 s37, s23, s11
.LBB43_2:
	v_bfe_u32 v3, v0, 10, 10
	s_lshl_b32 s2, s13, 2
	v_and_b32_e32 v0, 0x3ff, v0
	s_sub_i32 s15, s8, s9
	s_delay_alu instid0(VALU_DEP_2) | instskip(SKIP_1) | instid1(VALU_DEP_2)
	v_lshrrev_b32_e32 v1, 1, v3
	v_and_b32_e32 v12, 1, v3
	v_add_nc_u32_e32 v1, s2, v1
	v_cmp_gt_u32_e64 s2, 20, v0
	s_delay_alu instid0(VALU_DEP_2) | instskip(NEXT) | instid1(VALU_DEP_2)
	v_mul_hi_u32 v4, s4, v1
	s_and_saveexec_b32 s4, s2
	s_cbranch_execz .LBB43_4
; %bb.3:
	s_load_b128 s[8:11], s[0:1], 0x70
	s_delay_alu instid0(VALU_DEP_1) | instskip(NEXT) | instid1(VALU_DEP_1)
	v_add_nc_u32_e32 v2, v1, v4
	v_lshrrev_b32_e32 v2, s5, v2
	s_delay_alu instid0(VALU_DEP_1) | instskip(NEXT) | instid1(VALU_DEP_1)
	v_mul_lo_u32 v2, v2, s6
	v_sub_nc_u32_e32 v9, v1, v2
	s_waitcnt lgkmcnt(0)
	s_mul_i32 s10, s12, s10
	s_mul_i32 s11, s15, s9
	s_ashr_i32 s22, s10, 31
	s_add_u32 s10, s16, s10
	s_addc_u32 s16, s17, s22
	s_ashr_i32 s17, s11, 31
	s_add_u32 s10, s10, s11
	s_addc_u32 s11, s16, s17
	s_ashr_i32 s16, s8, 31
	s_delay_alu instid0(SALU_CYCLE_1) | instskip(SKIP_1) | instid1(SALU_CYCLE_1)
	v_alignbit_b32 v2, s16, s8, 2
	s_ashr_i32 s8, s9, 31
	v_alignbit_b32 v10, s8, s9, 2
	s_lshr_b32 s9, s16, 2
	s_delay_alu instid0(VALU_DEP_2) | instskip(SKIP_1) | instid1(SALU_CYCLE_1)
	v_mad_u64_u32 v[5:6], null, v2, v9, 0
	s_lshr_b32 s8, s8, 2
	v_mul_lo_u32 v8, s8, v12
	s_load_b32 s8, s[0:1], 0x40
	s_delay_alu instid0(VALU_DEP_2) | instskip(NEXT) | instid1(VALU_DEP_1)
	v_mov_b32_e32 v2, v6
	v_mad_u64_u32 v[6:7], null, s9, v9, v[2:3]
	v_mul_lo_u32 v7, v10, v12
	s_delay_alu instid0(VALU_DEP_2) | instskip(NEXT) | instid1(VALU_DEP_2)
	v_lshlrev_b64 v[5:6], 2, v[5:6]
	v_lshlrev_b64 v[7:8], 2, v[7:8]
	s_delay_alu instid0(VALU_DEP_1) | instskip(NEXT) | instid1(VALU_DEP_2)
	v_add_co_u32 v2, vcc_lo, s10, v7
	v_add_co_ci_u32_e32 v7, vcc_lo, s11, v8, vcc_lo
	v_lshlrev_b32_e32 v8, 3, v0
	s_delay_alu instid0(VALU_DEP_3) | instskip(NEXT) | instid1(VALU_DEP_3)
	v_add_co_u32 v2, vcc_lo, v2, v5
	v_add_co_ci_u32_e32 v6, vcc_lo, v7, v6, vcc_lo
	s_delay_alu instid0(VALU_DEP_2) | instskip(NEXT) | instid1(VALU_DEP_2)
	v_add_co_u32 v5, vcc_lo, v2, v8
	v_add_co_ci_u32_e32 v6, vcc_lo, 0, v6, vcc_lo
	global_load_b64 v[5:6], v[5:6], off
	s_waitcnt vmcnt(0) lgkmcnt(0)
	v_fma_mixlo_f16 v2, v5, s8, 0
	v_mul_u32_u24_e32 v5, 20, v3
	s_delay_alu instid0(VALU_DEP_2) | instskip(NEXT) | instid1(VALU_DEP_2)
	v_fma_mixhi_f16 v2, v6, s8, 0
	v_add_lshl_u32 v5, v5, v0, 2
	ds_store_b32 v5, v2 offset:3168
.LBB43_4:
	s_or_b32 exec_lo, exec_lo, s4
	s_cmp_eq_u64 s[26:27], 0
	s_waitcnt lgkmcnt(0)
	s_barrier
	buffer_gl0_inv
	s_cbranch_scc1 .LBB43_6
; %bb.5:
	s_load_b32 s4, s[0:1], 0xd0
	s_mov_b32 s9, 0
	s_waitcnt lgkmcnt(0)
	s_mul_i32 s4, s4, s12
	s_delay_alu instid0(SALU_CYCLE_1) | instskip(NEXT) | instid1(SALU_CYCLE_1)
	s_add_i32 s8, s4, s13
	s_lshl_b64 s[8:9], s[8:9], 2
	s_delay_alu instid0(SALU_CYCLE_1)
	s_add_u32 s8, s26, s8
	s_addc_u32 s9, s27, s9
	s_load_b32 s34, s[8:9], 0x0
.LBB43_6:
	v_mbcnt_lo_u32_b32 v13, -1, 0
	s_lshl_b32 s13, s14, 5
	s_waitcnt lgkmcnt(0)
	s_cmp_lt_i32 s13, s34
	s_cbranch_scc1 .LBB43_8
; %bb.7:
	v_mbcnt_lo_u32_b32 v5, -1, 0
	v_mov_b32_e32 v15, 32
	s_mov_b32 s4, 0
	s_mov_b32 s8, 0xfeffffff
	s_delay_alu instid0(VALU_DEP_2)
	v_xor_b32_e32 v20, 16, v5
	v_xor_b32_e32 v19, 8, v5
	;; [unrolled: 1-line block ×5, first 2 shown]
	s_branch .LBB43_9
.LBB43_8:
	s_mov_b32 s4, -1
                                        ; implicit-def: $sgpr8
                                        ; implicit-def: $vgpr5
                                        ; implicit-def: $vgpr15
                                        ; implicit-def: $vgpr20
                                        ; implicit-def: $vgpr19
                                        ; implicit-def: $vgpr18
                                        ; implicit-def: $vgpr17
                                        ; implicit-def: $vgpr16
.LBB43_9:
	s_delay_alu instid0(SALU_CYCLE_1) | instskip(SKIP_1) | instid1(VALU_DEP_2)
	v_cndmask_b32_e64 v2, 0, 1, s4
	v_dual_mov_b32 v14, s4 :: v_dual_mov_b32 v33, s4
	v_cmp_ne_u32_e32 vcc_lo, 1, v2
	v_mov_b32_e32 v2, s8
	s_cbranch_vccnz .LBB43_22
; %bb.10:
	s_clause 0x1
	s_load_b64 s[16:17], s[0:1], 0x8c
	s_load_b128 s[8:11], s[0:1], 0x98
	s_sub_i32 s4, 0, s33
	v_dual_mov_b32 v14, 0 :: v_dual_lshlrev_b32 v21, 2, v0
	s_mul_i32 s4, s4, s38
	v_lshrrev_b32_e32 v2, 2, v0
	s_mul_hi_u32 s4, s38, s4
	s_delay_alu instid0(VALU_DEP_2)
	v_dual_mov_b32 v32, 0xfeffffff :: v_dual_and_b32 v33, 12, v21
	s_abs_i32 s26, s15
	s_add_i32 s38, s38, s4
	s_ashr_i32 s4, s3, 1
	s_mul_hi_u32 s3, s26, s38
	s_ashr_i32 s38, s12, 31
	v_add_nc_u32_e32 v4, v1, v4
	v_lshl_add_u32 v2, v3, 3, v2
	v_lshlrev_b32_e32 v15, 2, v33
	s_ashr_i32 s27, s15, 31
	s_ashr_i32 s35, s35, 31
	s_load_b64 s[22:23], s[0:1], 0xa8
	s_waitcnt lgkmcnt(0)
	s_mul_i32 s9, s12, s9
	s_mul_hi_u32 s40, s12, s8
	s_mul_i32 s41, s38, s8
	s_add_i32 s9, s40, s9
	s_mul_i32 s8, s12, s8
	s_mul_i32 s39, s3, s33
	s_ashr_i32 s16, s16, 2
	s_ashr_i32 s10, s10, 2
	s_add_i32 s9, s9, s41
	s_add_u32 s8, s18, s8
	s_addc_u32 s9, s19, s9
	s_sub_i32 s19, s26, s39
	v_mad_u32_u24 v24, 0x60, v2, v15
	v_mad_u32_u24 v29, 0x50, v2, v15
	v_mov_b32_e32 v15, 32
	v_lshrrev_b32_e32 v4, s5, v4
	s_xor_b32 s18, s27, s35
	s_add_i32 s26, s3, 1
	s_sub_i32 s27, s19, s33
	s_cmp_ge_u32 s19, s33
	v_lshl_add_u32 v5, v3, 5, v0
	s_cselect_b32 s3, s26, s3
	s_cselect_b32 s19, s27, s19
	v_mul_lo_u32 v4, v4, s6
	s_add_i32 s26, s3, 1
	s_cmp_ge_u32 s19, s33
	v_mul_lo_u32 v6, s16, v2
	s_cselect_b32 s3, s26, s3
	v_mul_lo_u32 v8, s16, v5
	v_mul_lo_u32 v10, s10, v5
	;; [unrolled: 1-line block ×3, first 2 shown]
	s_xor_b32 s3, s3, s18
	v_sub_nc_u32_e32 v11, v1, v4
	s_sub_i32 s3, s3, s18
	s_mul_i32 s19, s12, s23
	s_mul_i32 s17, s3, s17
	s_mul_hi_u32 s23, s12, s22
	s_ashr_i32 s18, s17, 31
	s_add_u32 s17, s8, s17
	v_cmp_gt_u32_e32 vcc_lo, 32, v5
	v_mul_u32_u24_e32 v23, 0x50, v3
	v_ashrrev_i32_e32 v7, 31, v6
	v_mad_u32_u24 v25, 0x60, v5, 64
	v_lshl_add_u32 v26, v3, 6, 0xee0
	v_lshlrev_b32_e32 v5, 4, v5
	v_ashrrev_i32_e32 v9, 31, v8
	v_mad_u64_u32 v[3:4], null, v11, s4, v[0:1]
	v_ashrrev_i32_e32 v11, 31, v10
	v_ashrrev_i32_e32 v31, 31, v30
	s_mul_i32 s38, s38, s22
	s_addc_u32 s18, s9, s18
	s_add_i32 s8, s23, s19
	s_mul_i32 s22, s12, s22
	s_mul_i32 s3, s3, s11
	s_add_i32 s8, s8, s38
	s_add_u32 s9, s20, s22
	s_addc_u32 s8, s21, s8
	s_ashr_i32 s19, s3, 31
	v_sub_nc_u32_e32 v28, v25, v5
	v_lshlrev_b64 v[4:5], 2, v[8:9]
	v_lshlrev_b64 v[6:7], 2, v[6:7]
	;; [unrolled: 1-line block ×4, first 2 shown]
	s_add_u32 s11, s9, s3
	v_cmp_gt_u32_e64 s3, 32, v2
	v_mul_u32_u24_e32 v22, 0x60, v0
	v_lshl_add_u32 v27, v0, 1, v26
	v_xor_b32_e32 v20, 16, v13
	v_xor_b32_e32 v19, 8, v13
	v_xor_b32_e32 v18, 4, v13
	v_xor_b32_e32 v17, 2, v13
	v_xor_b32_e32 v16, 1, v13
	v_dual_mov_b32 v31, 0 :: v_dual_lshlrev_b32 v30, 2, v33
	s_addc_u32 s5, s8, s19
	s_add_u32 s8, s0, 0xd0
	s_addc_u32 s9, s1, 0
.LBB43_11:                              ; =>This Inner Loop Header: Depth=1
	s_mul_hi_i32 s21, s13, s16
	s_mul_i32 s20, s13, s16
	s_delay_alu instid0(SALU_CYCLE_1) | instskip(NEXT) | instid1(SALU_CYCLE_1)
	s_lshl_b64 s[20:21], s[20:21], 2
	s_add_u32 s19, s17, s20
	s_addc_u32 s20, s18, s21
	s_and_saveexec_b32 s21, vcc_lo
	s_cbranch_execz .LBB43_13
; %bb.12:                               ;   in Loop: Header=BB43_11 Depth=1
	v_add_co_u32 v33, s4, s19, v4
	s_delay_alu instid0(VALU_DEP_1)
	v_add_co_ci_u32_e64 v34, s4, s20, v5, s4
	global_load_b128 v[33:36], v[33:34], off offset:64
	s_waitcnt vmcnt(0)
	ds_store_b128 v25, v[33:36]
.LBB43_13:                              ;   in Loop: Header=BB43_11 Depth=1
	s_or_b32 exec_lo, exec_lo, s21
	s_and_saveexec_b32 s21, s3
	s_cbranch_execz .LBB43_15
; %bb.14:                               ;   in Loop: Header=BB43_11 Depth=1
	v_add_co_u32 v2, s4, s19, v6
	s_delay_alu instid0(VALU_DEP_1) | instskip(NEXT) | instid1(VALU_DEP_2)
	v_add_co_ci_u32_e64 v34, s4, s20, v7, s4
	v_add_co_u32 v33, s4, v2, v30
	s_delay_alu instid0(VALU_DEP_1)
	v_add_co_ci_u32_e64 v34, s4, 0, v34, s4
	global_load_b128 v[33:36], v[33:34], off
	s_waitcnt vmcnt(0)
	ds_store_b128 v24, v[33:36]
.LBB43_15:                              ;   in Loop: Header=BB43_11 Depth=1
	s_or_b32 exec_lo, exec_lo, s21
	s_waitcnt lgkmcnt(0)
	s_barrier
	buffer_gl0_inv
	ds_load_b128 v[33:36], v22
	ds_load_b128 v[37:40], v23 offset:3168
	v_dual_mov_b32 v2, 0 :: v_dual_add_nc_u32 v41, s13, v3
	s_mul_hi_i32 s21, s13, s10
	s_mul_i32 s20, s13, s10
	s_waitcnt lgkmcnt(0)
	;;#ASMSTART
	v_dot2_f32_f16 v2, v33, v37, v2
	;;#ASMEND
	;;#ASMSTART
	v_dot2_f32_f16 v2, v34, v38, v2
	;;#ASMEND
	;; [unrolled: 3-line block ×4, first 2 shown]
	ds_load_b128 v[33:36], v22 offset:16
	ds_load_b128 v[37:40], v23 offset:3184
	v_ashrrev_i32_e32 v42, 31, v41
	s_lshl_b64 s[20:21], s[20:21], 2
	s_waitcnt lgkmcnt(0)
	;;#ASMSTART
	v_dot2_f32_f16 v2, v33, v37, v2
	;;#ASMEND
	;;#ASMSTART
	v_dot2_f32_f16 v2, v34, v38, v2
	;;#ASMEND
	;; [unrolled: 3-line block ×4, first 2 shown]
	ds_load_b128 v[33:36], v22 offset:32
	ds_load_b128 v[37:40], v23 offset:3200
	v_lshlrev_b64 v[41:42], 1, v[41:42]
	s_add_u32 s19, s11, s20
	s_addc_u32 s20, s5, s21
	s_waitcnt lgkmcnt(0)
	;;#ASMSTART
	v_dot2_f32_f16 v2, v33, v37, v2
	;;#ASMEND
	;;#ASMSTART
	v_dot2_f32_f16 v2, v34, v38, v2
	;;#ASMEND
	;; [unrolled: 3-line block ×4, first 2 shown]
	ds_load_b128 v[33:36], v22 offset:48
	ds_load_b128 v[37:40], v23 offset:3216
	v_add_co_u32 v41, s4, s36, v41
	s_delay_alu instid0(VALU_DEP_1)
	v_add_co_ci_u32_e64 v42, s4, s37, v42, s4
	v_cmp_gt_i32_e64 s4, 32, v20
	s_waitcnt lgkmcnt(0)
	;;#ASMSTART
	v_dot2_f32_f16 v2, v33, v37, v2
	;;#ASMEND
	;;#ASMSTART
	v_dot2_f32_f16 v2, v34, v38, v2
	;;#ASMEND
	;; [unrolled: 3-line block ×4, first 2 shown]
	ds_load_b128 v[33:36], v22 offset:64
	ds_load_b128 v[37:40], v23 offset:3232
	s_waitcnt lgkmcnt(0)
	;;#ASMSTART
	v_dot2_f32_f16 v2, v33, v37, v2
	;;#ASMEND
	;;#ASMSTART
	v_dot2_f32_f16 v2, v34, v38, v2
	;;#ASMEND
	;; [unrolled: 3-line block ×4, first 2 shown]
	flat_load_u16 v33, v[41:42]
	v_cndmask_b32_e64 v34, v13, v20, s4
	v_cmp_gt_i32_e64 s4, 32, v19
	s_waitcnt vmcnt(0) lgkmcnt(0)
	s_barrier
	buffer_gl0_inv
	v_lshlrev_b32_e32 v34, 2, v34
	v_cvt_f32_f16_e32 v33, v33
	s_delay_alu instid0(VALU_DEP_1) | instskip(NEXT) | instid1(VALU_DEP_1)
	v_dual_add_f32 v33, v2, v33 :: v_dual_max_f32 v2, v32, v32
	v_add_f32_e32 v35, 0x40051340, v33
	s_delay_alu instid0(VALU_DEP_1)
	v_max_f32_e32 v2, v2, v35
	v_cndmask_b32_e64 v35, v13, v19, s4
	v_cmp_gt_i32_e64 s4, 32, v18
	ds_bpermute_b32 v34, v34, v2
	s_waitcnt lgkmcnt(0)
	v_dual_max_f32 v34, v34, v34 :: v_dual_lshlrev_b32 v35, 2, v35
	s_delay_alu instid0(VALU_DEP_1) | instskip(SKIP_4) | instid1(VALU_DEP_2)
	v_max_f32_e32 v2, v2, v34
	ds_bpermute_b32 v34, v35, v2
	v_cndmask_b32_e64 v35, v13, v18, s4
	v_cmp_gt_i32_e64 s4, 32, v17
	s_waitcnt lgkmcnt(0)
	v_dual_max_f32 v34, v34, v34 :: v_dual_lshlrev_b32 v35, 2, v35
	s_delay_alu instid0(VALU_DEP_1) | instskip(SKIP_4) | instid1(VALU_DEP_2)
	v_max_f32_e32 v2, v2, v34
	ds_bpermute_b32 v34, v35, v2
	v_cndmask_b32_e64 v35, v13, v17, s4
	v_cmp_gt_i32_e64 s4, 32, v16
	s_waitcnt lgkmcnt(0)
	v_dual_max_f32 v34, v34, v34 :: v_dual_lshlrev_b32 v35, 2, v35
	s_delay_alu instid0(VALU_DEP_1) | instskip(SKIP_3) | instid1(VALU_DEP_1)
	v_max_f32_e32 v2, v2, v34
	ds_bpermute_b32 v34, v35, v2
	v_cndmask_b32_e64 v35, v13, v16, s4
	s_waitcnt lgkmcnt(0)
	v_dual_max_f32 v34, v34, v34 :: v_dual_lshlrev_b32 v35, 2, v35
	s_delay_alu instid0(VALU_DEP_1) | instskip(SKIP_3) | instid1(VALU_DEP_1)
	v_max_f32_e32 v2, v2, v34
	ds_bpermute_b32 v34, v35, v2
	s_waitcnt lgkmcnt(0)
	v_max_f32_e32 v34, v34, v34
	v_max_f32_e32 v2, v2, v34
	s_delay_alu instid0(VALU_DEP_1) | instskip(NEXT) | instid1(VALU_DEP_1)
	v_sub_f32_e32 v33, v33, v2
	v_mul_f32_e32 v34, 0x3fb8aa3b, v33
	s_delay_alu instid0(VALU_DEP_1) | instskip(SKIP_1) | instid1(VALU_DEP_1)
	v_fma_f32 v35, 0x3fb8aa3b, v33, -v34
	v_rndne_f32_e32 v36, v34
	v_dual_sub_f32 v34, v34, v36 :: v_dual_fmac_f32 v35, 0x32a5705f, v33
	v_cmp_ngt_f32_e64 s4, 0xc2ce8ed0, v33
	s_delay_alu instid0(VALU_DEP_2) | instskip(SKIP_1) | instid1(VALU_DEP_2)
	v_add_f32_e32 v34, v34, v35
	v_cvt_i32_f32_e32 v35, v36
	v_exp_f32_e32 v34, v34
	s_waitcnt_depctr 0xfff
	v_ldexp_f32 v34, v34, v35
	s_delay_alu instid0(VALU_DEP_1) | instskip(SKIP_1) | instid1(VALU_DEP_1)
	v_cndmask_b32_e64 v34, 0, v34, s4
	v_cmp_nlt_f32_e64 s4, 0x42b17218, v33
	v_cndmask_b32_e64 v33, 0x7f800000, v34, s4
	s_delay_alu instid0(VALU_DEP_1)
	v_cvt_f16_f32_e32 v34, v33
	ds_store_b16 v27, v34
	s_and_saveexec_b32 s21, vcc_lo
	s_cbranch_execz .LBB43_17
; %bb.16:                               ;   in Loop: Header=BB43_11 Depth=1
	v_add_co_u32 v34, s4, s19, v8
	s_delay_alu instid0(VALU_DEP_1)
	v_add_co_ci_u32_e64 v35, s4, s20, v9, s4
	global_load_b128 v[34:37], v[34:35], off offset:64
	s_waitcnt vmcnt(0)
	ds_store_b128 v28, v[34:37]
.LBB43_17:                              ;   in Loop: Header=BB43_11 Depth=1
	s_or_b32 exec_lo, exec_lo, s21
	s_and_saveexec_b32 s21, s3
	s_cbranch_execz .LBB43_19
; %bb.18:                               ;   in Loop: Header=BB43_11 Depth=1
	v_add_co_u32 v34, s4, s19, v10
	s_delay_alu instid0(VALU_DEP_1) | instskip(NEXT) | instid1(VALU_DEP_2)
	v_add_co_ci_u32_e64 v35, s4, s20, v11, s4
	v_add_co_u32 v34, s4, v34, v30
	s_delay_alu instid0(VALU_DEP_1)
	v_add_co_ci_u32_e64 v35, s4, 0, v35, s4
	global_load_b128 v[34:37], v[34:35], off
	s_waitcnt vmcnt(0)
	ds_store_b128 v29, v[34:37]
.LBB43_19:                              ;   in Loop: Header=BB43_11 Depth=1
	s_or_b32 exec_lo, exec_lo, s21
	v_sub_f32_e32 v32, v32, v2
	s_waitcnt lgkmcnt(0)
	s_barrier
	buffer_gl0_inv
	v_mul_f32_e32 v34, 0x3fb8aa3b, v32
	v_cmp_ngt_f32_e64 s4, 0xc2ce8ed0, v32
	s_delay_alu instid0(VALU_DEP_2) | instskip(SKIP_1) | instid1(VALU_DEP_1)
	v_fma_f32 v35, 0x3fb8aa3b, v32, -v34
	v_rndne_f32_e32 v38, v34
	v_dual_fmac_f32 v35, 0x32a5705f, v32 :: v_dual_sub_f32 v34, v34, v38
	v_cvt_i32_f32_e32 v38, v38
	s_delay_alu instid0(VALU_DEP_2) | instskip(NEXT) | instid1(VALU_DEP_1)
	v_add_f32_e32 v34, v34, v35
	v_exp_f32_e32 v39, v34
	ds_load_2addr_b32 v[42:43], v21 offset1:20
	ds_load_b128 v[34:37], v26
	ds_load_2addr_b32 v[44:45], v21 offset0:40 offset1:60
	ds_load_2addr_b32 v[46:47], v21 offset0:80 offset1:100
	v_ldexp_f32 v38, v39, v38
	s_delay_alu instid0(VALU_DEP_1) | instskip(SKIP_1) | instid1(VALU_DEP_1)
	v_cndmask_b32_e64 v38, 0, v38, s4
	v_cmp_nlt_f32_e64 s4, 0x42b17218, v32
	v_cndmask_b32_e64 v32, 0x7f800000, v38, s4
	s_waitcnt lgkmcnt(2)
	v_pk_mul_f16 v42, v42, v34 op_sel_hi:[1,0]
	ds_load_b128 v[38:41], v26 offset:16
	v_fmac_f32_e32 v33, v31, v32
	v_cvt_f16_f32_e32 v48, v32
	s_delay_alu instid0(VALU_DEP_1) | instskip(SKIP_1) | instid1(VALU_DEP_2)
	v_pk_fma_f16 v14, v14, v48, v42 op_sel_hi:[1,0,1]
	v_add_nc_u32_e32 v48, 0x400, v21
	v_pk_fma_f16 v14, v43, v34, v14 op_sel:[0,1,0]
	ds_load_2addr_b32 v[42:43], v21 offset0:120 offset1:140
	s_waitcnt lgkmcnt(3)
	v_pk_fma_f16 v14, v44, v35, v14 op_sel_hi:[1,0,1]
	s_delay_alu instid0(VALU_DEP_1) | instskip(SKIP_4) | instid1(VALU_DEP_1)
	v_pk_fma_f16 v14, v45, v35, v14 op_sel:[0,1,0]
	ds_load_2addr_b32 v[34:35], v21 offset0:160 offset1:180
	ds_load_2addr_b32 v[44:45], v21 offset0:200 offset1:220
	s_waitcnt lgkmcnt(4)
	v_pk_fma_f16 v14, v46, v36, v14 op_sel_hi:[1,0,1]
	v_pk_fma_f16 v14, v47, v36, v14 op_sel:[0,1,0]
	v_add_nc_u32_e32 v36, 0x200, v21
	ds_load_2addr_b32 v[46:47], v48 offset0:24 offset1:44
	s_waitcnt lgkmcnt(3)
	v_pk_fma_f16 v14, v42, v37, v14 op_sel_hi:[1,0,1]
	s_delay_alu instid0(VALU_DEP_1) | instskip(SKIP_3) | instid1(VALU_DEP_1)
	v_pk_fma_f16 v14, v43, v37, v14 op_sel:[0,1,0]
	ds_load_2addr_b32 v[42:43], v36 offset0:112 offset1:132
	s_waitcnt lgkmcnt(3)
	v_pk_fma_f16 v14, v34, v38, v14 op_sel_hi:[1,0,1]
	v_pk_fma_f16 v14, v35, v38, v14 op_sel:[0,1,0]
	ds_load_b128 v[34:37], v26 offset:32
	s_waitcnt lgkmcnt(3)
	v_pk_fma_f16 v14, v44, v39, v14 op_sel_hi:[1,0,1]
	s_delay_alu instid0(VALU_DEP_1) | instskip(SKIP_3) | instid1(VALU_DEP_1)
	v_pk_fma_f16 v14, v45, v39, v14 op_sel:[0,1,0]
	ds_load_2addr_b32 v[44:45], v48 offset0:64 offset1:84
	s_waitcnt lgkmcnt(2)
	v_pk_fma_f16 v14, v42, v40, v14 op_sel_hi:[1,0,1]
	v_pk_fma_f16 v14, v43, v40, v14 op_sel:[0,1,0]
	ds_load_2addr_b32 v[42:43], v48 offset0:104 offset1:124
	v_pk_fma_f16 v14, v46, v41, v14 op_sel_hi:[1,0,1]
	s_delay_alu instid0(VALU_DEP_1) | instskip(SKIP_4) | instid1(VALU_DEP_1)
	v_pk_fma_f16 v14, v47, v41, v14 op_sel:[0,1,0]
	ds_load_b128 v[38:41], v26 offset:48
	ds_load_2addr_b32 v[46:47], v48 offset0:144 offset1:164
	s_waitcnt lgkmcnt(3)
	v_pk_fma_f16 v14, v44, v34, v14 op_sel_hi:[1,0,1]
	v_pk_fma_f16 v14, v45, v34, v14 op_sel:[0,1,0]
	ds_load_2addr_b32 v[44:45], v48 offset0:184 offset1:204
	s_waitcnt lgkmcnt(3)
	v_pk_fma_f16 v14, v42, v35, v14 op_sel_hi:[1,0,1]
	s_delay_alu instid0(VALU_DEP_1) | instskip(SKIP_4) | instid1(VALU_DEP_2)
	v_pk_fma_f16 v14, v43, v35, v14 op_sel:[0,1,0]
	ds_load_2addr_b32 v[34:35], v48 offset0:224 offset1:244
	s_waitcnt lgkmcnt(2)
	v_pk_fma_f16 v14, v46, v36, v14 op_sel_hi:[1,0,1]
	v_add_nc_u32_e32 v46, 0x800, v21
	v_pk_fma_f16 v14, v47, v36, v14 op_sel:[0,1,0]
	ds_load_2addr_b32 v[42:43], v46 offset0:8 offset1:28
	s_waitcnt lgkmcnt(2)
	v_pk_fma_f16 v14, v44, v37, v14 op_sel_hi:[1,0,1]
	s_delay_alu instid0(VALU_DEP_1) | instskip(SKIP_3) | instid1(VALU_DEP_1)
	v_pk_fma_f16 v14, v45, v37, v14 op_sel:[0,1,0]
	ds_load_2addr_b32 v[36:37], v46 offset0:48 offset1:68
	s_waitcnt lgkmcnt(2)
	v_pk_fma_f16 v14, v34, v38, v14 op_sel_hi:[1,0,1]
	v_pk_fma_f16 v14, v35, v38, v14 op_sel:[0,1,0]
	ds_load_2addr_b32 v[34:35], v46 offset0:88 offset1:108
	s_waitcnt lgkmcnt(0)
	s_barrier
	buffer_gl0_inv
	v_pk_fma_f16 v14, v42, v39, v14 op_sel_hi:[1,0,1]
	s_load_b32 s4, s[8:9], 0x4
	s_delay_alu instid0(VALU_DEP_1) | instskip(NEXT) | instid1(VALU_DEP_1)
	v_pk_fma_f16 v14, v43, v39, v14 op_sel:[0,1,0]
	v_pk_fma_f16 v14, v36, v40, v14 op_sel_hi:[1,0,1]
	s_delay_alu instid0(VALU_DEP_1) | instskip(NEXT) | instid1(VALU_DEP_1)
	v_pk_fma_f16 v14, v37, v40, v14 op_sel:[0,1,0]
	v_pk_fma_f16 v14, v34, v41, v14 op_sel_hi:[1,0,1]
	s_waitcnt lgkmcnt(0)
	s_lshl_b32 s4, s4, 5
	s_delay_alu instid0(SALU_CYCLE_1) | instskip(NEXT) | instid1(VALU_DEP_1)
	s_add_i32 s13, s4, s13
	v_pk_fma_f16 v14, v35, v41, v14 op_sel:[0,1,0]
	s_cmp_lt_i32 s13, s34
	s_cbranch_scc0 .LBB43_21
; %bb.20:                               ;   in Loop: Header=BB43_11 Depth=1
	v_dual_mov_b32 v32, v2 :: v_dual_mov_b32 v31, v33
	s_branch .LBB43_11
.LBB43_21:
	v_mov_b32_e32 v5, v13
.LBB43_22:
	v_cmp_lt_i32_e32 vcc_lo, v20, v15
	s_cmp_eq_u64 s[24:25], 0
	s_cselect_b32 s3, -1, 0
	s_cmp_lg_u32 s14, 0
	v_cndmask_b32_e32 v3, v5, v20, vcc_lo
	v_cmp_lt_i32_e32 vcc_lo, v19, v15
	s_cselect_b32 s4, -1, 0
	s_delay_alu instid0(SALU_CYCLE_1) | instskip(SKIP_4) | instid1(VALU_DEP_2)
	s_or_b32 s3, s4, s3
	v_cndmask_b32_e32 v4, v5, v19, vcc_lo
	v_cmp_lt_i32_e32 vcc_lo, v18, v15
	v_cndmask_b32_e32 v6, v5, v18, vcc_lo
	v_cmp_lt_i32_e32 vcc_lo, v17, v15
	v_lshlrev_b32_e32 v6, 2, v6
	v_lshlrev_b32_e32 v3, 2, v3
	ds_bpermute_b32 v3, v3, v33
	s_waitcnt lgkmcnt(0)
	v_dual_add_f32 v3, v33, v3 :: v_dual_lshlrev_b32 v4, 2, v4
	ds_bpermute_b32 v4, v4, v3
	s_waitcnt lgkmcnt(0)
	v_add_f32_e32 v3, v3, v4
	ds_bpermute_b32 v4, v6, v3
	v_cndmask_b32_e32 v6, v5, v17, vcc_lo
	v_cmp_lt_i32_e32 vcc_lo, v16, v15
	s_delay_alu instid0(VALU_DEP_2) | instskip(SKIP_1) | instid1(VALU_DEP_1)
	v_dual_cndmask_b32 v5, v5, v16 :: v_dual_lshlrev_b32 v6, 2, v6
	s_and_b32 vcc_lo, exec_lo, s3
	v_lshlrev_b32_e32 v5, 2, v5
	s_waitcnt lgkmcnt(0)
	v_add_f32_e32 v3, v3, v4
	ds_bpermute_b32 v4, v6, v3
	s_waitcnt lgkmcnt(0)
	v_add_f32_e32 v3, v3, v4
	ds_bpermute_b32 v4, v5, v3
	s_waitcnt lgkmcnt(0)
	v_add_f32_e32 v3, v3, v4
	s_cbranch_vccnz .LBB43_24
; %bb.23:
	v_add_nc_u32_e32 v4, s15, v12
	s_delay_alu instid0(VALU_DEP_1) | instskip(NEXT) | instid1(VALU_DEP_1)
	v_ashrrev_i32_e32 v5, 31, v4
	v_lshlrev_b64 v[4:5], 2, v[4:5]
	s_delay_alu instid0(VALU_DEP_1) | instskip(NEXT) | instid1(VALU_DEP_2)
	v_add_co_u32 v4, vcc_lo, s24, v4
	v_add_co_ci_u32_e32 v5, vcc_lo, s25, v5, vcc_lo
	global_load_b32 v4, v[4:5], off
	s_waitcnt vmcnt(0)
	v_dual_max_f32 v5, v2, v2 :: v_dual_max_f32 v6, v4, v4
	s_delay_alu instid0(VALU_DEP_1) | instskip(NEXT) | instid1(VALU_DEP_1)
	v_max_f32_e32 v5, v5, v6
	v_sub_f32_e32 v2, v2, v5
	s_delay_alu instid0(VALU_DEP_1) | instskip(NEXT) | instid1(VALU_DEP_1)
	v_mul_f32_e32 v6, 0x3fb8aa3b, v2
	v_rndne_f32_e32 v9, v6
	v_fma_f32 v8, 0x3fb8aa3b, v2, -v6
	s_delay_alu instid0(VALU_DEP_2) | instskip(SKIP_1) | instid1(VALU_DEP_1)
	v_sub_f32_e32 v6, v6, v9
	v_sub_f32_e32 v4, v4, v5
	v_mul_f32_e32 v7, 0x3fb8aa3b, v4
	s_delay_alu instid0(VALU_DEP_4) | instskip(SKIP_1) | instid1(VALU_DEP_3)
	v_fmac_f32_e32 v8, 0x32a5705f, v2
	v_cmp_ngt_f32_e32 vcc_lo, 0xc2ce8ed0, v2
	v_fma_f32 v10, 0x3fb8aa3b, v4, -v7
	v_rndne_f32_e32 v11, v7
	s_delay_alu instid0(VALU_DEP_4) | instskip(SKIP_1) | instid1(VALU_DEP_3)
	v_add_f32_e32 v6, v6, v8
	v_cvt_i32_f32_e32 v8, v9
	v_dual_fmac_f32 v10, 0x32a5705f, v4 :: v_dual_sub_f32 v7, v7, v11
	s_delay_alu instid0(VALU_DEP_3) | instskip(SKIP_1) | instid1(VALU_DEP_2)
	v_exp_f32_e32 v6, v6
	v_cvt_i32_f32_e32 v9, v11
	v_add_f32_e32 v7, v7, v10
	s_delay_alu instid0(VALU_DEP_1) | instskip(SKIP_2) | instid1(VALU_DEP_1)
	v_exp_f32_e32 v7, v7
	s_waitcnt_depctr 0xfff
	v_ldexp_f32 v6, v6, v8
	v_cndmask_b32_e32 v6, 0, v6, vcc_lo
	v_cmp_ngt_f32_e32 vcc_lo, 0xc2ce8ed0, v4
	v_ldexp_f32 v7, v7, v9
	s_delay_alu instid0(VALU_DEP_1) | instskip(SKIP_3) | instid1(VALU_DEP_2)
	v_cndmask_b32_e32 v7, 0, v7, vcc_lo
	v_cmp_nlt_f32_e32 vcc_lo, 0x42b17218, v2
	v_cndmask_b32_e32 v2, 0x7f800000, v6, vcc_lo
	v_cmp_nlt_f32_e32 vcc_lo, 0x42b17218, v4
	v_cvt_f16_f32_e32 v6, v2
	v_cndmask_b32_e32 v4, 0x7f800000, v7, vcc_lo
	s_delay_alu instid0(VALU_DEP_2) | instskip(NEXT) | instid1(VALU_DEP_2)
	v_pk_mul_f16 v14, v14, v6 op_sel_hi:[1,0]
	v_fmac_f32_e32 v4, v3, v2
	s_delay_alu instid0(VALU_DEP_1)
	v_dual_mov_b32 v2, v5 :: v_dual_mov_b32 v3, v4
.LBB43_24:
	s_mov_b32 s3, exec_lo
	v_cmpx_gt_i32_e64 s6, v1
	s_cbranch_execz .LBB43_29
; %bb.25:
	s_delay_alu instid0(VALU_DEP_2) | instskip(SKIP_1) | instid1(VALU_DEP_1)
	v_mad_u64_u32 v[4:5], null, s12, s6, v[1:2]
	s_load_b32 s0, s[0:1], 0xd4
	v_mul_lo_u32 v1, v4, s7
	s_delay_alu instid0(VALU_DEP_1) | instskip(SKIP_2) | instid1(VALU_DEP_1)
	v_add3_u32 v1, s15, v12, v1
	s_waitcnt lgkmcnt(0)
	s_cmp_lg_u32 s0, 1
	v_mad_u64_u32 v[4:5], null, s0, v1, s[14:15]
	s_cselect_b32 s0, -1, 0
	s_and_saveexec_b32 s1, s2
	s_cbranch_execz .LBB43_27
; %bb.26:
	v_div_scale_f32 v1, null, v3, v3, 1.0
	v_div_scale_f32 v7, vcc_lo, 1.0, v3, 1.0
	v_cvt_f32_f16_e32 v9, v14
	s_delay_alu instid0(VALU_DEP_3) | instskip(SKIP_2) | instid1(VALU_DEP_1)
	v_rcp_f32_e32 v5, v1
	s_waitcnt_depctr 0xfff
	v_fma_f32 v6, -v1, v5, 1.0
	v_fmac_f32_e32 v5, v6, v5
	s_delay_alu instid0(VALU_DEP_1) | instskip(NEXT) | instid1(VALU_DEP_1)
	v_mul_f32_e32 v6, v7, v5
	v_fma_f32 v8, -v1, v6, v7
	s_delay_alu instid0(VALU_DEP_1) | instskip(SKIP_1) | instid1(VALU_DEP_2)
	v_fmac_f32_e32 v6, v8, v5
	v_lshrrev_b32_e32 v8, 16, v14
	v_fma_f32 v1, -v1, v6, v7
	v_mul_lo_u32 v7, v4, 40
	s_delay_alu instid0(VALU_DEP_2) | instskip(SKIP_1) | instid1(VALU_DEP_3)
	v_div_fmas_f32 v1, v1, v5, v6
	v_mov_b32_e32 v6, 0
	v_lshl_add_u32 v5, v0, 1, v7
	s_delay_alu instid0(VALU_DEP_3) | instskip(SKIP_1) | instid1(VALU_DEP_3)
	v_div_fixup_f32 v1, v1, v3, 1.0
	v_cvt_f32_f16_e32 v7, v8
	v_lshlrev_b64 v[5:6], 2, v[5:6]
	s_delay_alu instid0(VALU_DEP_3) | instskip(NEXT) | instid1(VALU_DEP_2)
	v_cndmask_b32_e64 v1, v1, 1.0, s0
	v_add_co_u32 v5, vcc_lo, s28, v5
	s_delay_alu instid0(VALU_DEP_2)
	v_mul_f32_e32 v8, v1, v7
	v_mul_f32_e32 v7, v1, v9
	v_add_co_ci_u32_e32 v6, vcc_lo, s29, v6, vcc_lo
	global_store_b64 v[5:6], v[7:8], off
.LBB43_27:
	s_or_b32 exec_lo, exec_lo, s1
	v_cmp_eq_u32_e32 vcc_lo, 0, v0
	s_and_b32 s0, vcc_lo, s0
	s_delay_alu instid0(SALU_CYCLE_1)
	s_and_b32 exec_lo, exec_lo, s0
	s_cbranch_execz .LBB43_29
; %bb.28:
	v_ashrrev_i32_e32 v5, 31, v4
	s_delay_alu instid0(VALU_DEP_1) | instskip(NEXT) | instid1(VALU_DEP_1)
	v_lshlrev_b64 v[0:1], 3, v[4:5]
	v_add_co_u32 v0, vcc_lo, s30, v0
	s_delay_alu instid0(VALU_DEP_2)
	v_add_co_ci_u32_e32 v1, vcc_lo, s31, v1, vcc_lo
	global_store_b64 v[0:1], v[2:3], off
.LBB43_29:
	s_nop 0
	s_sendmsg sendmsg(MSG_DEALLOC_VGPRS)
	s_endpgm
	.section	.rodata,"a",@progbits
	.p2align	6, 0x0
	.amdhsa_kernel _ZL15flash_attn_tileILi40ELi40ELi4ELi2ELb0EEvPKcS1_S1_S1_S1_PKiPfP15HIP_vector_typeIfLj2EEffffjfiS5_IjLj3EEiiiiiiiiiiiliiliiiiil
		.amdhsa_group_segment_fixed_size 4320
		.amdhsa_private_segment_fixed_size 0
		.amdhsa_kernarg_size 464
		.amdhsa_user_sgpr_count 13
		.amdhsa_user_sgpr_dispatch_ptr 0
		.amdhsa_user_sgpr_queue_ptr 0
		.amdhsa_user_sgpr_kernarg_segment_ptr 1
		.amdhsa_user_sgpr_dispatch_id 0
		.amdhsa_user_sgpr_private_segment_size 0
		.amdhsa_wavefront_size32 1
		.amdhsa_uses_dynamic_stack 0
		.amdhsa_enable_private_segment 0
		.amdhsa_system_sgpr_workgroup_id_x 1
		.amdhsa_system_sgpr_workgroup_id_y 1
		.amdhsa_system_sgpr_workgroup_id_z 1
		.amdhsa_system_sgpr_workgroup_info 0
		.amdhsa_system_vgpr_workitem_id 1
		.amdhsa_next_free_vgpr 49
		.amdhsa_next_free_sgpr 42
		.amdhsa_reserve_vcc 1
		.amdhsa_float_round_mode_32 0
		.amdhsa_float_round_mode_16_64 0
		.amdhsa_float_denorm_mode_32 3
		.amdhsa_float_denorm_mode_16_64 3
		.amdhsa_dx10_clamp 1
		.amdhsa_ieee_mode 1
		.amdhsa_fp16_overflow 0
		.amdhsa_workgroup_processor_mode 1
		.amdhsa_memory_ordered 1
		.amdhsa_forward_progress 0
		.amdhsa_shared_vgpr_count 0
		.amdhsa_exception_fp_ieee_invalid_op 0
		.amdhsa_exception_fp_denorm_src 0
		.amdhsa_exception_fp_ieee_div_zero 0
		.amdhsa_exception_fp_ieee_overflow 0
		.amdhsa_exception_fp_ieee_underflow 0
		.amdhsa_exception_fp_ieee_inexact 0
		.amdhsa_exception_int_div_zero 0
	.end_amdhsa_kernel
	.section	.text._ZL15flash_attn_tileILi40ELi40ELi4ELi2ELb0EEvPKcS1_S1_S1_S1_PKiPfP15HIP_vector_typeIfLj2EEffffjfiS5_IjLj3EEiiiiiiiiiiiliiliiiiil,"axG",@progbits,_ZL15flash_attn_tileILi40ELi40ELi4ELi2ELb0EEvPKcS1_S1_S1_S1_PKiPfP15HIP_vector_typeIfLj2EEffffjfiS5_IjLj3EEiiiiiiiiiiiliiliiiiil,comdat
.Lfunc_end43:
	.size	_ZL15flash_attn_tileILi40ELi40ELi4ELi2ELb0EEvPKcS1_S1_S1_S1_PKiPfP15HIP_vector_typeIfLj2EEffffjfiS5_IjLj3EEiiiiiiiiiiiliiliiiiil, .Lfunc_end43-_ZL15flash_attn_tileILi40ELi40ELi4ELi2ELb0EEvPKcS1_S1_S1_S1_PKiPfP15HIP_vector_typeIfLj2EEffffjfiS5_IjLj3EEiiiiiiiiiiiliiliiiiil
                                        ; -- End function
	.section	.AMDGPU.csdata,"",@progbits
; Kernel info:
; codeLenInByte = 4420
; NumSgprs: 44
; NumVgprs: 49
; ScratchSize: 0
; MemoryBound: 0
; FloatMode: 240
; IeeeMode: 1
; LDSByteSize: 4320 bytes/workgroup (compile time only)
; SGPRBlocks: 5
; VGPRBlocks: 6
; NumSGPRsForWavesPerEU: 44
; NumVGPRsForWavesPerEU: 49
; Occupancy: 16
; WaveLimiterHint : 1
; COMPUTE_PGM_RSRC2:SCRATCH_EN: 0
; COMPUTE_PGM_RSRC2:USER_SGPR: 13
; COMPUTE_PGM_RSRC2:TRAP_HANDLER: 0
; COMPUTE_PGM_RSRC2:TGID_X_EN: 1
; COMPUTE_PGM_RSRC2:TGID_Y_EN: 1
; COMPUTE_PGM_RSRC2:TGID_Z_EN: 1
; COMPUTE_PGM_RSRC2:TIDIG_COMP_CNT: 1
	.section	.text._ZL33flash_attn_stream_k_fixup_uniformILi40ELi4ELi2EEvPfPK15HIP_vector_typeIfLj2EEiiiiiiS1_IjLj3EES5_S5_,"axG",@progbits,_ZL33flash_attn_stream_k_fixup_uniformILi40ELi4ELi2EEvPfPK15HIP_vector_typeIfLj2EEiiiiiiS1_IjLj3EES5_S5_,comdat
	.globl	_ZL33flash_attn_stream_k_fixup_uniformILi40ELi4ELi2EEvPfPK15HIP_vector_typeIfLj2EEiiiiiiS1_IjLj3EES5_S5_ ; -- Begin function _ZL33flash_attn_stream_k_fixup_uniformILi40ELi4ELi2EEvPfPK15HIP_vector_typeIfLj2EEiiiiiiS1_IjLj3EES5_S5_
	.p2align	8
	.type	_ZL33flash_attn_stream_k_fixup_uniformILi40ELi4ELi2EEvPfPK15HIP_vector_typeIfLj2EEiiiiiiS1_IjLj3EES5_S5_,@function
_ZL33flash_attn_stream_k_fixup_uniformILi40ELi4ELi2EEvPfPK15HIP_vector_typeIfLj2EEiiiiiiS1_IjLj3EES5_S5_: ; @_ZL33flash_attn_stream_k_fixup_uniformILi40ELi4ELi2EEvPfPK15HIP_vector_typeIfLj2EEiiiiiiS1_IjLj3EES5_S5_
; %bb.0:
	s_clause 0x1
	s_load_b256 s[4:11], s[0:1], 0x1c
	s_load_b128 s[16:19], s[0:1], 0x3c
	s_waitcnt lgkmcnt(0)
	s_mul_hi_u32 s2, s7, s13
	s_delay_alu instid0(SALU_CYCLE_1) | instskip(NEXT) | instid1(SALU_CYCLE_1)
	s_add_i32 s2, s13, s2
	s_lshr_b32 s2, s2, s8
	s_delay_alu instid0(SALU_CYCLE_1) | instskip(SKIP_2) | instid1(SALU_CYCLE_1)
	s_mul_i32 s3, s2, s9
	s_load_b64 s[8:9], s[0:1], 0x10
	s_sub_i32 s3, s13, s3
	s_mul_hi_u32 s7, s3, s10
	s_delay_alu instid0(SALU_CYCLE_1) | instskip(NEXT) | instid1(SALU_CYCLE_1)
	s_add_i32 s7, s3, s7
	s_lshr_b32 s7, s7, s11
	s_delay_alu instid0(SALU_CYCLE_1) | instskip(NEXT) | instid1(SALU_CYCLE_1)
	s_mul_i32 s10, s7, s16
	s_sub_i32 s3, s3, s10
	s_delay_alu instid0(SALU_CYCLE_1) | instskip(NEXT) | instid1(SALU_CYCLE_1)
	s_mul_hi_u32 s10, s3, s17
	s_add_i32 s10, s3, s10
	s_delay_alu instid0(SALU_CYCLE_1) | instskip(NEXT) | instid1(SALU_CYCLE_1)
	s_lshr_b32 s11, s10, s18
	s_mul_i32 s10, s11, s19
	s_lshl_b32 s11, s11, 1
	s_sub_i32 s10, s3, s10
	s_delay_alu instid0(SALU_CYCLE_1) | instskip(NEXT) | instid1(SALU_CYCLE_1)
	s_lshl_b32 s3, s10, 2
	s_add_i32 s3, s3, s14
	s_waitcnt lgkmcnt(0)
	s_cmp_lt_i32 s3, s8
	s_cselect_b32 s3, -1, 0
	s_add_i32 s11, s11, s15
	s_delay_alu instid0(SALU_CYCLE_1) | instskip(SKIP_1) | instid1(SALU_CYCLE_1)
	s_cmp_lt_i32 s11, s5
	s_cselect_b32 s12, -1, 0
	s_and_b32 s3, s3, s12
	s_delay_alu instid0(SALU_CYCLE_1)
	s_and_not1_b32 vcc_lo, exec_lo, s3
	s_cbranch_vccnz .LBB44_6
; %bb.1:
	s_mul_i32 s8, s2, s8
	s_mul_i32 s7, s7, s5
	s_add_i32 s8, s8, s14
	s_add_i32 s5, s11, s7
	s_mul_i32 s8, s8, s9
	s_load_b128 s[0:3], s[0:1], 0x0
	s_mul_i32 s7, s9, s10
	s_add_i32 s5, s5, s8
	s_mulk_i32 s7, 0xa0
	s_mul_i32 s5, s5, 40
	s_lshl_b32 s9, s14, 1
	v_add3_u32 v1, s5, s7, v0
	s_mul_i32 s5, s13, s6
	s_delay_alu instid0(SALU_CYCLE_1) | instskip(NEXT) | instid1(VALU_DEP_1)
	s_add_i32 s10, s5, s6
	v_ashrrev_i32_e32 v2, 31, v1
	s_delay_alu instid0(VALU_DEP_1) | instskip(SKIP_1) | instid1(VALU_DEP_1)
	v_lshlrev_b64 v[1:2], 2, v[1:2]
	s_waitcnt lgkmcnt(0)
	v_add_co_u32 v1, vcc_lo, s0, v1
	s_delay_alu instid0(VALU_DEP_2) | instskip(SKIP_4) | instid1(SALU_CYCLE_1)
	v_add_co_ci_u32_e32 v2, vcc_lo, s1, v2, vcc_lo
	s_add_i32 s0, s9, s15
	s_lshl_b32 s1, s10, 3
	global_load_b32 v5, v[1:2], off
	s_add_i32 s0, s0, s1
	s_add_i32 s0, s0, -8
	s_delay_alu instid0(SALU_CYCLE_1) | instskip(NEXT) | instid1(SALU_CYCLE_1)
	s_ashr_i32 s1, s0, 31
	s_lshl_b64 s[0:1], s[0:1], 3
	s_delay_alu instid0(SALU_CYCLE_1)
	s_add_u32 s0, s2, s0
	s_addc_u32 s1, s3, s1
	s_add_i32 s7, s10, -2
	s_load_b32 s11, s[0:1], 0x4
	s_cmp_lt_i32 s7, s5
	s_cbranch_scc1 .LBB44_4
; %bb.2:
	s_load_b32 s12, s[0:1], 0x0
	s_lshl_b32 s16, s4, 5
	s_mulk_i32 s14, 0x50
	s_ashr_i32 s17, s16, 31
	s_waitcnt lgkmcnt(0)
	v_mov_b32_e32 v6, s11
	s_lshl_b64 s[0:1], s[16:17], 2
	s_delay_alu instid0(SALU_CYCLE_1)
	s_add_u32 s7, s2, s0
	s_addc_u32 s8, s3, s1
	s_add_i32 s13, s13, 1
	s_lshl_b32 s4, s4, 3
	s_mul_i32 s0, s6, s13
	s_mul_i32 s6, s15, 40
	s_lshl_b32 s1, s0, 3
	s_mulk_i32 s0, 0x140
	s_add_i32 s6, s6, s14
	s_add_i32 s1, s15, s1
	;; [unrolled: 1-line block ×4, first 2 shown]
	v_add3_u32 v3, s6, v0, 0xfffffd80
	v_mov_b32_e32 v0, s12
	s_add_i32 s0, s0, s9
	s_add_i32 s4, s10, -1
	s_add_i32 s0, s0, -16
.LBB44_3:                               ; =>This Inner Loop Header: Depth=1
	s_delay_alu instid0(VALU_DEP_2) | instskip(SKIP_1) | instid1(SALU_CYCLE_1)
	v_ashrrev_i32_e32 v4, 31, v3
	s_ashr_i32 s1, s0, 31
	s_lshl_b64 s[10:11], s[0:1], 3
	s_delay_alu instid0(SALU_CYCLE_1) | instskip(NEXT) | instid1(VALU_DEP_1)
	s_add_u32 s10, s2, s10
	v_lshlrev_b64 v[7:8], 2, v[3:4]
	s_addc_u32 s11, s3, s11
	s_add_i32 s4, s4, -1
	s_add_i32 s0, s0, -8
	s_cmp_le_i32 s4, s5
	s_load_b64 s[10:11], s[10:11], 0x0
	v_add_co_u32 v7, vcc_lo, s7, v7
	v_add_co_ci_u32_e32 v8, vcc_lo, s8, v8, vcc_lo
	global_load_b32 v4, v[7:8], off
	v_max_f32_e32 v7, v0, v0
	s_waitcnt lgkmcnt(0)
	v_max_f32_e64 v8, s10, s10
	s_delay_alu instid0(VALU_DEP_1) | instskip(NEXT) | instid1(VALU_DEP_1)
	v_max_f32_e32 v7, v7, v8
	v_sub_f32_e32 v8, s10, v7
	s_delay_alu instid0(VALU_DEP_1) | instskip(NEXT) | instid1(VALU_DEP_1)
	v_dual_sub_f32 v0, v0, v7 :: v_dual_mul_f32 v9, 0x3fb8aa3b, v8
	v_fma_f32 v10, 0x3fb8aa3b, v8, -v9
	v_rndne_f32_e32 v11, v9
	s_delay_alu instid0(VALU_DEP_3) | instskip(NEXT) | instid1(VALU_DEP_2)
	v_mul_f32_e32 v12, 0x3fb8aa3b, v0
	v_dual_fmac_f32 v10, 0x32a5705f, v8 :: v_dual_sub_f32 v9, v9, v11
	v_cvt_i32_f32_e32 v11, v11
	s_delay_alu instid0(VALU_DEP_3) | instskip(SKIP_1) | instid1(VALU_DEP_4)
	v_fma_f32 v13, 0x3fb8aa3b, v0, -v12
	v_rndne_f32_e32 v14, v12
	v_add_f32_e32 v9, v9, v10
	v_cmp_ngt_f32_e32 vcc_lo, 0xc2ce8ed0, v8
	s_delay_alu instid0(VALU_DEP_3) | instskip(NEXT) | instid1(VALU_DEP_3)
	v_sub_f32_e32 v10, v12, v14
	v_exp_f32_e32 v9, v9
	s_waitcnt_depctr 0xfff
	v_ldexp_f32 v9, v9, v11
	v_cvt_i32_f32_e32 v11, v14
	s_delay_alu instid0(VALU_DEP_2) | instskip(SKIP_1) | instid1(VALU_DEP_2)
	v_cndmask_b32_e32 v9, 0, v9, vcc_lo
	v_cmp_nlt_f32_e32 vcc_lo, 0x42b17218, v8
	v_cndmask_b32_e32 v9, 0x7f800000, v9, vcc_lo
	v_cmp_ngt_f32_e32 vcc_lo, 0xc2ce8ed0, v0
	v_fmac_f32_e32 v13, 0x32a5705f, v0
	s_delay_alu instid0(VALU_DEP_1) | instskip(NEXT) | instid1(VALU_DEP_1)
	v_add_f32_e32 v10, v10, v13
	v_exp_f32_e32 v10, v10
	s_waitcnt_depctr 0xfff
	v_ldexp_f32 v10, v10, v11
	s_delay_alu instid0(VALU_DEP_1)
	v_dual_mov_b32 v11, v6 :: v_dual_cndmask_b32 v10, 0, v10
	v_cmp_le_f32_e32 vcc_lo, 0xc1a00000, v8
	s_waitcnt vmcnt(1)
	v_dual_cndmask_b32 v8, 0, v9 :: v_dual_mov_b32 v9, v5
	v_cmp_nlt_f32_e32 vcc_lo, 0x42b17218, v0
	v_cndmask_b32_e32 v5, 0x7f800000, v10, vcc_lo
	s_delay_alu instid0(VALU_DEP_3) | instskip(SKIP_2) | instid1(VALU_DEP_3)
	v_mul_f32_e32 v10, s11, v8
	v_cmp_le_f32_e32 vcc_lo, 0xc1a00000, v0
	v_mov_b32_e32 v0, v7
	v_mov_b32_e32 v6, v10
	s_waitcnt vmcnt(0)
	v_dual_cndmask_b32 v12, 0, v5 :: v_dual_mul_f32 v5, v4, v8
	s_delay_alu instid0(VALU_DEP_1) | instskip(NEXT) | instid1(VALU_DEP_2)
	v_dual_fmac_f32 v6, v11, v12 :: v_dual_add_nc_u32 v3, 0xfffffec0, v3
	v_fmac_f32_e32 v5, v9, v12
	s_cbranch_scc0 .LBB44_3
	s_branch .LBB44_5
.LBB44_4:
	s_waitcnt lgkmcnt(0)
	v_mov_b32_e32 v6, s11
.LBB44_5:
	s_waitcnt vmcnt(0)
	s_delay_alu instid0(VALU_DEP_1) | instskip(NEXT) | instid1(VALU_DEP_1)
	v_div_scale_f32 v0, null, v6, v6, v5
	v_rcp_f32_e32 v3, v0
	s_waitcnt_depctr 0xfff
	v_fma_f32 v4, -v0, v3, 1.0
	s_delay_alu instid0(VALU_DEP_1) | instskip(SKIP_1) | instid1(VALU_DEP_1)
	v_fmac_f32_e32 v3, v4, v3
	v_div_scale_f32 v4, vcc_lo, v5, v6, v5
	v_mul_f32_e32 v7, v4, v3
	s_delay_alu instid0(VALU_DEP_1) | instskip(NEXT) | instid1(VALU_DEP_1)
	v_fma_f32 v8, -v0, v7, v4
	v_fmac_f32_e32 v7, v8, v3
	s_delay_alu instid0(VALU_DEP_1) | instskip(NEXT) | instid1(VALU_DEP_1)
	v_fma_f32 v0, -v0, v7, v4
	v_div_fmas_f32 v0, v0, v3, v7
	s_delay_alu instid0(VALU_DEP_1)
	v_div_fixup_f32 v0, v0, v6, v5
	global_store_b32 v[1:2], v0, off
.LBB44_6:
	s_nop 0
	s_sendmsg sendmsg(MSG_DEALLOC_VGPRS)
	s_endpgm
	.section	.rodata,"a",@progbits
	.p2align	6, 0x0
	.amdhsa_kernel _ZL33flash_attn_stream_k_fixup_uniformILi40ELi4ELi2EEvPfPK15HIP_vector_typeIfLj2EEiiiiiiS1_IjLj3EES5_S5_
		.amdhsa_group_segment_fixed_size 0
		.amdhsa_private_segment_fixed_size 0
		.amdhsa_kernarg_size 76
		.amdhsa_user_sgpr_count 13
		.amdhsa_user_sgpr_dispatch_ptr 0
		.amdhsa_user_sgpr_queue_ptr 0
		.amdhsa_user_sgpr_kernarg_segment_ptr 1
		.amdhsa_user_sgpr_dispatch_id 0
		.amdhsa_user_sgpr_private_segment_size 0
		.amdhsa_wavefront_size32 1
		.amdhsa_uses_dynamic_stack 0
		.amdhsa_enable_private_segment 0
		.amdhsa_system_sgpr_workgroup_id_x 1
		.amdhsa_system_sgpr_workgroup_id_y 1
		.amdhsa_system_sgpr_workgroup_id_z 1
		.amdhsa_system_sgpr_workgroup_info 0
		.amdhsa_system_vgpr_workitem_id 0
		.amdhsa_next_free_vgpr 15
		.amdhsa_next_free_sgpr 20
		.amdhsa_reserve_vcc 1
		.amdhsa_float_round_mode_32 0
		.amdhsa_float_round_mode_16_64 0
		.amdhsa_float_denorm_mode_32 3
		.amdhsa_float_denorm_mode_16_64 3
		.amdhsa_dx10_clamp 1
		.amdhsa_ieee_mode 1
		.amdhsa_fp16_overflow 0
		.amdhsa_workgroup_processor_mode 1
		.amdhsa_memory_ordered 1
		.amdhsa_forward_progress 0
		.amdhsa_shared_vgpr_count 0
		.amdhsa_exception_fp_ieee_invalid_op 0
		.amdhsa_exception_fp_denorm_src 0
		.amdhsa_exception_fp_ieee_div_zero 0
		.amdhsa_exception_fp_ieee_overflow 0
		.amdhsa_exception_fp_ieee_underflow 0
		.amdhsa_exception_fp_ieee_inexact 0
		.amdhsa_exception_int_div_zero 0
	.end_amdhsa_kernel
	.section	.text._ZL33flash_attn_stream_k_fixup_uniformILi40ELi4ELi2EEvPfPK15HIP_vector_typeIfLj2EEiiiiiiS1_IjLj3EES5_S5_,"axG",@progbits,_ZL33flash_attn_stream_k_fixup_uniformILi40ELi4ELi2EEvPfPK15HIP_vector_typeIfLj2EEiiiiiiS1_IjLj3EES5_S5_,comdat
.Lfunc_end44:
	.size	_ZL33flash_attn_stream_k_fixup_uniformILi40ELi4ELi2EEvPfPK15HIP_vector_typeIfLj2EEiiiiiiS1_IjLj3EES5_S5_, .Lfunc_end44-_ZL33flash_attn_stream_k_fixup_uniformILi40ELi4ELi2EEvPfPK15HIP_vector_typeIfLj2EEiiiiiiS1_IjLj3EES5_S5_
                                        ; -- End function
	.section	.AMDGPU.csdata,"",@progbits
; Kernel info:
; codeLenInByte = 988
; NumSgprs: 22
; NumVgprs: 15
; ScratchSize: 0
; MemoryBound: 0
; FloatMode: 240
; IeeeMode: 1
; LDSByteSize: 0 bytes/workgroup (compile time only)
; SGPRBlocks: 2
; VGPRBlocks: 1
; NumSGPRsForWavesPerEU: 22
; NumVGPRsForWavesPerEU: 15
; Occupancy: 16
; WaveLimiterHint : 0
; COMPUTE_PGM_RSRC2:SCRATCH_EN: 0
; COMPUTE_PGM_RSRC2:USER_SGPR: 13
; COMPUTE_PGM_RSRC2:TRAP_HANDLER: 0
; COMPUTE_PGM_RSRC2:TGID_X_EN: 1
; COMPUTE_PGM_RSRC2:TGID_Y_EN: 1
; COMPUTE_PGM_RSRC2:TGID_Z_EN: 1
; COMPUTE_PGM_RSRC2:TIDIG_COMP_CNT: 0
	.section	.text._ZL33flash_attn_stream_k_fixup_generalILi40ELi4ELi2EEvPfPK15HIP_vector_typeIfLj2EEiiiiS1_IjLj3EES5_S5_S5_,"axG",@progbits,_ZL33flash_attn_stream_k_fixup_generalILi40ELi4ELi2EEvPfPK15HIP_vector_typeIfLj2EEiiiiS1_IjLj3EES5_S5_S5_,comdat
	.globl	_ZL33flash_attn_stream_k_fixup_generalILi40ELi4ELi2EEvPfPK15HIP_vector_typeIfLj2EEiiiiS1_IjLj3EES5_S5_S5_ ; -- Begin function _ZL33flash_attn_stream_k_fixup_generalILi40ELi4ELi2EEvPfPK15HIP_vector_typeIfLj2EEiiiiS1_IjLj3EES5_S5_S5_
	.p2align	8
	.type	_ZL33flash_attn_stream_k_fixup_generalILi40ELi4ELi2EEvPfPK15HIP_vector_typeIfLj2EEiiiiS1_IjLj3EES5_S5_S5_,@function
_ZL33flash_attn_stream_k_fixup_generalILi40ELi4ELi2EEvPfPK15HIP_vector_typeIfLj2EEiiiiS1_IjLj3EES5_S5_S5_: ; @_ZL33flash_attn_stream_k_fixup_generalILi40ELi4ELi2EEvPfPK15HIP_vector_typeIfLj2EEiiiiS1_IjLj3EES5_S5_S5_
; %bb.0:
	s_clause 0x1
	s_load_b128 s[4:7], s[0:1], 0x10
	s_load_b32 s20, s[0:1], 0x50
	s_mov_b32 s2, 0
	s_waitcnt lgkmcnt(0)
	s_mul_hi_i32 s3, s7, s13
	s_mul_i32 s12, s7, s13
	s_cmp_lg_u64 s[2:3], 0
	s_cbranch_scc0 .LBB45_21
; %bb.1:
	v_cvt_f32_ubyte0_e32 v1, 0
	v_cvt_f32_u32_e32 v2, s20
	s_sub_u32 s10, 0, s20
	s_subb_u32 s11, 0, 0
	s_delay_alu instid0(VALU_DEP_1) | instskip(NEXT) | instid1(VALU_DEP_1)
	v_fmamk_f32 v1, v1, 0x4f800000, v2
	v_rcp_f32_e32 v1, v1
	s_waitcnt_depctr 0xfff
	v_mul_f32_e32 v1, 0x5f7ffffc, v1
	s_delay_alu instid0(VALU_DEP_1) | instskip(NEXT) | instid1(VALU_DEP_1)
	v_mul_f32_e32 v2, 0x2f800000, v1
	v_trunc_f32_e32 v2, v2
	s_delay_alu instid0(VALU_DEP_1) | instskip(SKIP_1) | instid1(VALU_DEP_2)
	v_fmamk_f32 v1, v2, 0xcf800000, v1
	v_cvt_u32_f32_e32 v2, v2
	v_cvt_u32_f32_e32 v1, v1
	s_delay_alu instid0(VALU_DEP_2) | instskip(NEXT) | instid1(VALU_DEP_2)
	v_readfirstlane_b32 s8, v2
	v_readfirstlane_b32 s9, v1
	s_delay_alu instid0(VALU_DEP_2) | instskip(NEXT) | instid1(VALU_DEP_1)
	s_mul_i32 s16, s10, s8
	s_mul_hi_u32 s18, s10, s9
	s_mul_i32 s17, s11, s9
	s_add_i32 s16, s18, s16
	s_mul_i32 s19, s10, s9
	s_add_i32 s16, s16, s17
	s_mul_hi_u32 s18, s9, s19
	s_mul_hi_u32 s21, s8, s19
	s_mul_i32 s17, s8, s19
	s_mul_hi_u32 s19, s9, s16
	s_mul_i32 s9, s9, s16
	s_mul_hi_u32 s22, s8, s16
	s_add_u32 s9, s18, s9
	s_addc_u32 s18, 0, s19
	s_add_u32 s9, s9, s17
	s_mul_i32 s16, s8, s16
	s_addc_u32 s9, s18, s21
	s_addc_u32 s17, s22, 0
	s_add_u32 s9, s9, s16
	s_addc_u32 s16, 0, s17
	v_add_co_u32 v1, s9, v1, s9
	s_delay_alu instid0(VALU_DEP_1) | instskip(SKIP_1) | instid1(VALU_DEP_1)
	s_cmp_lg_u32 s9, 0
	s_addc_u32 s8, s8, s16
	v_readfirstlane_b32 s9, v1
	s_mul_i32 s16, s10, s8
	s_delay_alu instid0(VALU_DEP_1)
	s_mul_hi_u32 s17, s10, s9
	s_mul_i32 s11, s11, s9
	s_add_i32 s16, s17, s16
	s_mul_i32 s10, s10, s9
	s_add_i32 s16, s16, s11
	s_mul_hi_u32 s17, s8, s10
	s_mul_i32 s18, s8, s10
	s_mul_hi_u32 s10, s9, s10
	s_mul_hi_u32 s19, s9, s16
	s_mul_i32 s9, s9, s16
	s_mul_hi_u32 s11, s8, s16
	s_add_u32 s9, s10, s9
	s_addc_u32 s10, 0, s19
	s_add_u32 s9, s9, s18
	s_mul_i32 s16, s8, s16
	s_addc_u32 s9, s10, s17
	s_addc_u32 s10, s11, 0
	s_add_u32 s9, s9, s16
	s_addc_u32 s10, 0, s10
	v_add_co_u32 v1, s9, v1, s9
	s_delay_alu instid0(VALU_DEP_1) | instskip(SKIP_2) | instid1(SALU_CYCLE_1)
	s_cmp_lg_u32 s9, 0
	s_addc_u32 s16, s8, s10
	s_ashr_i32 s8, s3, 31
	s_add_u32 s10, s12, s8
	s_addc_u32 s11, s3, s8
	v_readfirstlane_b32 s3, v1
	s_mov_b32 s9, s8
	s_delay_alu instid0(SALU_CYCLE_1) | instskip(NEXT) | instid1(SALU_CYCLE_1)
	s_xor_b64 s[10:11], s[10:11], s[8:9]
	s_mul_i32 s18, s10, s16
	s_delay_alu instid0(VALU_DEP_1)
	s_mul_hi_u32 s19, s10, s3
	s_mul_hi_u32 s17, s10, s16
	s_mul_hi_u32 s22, s11, s3
	s_mul_i32 s3, s11, s3
	s_add_u32 s18, s19, s18
	s_addc_u32 s17, 0, s17
	s_mul_hi_u32 s21, s11, s16
	s_add_u32 s3, s18, s3
	s_mul_i32 s16, s11, s16
	s_addc_u32 s3, s17, s22
	s_addc_u32 s17, s21, 0
	s_add_u32 s3, s3, s16
	s_addc_u32 s16, 0, s17
	s_mul_i32 s18, s20, s3
	s_add_u32 s17, s3, 1
	v_sub_co_u32 v1, s10, s10, s18
	s_mul_hi_u32 s18, s20, s3
	s_addc_u32 s19, s16, 0
	s_mul_i32 s21, s20, s16
	s_delay_alu instid0(VALU_DEP_1)
	v_sub_co_u32 v2, s22, v1, s20
	s_add_u32 s23, s3, 2
	s_addc_u32 s24, s16, 0
	s_add_i32 s18, s18, s21
	s_cmp_lg_u32 s10, 0
	v_readfirstlane_b32 s10, v2
	s_subb_u32 s11, s11, s18
	s_cmp_lg_u32 s22, 0
	s_subb_u32 s18, s11, 0
	s_delay_alu instid0(VALU_DEP_1) | instskip(SKIP_4) | instid1(SALU_CYCLE_1)
	s_cmp_ge_u32 s10, s20
	s_cselect_b32 s10, -1, 0
	s_cmp_eq_u32 s18, 0
	v_readfirstlane_b32 s18, v1
	s_cselect_b32 s10, s10, -1
	s_cmp_lg_u32 s10, 0
	s_cselect_b32 s10, s23, s17
	s_cselect_b32 s17, s24, s19
	s_cmp_ge_u32 s18, s20
	s_cselect_b32 s18, -1, 0
	s_cmp_eq_u32 s11, 0
	s_cselect_b32 s11, s18, -1
	s_delay_alu instid0(SALU_CYCLE_1) | instskip(SKIP_2) | instid1(SALU_CYCLE_1)
	s_cmp_lg_u32 s11, 0
	s_cselect_b32 s11, s17, s16
	s_cselect_b32 s10, s10, s3
	s_xor_b64 s[10:11], s[10:11], s[8:9]
	s_delay_alu instid0(SALU_CYCLE_1)
	s_sub_u32 s16, s10, s8
	s_load_b128 s[8:11], s[0:1], 0x44
	s_and_not1_b32 vcc_lo, exec_lo, s2
	s_cbranch_vccnz .LBB45_3
.LBB45_2:
	v_cvt_f32_u32_e32 v1, s20
	s_sub_i32 s3, 0, s20
	s_delay_alu instid0(VALU_DEP_1) | instskip(SKIP_2) | instid1(VALU_DEP_1)
	v_rcp_iflag_f32_e32 v1, v1
	s_waitcnt_depctr 0xfff
	v_mul_f32_e32 v1, 0x4f7ffffe, v1
	v_cvt_u32_f32_e32 v1, v1
	s_delay_alu instid0(VALU_DEP_1) | instskip(NEXT) | instid1(VALU_DEP_1)
	v_readfirstlane_b32 s2, v1
	s_mul_i32 s3, s3, s2
	s_delay_alu instid0(SALU_CYCLE_1) | instskip(NEXT) | instid1(SALU_CYCLE_1)
	s_mul_hi_u32 s3, s2, s3
	s_add_i32 s2, s2, s3
	s_delay_alu instid0(SALU_CYCLE_1) | instskip(NEXT) | instid1(SALU_CYCLE_1)
	s_mul_hi_u32 s2, s12, s2
	s_mul_i32 s3, s2, s20
	s_waitcnt lgkmcnt(0)
	s_add_i32 s11, s2, 1
	s_sub_i32 s3, s12, s3
	s_delay_alu instid0(SALU_CYCLE_1)
	s_sub_i32 s12, s3, s20
	s_cmp_ge_u32 s3, s20
	s_cselect_b32 s2, s11, s2
	s_cselect_b32 s3, s12, s3
	s_add_i32 s11, s2, 1
	s_cmp_ge_u32 s3, s20
	s_cselect_b32 s16, s11, s2
.LBB45_3:
	s_waitcnt lgkmcnt(0)
	s_add_i32 s11, s13, 1
	s_mov_b32 s2, 0
	s_mul_hi_i32 s3, s7, s11
	s_mul_i32 s11, s7, s11
	s_cmp_lg_u64 s[2:3], 0
	s_cbranch_scc0 .LBB45_22
; %bb.4:
	v_cvt_f32_ubyte0_e32 v1, 0
	v_cvt_f32_u32_e32 v2, s20
	s_sub_u32 s18, 0, s20
	s_subb_u32 s19, 0, 0
	s_delay_alu instid0(VALU_DEP_1) | instskip(NEXT) | instid1(VALU_DEP_1)
	v_fmamk_f32 v1, v1, 0x4f800000, v2
	v_rcp_f32_e32 v1, v1
	s_waitcnt_depctr 0xfff
	v_mul_f32_e32 v1, 0x5f7ffffc, v1
	s_delay_alu instid0(VALU_DEP_1) | instskip(NEXT) | instid1(VALU_DEP_1)
	v_mul_f32_e32 v2, 0x2f800000, v1
	v_trunc_f32_e32 v2, v2
	s_delay_alu instid0(VALU_DEP_1) | instskip(SKIP_1) | instid1(VALU_DEP_2)
	v_fmamk_f32 v1, v2, 0xcf800000, v1
	v_cvt_u32_f32_e32 v2, v2
	v_cvt_u32_f32_e32 v1, v1
	s_delay_alu instid0(VALU_DEP_2) | instskip(NEXT) | instid1(VALU_DEP_2)
	v_readfirstlane_b32 s12, v2
	v_readfirstlane_b32 s17, v1
	s_delay_alu instid0(VALU_DEP_2) | instskip(NEXT) | instid1(VALU_DEP_1)
	s_mul_i32 s21, s18, s12
	s_mul_hi_u32 s23, s18, s17
	s_mul_i32 s22, s19, s17
	s_add_i32 s21, s23, s21
	s_mul_i32 s24, s18, s17
	s_add_i32 s21, s21, s22
	s_mul_hi_u32 s23, s17, s24
	s_mul_hi_u32 s25, s12, s24
	s_mul_i32 s22, s12, s24
	s_mul_hi_u32 s24, s17, s21
	s_mul_i32 s17, s17, s21
	s_mul_hi_u32 s26, s12, s21
	s_add_u32 s17, s23, s17
	s_addc_u32 s23, 0, s24
	s_add_u32 s17, s17, s22
	s_mul_i32 s21, s12, s21
	s_addc_u32 s17, s23, s25
	s_addc_u32 s22, s26, 0
	s_add_u32 s17, s17, s21
	s_addc_u32 s21, 0, s22
	v_add_co_u32 v1, s17, v1, s17
	s_delay_alu instid0(VALU_DEP_1) | instskip(SKIP_1) | instid1(VALU_DEP_1)
	s_cmp_lg_u32 s17, 0
	s_addc_u32 s12, s12, s21
	v_readfirstlane_b32 s17, v1
	s_mul_i32 s21, s18, s12
	s_delay_alu instid0(VALU_DEP_1)
	s_mul_hi_u32 s22, s18, s17
	s_mul_i32 s19, s19, s17
	s_add_i32 s21, s22, s21
	s_mul_i32 s18, s18, s17
	s_add_i32 s21, s21, s19
	s_mul_hi_u32 s22, s12, s18
	s_mul_i32 s23, s12, s18
	s_mul_hi_u32 s18, s17, s18
	s_mul_hi_u32 s24, s17, s21
	s_mul_i32 s17, s17, s21
	s_mul_hi_u32 s19, s12, s21
	s_add_u32 s17, s18, s17
	s_addc_u32 s18, 0, s24
	s_add_u32 s17, s17, s23
	s_mul_i32 s21, s12, s21
	s_addc_u32 s17, s18, s22
	s_addc_u32 s18, s19, 0
	s_add_u32 s17, s17, s21
	s_addc_u32 s18, 0, s18
	v_add_co_u32 v1, s17, v1, s17
	s_delay_alu instid0(VALU_DEP_1) | instskip(SKIP_2) | instid1(SALU_CYCLE_1)
	s_cmp_lg_u32 s17, 0
	s_addc_u32 s12, s12, s18
	s_ashr_i32 s18, s3, 31
	s_add_u32 s22, s11, s18
	s_addc_u32 s23, s3, s18
	v_readfirstlane_b32 s3, v1
	s_mov_b32 s19, s18
	s_delay_alu instid0(SALU_CYCLE_1) | instskip(NEXT) | instid1(SALU_CYCLE_1)
	s_xor_b64 s[22:23], s[22:23], s[18:19]
	s_mul_i32 s21, s22, s12
	s_delay_alu instid0(VALU_DEP_1)
	s_mul_hi_u32 s24, s22, s3
	s_mul_hi_u32 s17, s22, s12
	;; [unrolled: 1-line block ×3, first 2 shown]
	s_mul_i32 s3, s23, s3
	s_add_u32 s21, s24, s21
	s_addc_u32 s17, 0, s17
	s_mul_hi_u32 s25, s23, s12
	s_add_u32 s3, s21, s3
	s_mul_i32 s12, s23, s12
	s_addc_u32 s3, s17, s26
	s_addc_u32 s17, s25, 0
	s_add_u32 s3, s3, s12
	s_addc_u32 s12, 0, s17
	s_mul_i32 s21, s20, s3
	s_add_u32 s17, s3, 1
	v_sub_co_u32 v1, s21, s22, s21
	s_mul_hi_u32 s22, s20, s3
	s_addc_u32 s24, s12, 0
	s_mul_i32 s25, s20, s12
	s_delay_alu instid0(VALU_DEP_1)
	v_sub_co_u32 v2, s26, v1, s20
	s_add_u32 s27, s3, 2
	s_addc_u32 s28, s12, 0
	s_add_i32 s22, s22, s25
	s_cmp_lg_u32 s21, 0
	v_readfirstlane_b32 s21, v2
	s_subb_u32 s22, s23, s22
	s_cmp_lg_u32 s26, 0
	s_subb_u32 s23, s22, 0
	s_delay_alu instid0(VALU_DEP_1) | instskip(SKIP_4) | instid1(SALU_CYCLE_1)
	s_cmp_ge_u32 s21, s20
	s_cselect_b32 s21, -1, 0
	s_cmp_eq_u32 s23, 0
	v_readfirstlane_b32 s23, v1
	s_cselect_b32 s21, s21, -1
	s_cmp_lg_u32 s21, 0
	s_cselect_b32 s17, s27, s17
	s_cselect_b32 s21, s28, s24
	s_cmp_ge_u32 s23, s20
	s_cselect_b32 s23, -1, 0
	s_cmp_eq_u32 s22, 0
	s_cselect_b32 s22, s23, -1
	s_delay_alu instid0(SALU_CYCLE_1) | instskip(SKIP_2) | instid1(SALU_CYCLE_1)
	s_cmp_lg_u32 s22, 0
	s_cselect_b32 s23, s21, s12
	s_cselect_b32 s22, s17, s3
	s_xor_b64 s[22:23], s[22:23], s[18:19]
	s_delay_alu instid0(SALU_CYCLE_1)
	s_sub_u32 s18, s22, s18
	s_and_not1_b32 vcc_lo, exec_lo, s2
	s_cbranch_vccnz .LBB45_6
.LBB45_5:
	v_cvt_f32_u32_e32 v1, s20
	s_sub_i32 s3, 0, s20
	s_delay_alu instid0(VALU_DEP_1) | instskip(SKIP_2) | instid1(VALU_DEP_1)
	v_rcp_iflag_f32_e32 v1, v1
	s_waitcnt_depctr 0xfff
	v_mul_f32_e32 v1, 0x4f7ffffe, v1
	v_cvt_u32_f32_e32 v1, v1
	s_delay_alu instid0(VALU_DEP_1) | instskip(NEXT) | instid1(VALU_DEP_1)
	v_readfirstlane_b32 s2, v1
	s_mul_i32 s3, s3, s2
	s_delay_alu instid0(SALU_CYCLE_1) | instskip(NEXT) | instid1(SALU_CYCLE_1)
	s_mul_hi_u32 s3, s2, s3
	s_add_i32 s2, s2, s3
	s_delay_alu instid0(SALU_CYCLE_1) | instskip(NEXT) | instid1(SALU_CYCLE_1)
	s_mul_hi_u32 s2, s11, s2
	s_mul_i32 s3, s2, s20
	s_delay_alu instid0(SALU_CYCLE_1)
	s_sub_i32 s3, s11, s3
	s_add_i32 s11, s2, 1
	s_sub_i32 s12, s3, s20
	s_cmp_ge_u32 s3, s20
	s_cselect_b32 s2, s11, s2
	s_cselect_b32 s3, s12, s3
	s_add_i32 s11, s2, 1
	s_cmp_ge_u32 s3, s20
	s_cselect_b32 s18, s11, s2
.LBB45_6:
	s_delay_alu instid0(SALU_CYCLE_1) | instskip(SKIP_3) | instid1(SALU_CYCLE_1)
	s_cmp_eq_u32 s16, s18
	s_mul_hi_u32 s2, s16, s8
	s_cselect_b32 s3, -1, 0
	s_add_i32 s2, s2, s16
	s_lshr_b32 s11, s2, s9
	s_delay_alu instid0(SALU_CYCLE_1) | instskip(NEXT) | instid1(SALU_CYCLE_1)
	s_mul_i32 s2, s11, s10
	s_cmp_eq_u32 s2, s16
	s_mul_hi_u32 s2, s18, s8
	s_cselect_b32 s12, -1, 0
	s_add_i32 s2, s2, s18
	s_delay_alu instid0(SALU_CYCLE_1) | instskip(NEXT) | instid1(SALU_CYCLE_1)
	s_lshr_b32 s2, s2, s9
	s_cmp_eq_u32 s11, s2
	s_mul_i32 s2, s2, s10
	s_cselect_b32 s17, -1, 0
	s_cmp_lg_u32 s2, s18
	s_cselect_b32 s2, -1, 0
	s_or_b32 s3, s3, s12
	s_and_b32 s2, s17, s2
	s_delay_alu instid0(SALU_CYCLE_1) | instskip(NEXT) | instid1(SALU_CYCLE_1)
	s_or_b32 s2, s3, s2
	s_and_b32 vcc_lo, exec_lo, s2
	s_cbranch_vccnz .LBB45_24
; %bb.7:
	s_load_b256 s[24:31], s[0:1], 0x20
	s_waitcnt lgkmcnt(0)
	s_mul_hi_u32 s2, s16, s24
	s_delay_alu instid0(SALU_CYCLE_1) | instskip(NEXT) | instid1(SALU_CYCLE_1)
	s_add_i32 s2, s2, s16
	s_lshr_b32 s17, s2, s25
	s_load_b32 s2, s[0:1], 0x40
	s_mul_i32 s3, s17, s26
	s_delay_alu instid0(SALU_CYCLE_1) | instskip(NEXT) | instid1(SALU_CYCLE_1)
	s_sub_i32 s3, s16, s3
	s_mul_hi_u32 s12, s3, s27
	s_delay_alu instid0(SALU_CYCLE_1) | instskip(NEXT) | instid1(SALU_CYCLE_1)
	s_add_i32 s12, s3, s12
	s_lshr_b32 s19, s12, s28
	s_delay_alu instid0(SALU_CYCLE_1) | instskip(NEXT) | instid1(SALU_CYCLE_1)
	s_mul_i32 s12, s19, s29
	s_sub_i32 s3, s3, s12
	s_delay_alu instid0(SALU_CYCLE_1) | instskip(NEXT) | instid1(SALU_CYCLE_1)
	s_mul_hi_u32 s12, s3, s30
	s_add_i32 s12, s3, s12
	s_delay_alu instid0(SALU_CYCLE_1)
	s_lshr_b32 s12, s12, s31
	s_waitcnt lgkmcnt(0)
	s_mul_i32 s2, s12, s2
	s_lshl_b32 s21, s12, 1
	s_sub_i32 s2, s3, s2
	s_mov_b32 s12, 0
	s_mul_hi_u32 s3, s2, s8
	s_delay_alu instid0(SALU_CYCLE_1) | instskip(NEXT) | instid1(SALU_CYCLE_1)
	s_add_i32 s2, s2, s3
	s_lshr_b32 s18, s2, s9
	s_delay_alu instid0(SALU_CYCLE_1) | instskip(NEXT) | instid1(SALU_CYCLE_1)
	s_lshl_b32 s2, s18, 2
	s_add_i32 s2, s2, s14
	s_delay_alu instid0(SALU_CYCLE_1) | instskip(SKIP_2) | instid1(SALU_CYCLE_1)
	s_cmp_lt_i32 s2, s4
	s_cselect_b32 s2, -1, 0
	s_add_i32 s21, s21, s15
	s_cmp_lt_i32 s21, s6
	s_cselect_b32 s3, -1, 0
	s_delay_alu instid0(SALU_CYCLE_1) | instskip(NEXT) | instid1(SALU_CYCLE_1)
	s_and_b32 s2, s2, s3
	s_and_not1_b32 vcc_lo, exec_lo, s2
	s_cbranch_vccnz .LBB45_24
; %bb.8:
	s_load_b128 s[0:3], s[0:1], 0x0
	s_lshl_b32 s22, s20, 5
	s_mov_b32 s23, s12
	s_lshl_b32 s24, s14, 1
	s_lshl_b64 s[22:23], s[22:23], 2
	s_mul_i32 s19, s19, s6
	s_mul_i32 s4, s17, s4
	s_add_i32 s6, s24, s15
	v_cvt_f32_ubyte0_e32 v3, 0
	v_cvt_f32_u32_e32 v4, s20
	s_waitcnt lgkmcnt(0)
	s_add_u32 s15, s2, s22
	s_addc_u32 s17, s3, s23
	s_add_i32 s4, s4, s14
	s_add_i32 s14, s21, s19
	s_mul_i32 s4, s4, s5
	s_mul_i32 s5, s5, s18
	s_add_i32 s4, s14, s4
	s_mulk_i32 s5, 0xa0
	s_mul_i32 s4, s4, 40
	s_delay_alu instid0(SALU_CYCLE_1) | instskip(NEXT) | instid1(VALU_DEP_1)
	v_add3_u32 v1, s5, s4, v0
	v_ashrrev_i32_e32 v2, 31, v1
	s_delay_alu instid0(VALU_DEP_1) | instskip(NEXT) | instid1(VALU_DEP_1)
	v_lshlrev_b64 v[1:2], 2, v[1:2]
	v_add_co_u32 v1, vcc_lo, s0, v1
	s_delay_alu instid0(VALU_DEP_2) | instskip(SKIP_1) | instid1(SALU_CYCLE_1)
	v_add_co_ci_u32_e32 v2, vcc_lo, s1, v2, vcc_lo
	s_lshl_b32 s0, s13, 3
	s_add_i32 s0, s6, s0
	global_load_b32 v5, v[1:2], off
	s_ashr_i32 s1, s0, 31
	s_delay_alu instid0(SALU_CYCLE_1) | instskip(NEXT) | instid1(SALU_CYCLE_1)
	s_lshl_b64 s[0:1], s[0:1], 3
	s_add_u32 s0, s2, s0
	s_addc_u32 s1, s3, s1
	s_add_i32 s18, s13, -1
	s_load_b64 s[0:1], s[0:1], 0x0
	v_fmac_f32_e32 v4, 0x4f800000, v3
	s_sub_i32 s14, 0, s20
	s_delay_alu instid0(VALU_DEP_1)
	v_rcp_f32_e32 v3, v4
	s_waitcnt_depctr 0xfff
	v_mul_f32_e32 v6, 0x5f7ffffc, v3
	v_cvt_f32_u32_e32 v3, s20
	s_waitcnt lgkmcnt(0)
	v_mov_b32_e32 v8, s0
	s_delay_alu instid0(VALU_DEP_3) | instskip(NEXT) | instid1(VALU_DEP_3)
	v_mul_f32_e32 v4, 0x2f800000, v6
	v_rcp_iflag_f32_e32 v7, v3
	s_delay_alu instid0(VALU_DEP_1) | instskip(SKIP_1) | instid1(VALU_DEP_2)
	v_trunc_f32_e32 v9, v4
	v_mad_u64_u32 v[3:4], null, s6, 40, v[0:1]
	v_fmac_f32_e32 v6, 0xcf800000, v9
	s_waitcnt_depctr 0xfff
	v_dual_mul_f32 v10, 0x4f7ffffe, v7 :: v_dual_mov_b32 v7, s1
	v_cvt_u32_f32_e32 v4, v9
	v_cvt_u32_f32_e32 v0, v6
	s_delay_alu instid0(VALU_DEP_3)
	v_cvt_u32_f32_e32 v6, v10
.LBB45_9:                               ; =>This Inner Loop Header: Depth=1
	s_mul_hi_i32 s13, s18, s7
	s_mul_i32 s4, s18, s7
	s_cmp_lg_u64 s[12:13], 0
	s_mov_b32 s5, -1
                                        ; implicit-def: $sgpr0_sgpr1
	s_cbranch_scc0 .LBB45_11
; %bb.10:                               ;   in Loop: Header=BB45_9 Depth=1
	v_readfirstlane_b32 s0, v0
	v_readfirstlane_b32 s1, v4
	s_sub_u32 s5, 0, s20
	s_subb_u32 s19, 0, 0
	s_delay_alu instid0(VALU_DEP_2) | instskip(NEXT) | instid1(VALU_DEP_1)
	s_mul_hi_u32 s21, s5, s0
	s_mul_i32 s22, s5, s1
	s_mul_i32 s23, s19, s0
	s_add_i32 s21, s21, s22
	s_mul_i32 s22, s5, s0
	s_add_i32 s21, s21, s23
	s_mul_hi_u32 s23, s0, s22
	s_mul_i32 s24, s0, s21
	s_mul_hi_u32 s0, s0, s21
	s_add_u32 s23, s23, s24
	s_mul_i32 s25, s1, s22
	s_addc_u32 s0, 0, s0
	s_mul_hi_u32 s22, s1, s22
	s_mul_hi_u32 s24, s1, s21
	s_add_u32 s23, s23, s25
	s_addc_u32 s0, s0, s22
	s_mul_i32 s21, s1, s21
	s_addc_u32 s22, s24, 0
	s_add_u32 s0, s0, s21
	s_addc_u32 s21, 0, s22
	v_add_co_u32 v9, s0, v0, s0
	s_delay_alu instid0(VALU_DEP_1) | instskip(SKIP_1) | instid1(VALU_DEP_1)
	s_cmp_lg_u32 s0, 0
	s_addc_u32 s1, s1, s21
	v_readfirstlane_b32 s0, v9
	s_mul_i32 s21, s5, s1
	s_delay_alu instid0(VALU_DEP_1)
	s_mul_hi_u32 s22, s5, s0
	s_mul_i32 s19, s19, s0
	s_add_i32 s21, s22, s21
	s_mul_i32 s5, s5, s0
	s_add_i32 s21, s21, s19
	s_mul_hi_u32 s19, s1, s5
	s_mul_i32 s23, s1, s5
	s_mul_i32 s24, s0, s21
	s_mul_hi_u32 s5, s0, s5
	s_mul_hi_u32 s0, s0, s21
	s_add_u32 s5, s5, s24
	s_addc_u32 s0, 0, s0
	s_mul_hi_u32 s22, s1, s21
	s_add_u32 s5, s5, s23
	s_addc_u32 s0, s0, s19
	s_mul_i32 s5, s1, s21
	s_addc_u32 s19, s22, 0
	s_add_u32 s0, s0, s5
	s_addc_u32 s5, 0, s19
	v_add_co_u32 v9, s0, v9, s0
	s_delay_alu instid0(VALU_DEP_1) | instskip(SKIP_2) | instid1(SALU_CYCLE_1)
	s_cmp_lg_u32 s0, 0
	s_addc_u32 s5, s1, s5
	s_ashr_i32 s0, s13, 31
	s_add_u32 s22, s4, s0
	s_addc_u32 s23, s13, s0
	v_readfirstlane_b32 s13, v9
	s_mov_b32 s1, s0
	s_delay_alu instid0(SALU_CYCLE_1) | instskip(NEXT) | instid1(SALU_CYCLE_1)
	s_xor_b64 s[22:23], s[22:23], s[0:1]
	s_mul_i32 s19, s22, s5
	s_delay_alu instid0(VALU_DEP_1)
	s_mul_hi_u32 s21, s22, s13
	s_mul_hi_u32 s24, s22, s5
	s_add_u32 s19, s21, s19
	s_mul_i32 s25, s23, s13
	s_addc_u32 s21, 0, s24
	s_mul_hi_u32 s13, s23, s13
	s_mul_hi_u32 s24, s23, s5
	s_add_u32 s19, s19, s25
	s_addc_u32 s13, s21, s13
	s_mul_i32 s5, s23, s5
	s_addc_u32 s19, s24, 0
	s_add_u32 s5, s13, s5
	s_addc_u32 s13, 0, s19
	s_mul_i32 s21, s20, s5
	s_add_u32 s19, s5, 1
	v_sub_co_u32 v9, s21, s22, s21
	s_addc_u32 s22, s13, 0
	s_mul_i32 s25, s20, s13
	s_mul_hi_u32 s27, s20, s5
	s_delay_alu instid0(VALU_DEP_1)
	v_sub_co_u32 v10, s26, v9, s20
	s_add_u32 s24, s5, 2
	s_addc_u32 s28, s13, 0
	s_add_i32 s27, s27, s25
	s_cmp_lg_u32 s21, 0
	v_readfirstlane_b32 s21, v10
	s_subb_u32 s23, s23, s27
	s_cmp_lg_u32 s26, 0
	s_subb_u32 s25, s23, 0
	s_delay_alu instid0(VALU_DEP_1) | instskip(SKIP_4) | instid1(SALU_CYCLE_1)
	s_cmp_ge_u32 s21, s20
	s_cselect_b32 s21, -1, 0
	s_cmp_eq_u32 s25, 0
	v_readfirstlane_b32 s25, v9
	s_cselect_b32 s21, s21, -1
	s_cmp_lg_u32 s21, 0
	s_cselect_b32 s19, s24, s19
	s_cselect_b32 s21, s28, s22
	s_cmp_ge_u32 s25, s20
	s_cselect_b32 s22, -1, 0
	s_cmp_eq_u32 s23, 0
	s_cselect_b32 s22, s22, -1
	s_delay_alu instid0(SALU_CYCLE_1) | instskip(SKIP_4) | instid1(SALU_CYCLE_1)
	s_cmp_lg_u32 s22, 0
	s_cselect_b32 s23, s21, s13
	s_cselect_b32 s22, s19, s5
	s_mov_b32 s5, 0
	s_xor_b64 s[22:23], s[22:23], s[0:1]
	s_sub_u32 s0, s22, s0
.LBB45_11:                              ;   in Loop: Header=BB45_9 Depth=1
	s_and_not1_b32 vcc_lo, exec_lo, s5
	s_cbranch_vccnz .LBB45_13
; %bb.12:                               ;   in Loop: Header=BB45_9 Depth=1
	v_readfirstlane_b32 s0, v6
	s_delay_alu instid0(VALU_DEP_1) | instskip(NEXT) | instid1(SALU_CYCLE_1)
	s_mul_i32 s1, s14, s0
	s_mul_hi_u32 s1, s0, s1
	s_delay_alu instid0(SALU_CYCLE_1) | instskip(NEXT) | instid1(SALU_CYCLE_1)
	s_add_i32 s0, s0, s1
	s_mul_hi_u32 s0, s4, s0
	s_delay_alu instid0(SALU_CYCLE_1) | instskip(NEXT) | instid1(SALU_CYCLE_1)
	s_mul_i32 s1, s0, s20
	s_sub_i32 s1, s4, s1
	s_add_i32 s4, s0, 1
	s_sub_i32 s5, s1, s20
	s_cmp_ge_u32 s1, s20
	s_cselect_b32 s0, s4, s0
	s_cselect_b32 s1, s5, s1
	s_add_i32 s4, s0, 1
	s_cmp_ge_u32 s1, s20
	s_cselect_b32 s0, s4, s0
.LBB45_13:                              ;   in Loop: Header=BB45_9 Depth=1
	s_delay_alu instid0(SALU_CYCLE_1)
	s_cmp_lg_u32 s16, s0
	s_cbranch_scc0 .LBB45_17
; %bb.14:                               ;   in Loop: Header=BB45_9 Depth=1
	s_add_i32 s1, s18, s20
	s_mov_b32 s5, s12
	s_lshl_b32 s1, s1, 3
	s_mov_b32 s19, s16
	s_add_i32 s4, s1, s6
	s_mul_hi_u32 s1, s0, s8
	s_lshl_b64 s[4:5], s[4:5], 3
	s_delay_alu instid0(SALU_CYCLE_1) | instskip(SKIP_2) | instid1(SALU_CYCLE_1)
	s_add_u32 s4, s2, s4
	s_addc_u32 s5, s3, s5
	s_add_i32 s1, s1, s0
	s_lshr_b32 s1, s1, s9
	s_delay_alu instid0(SALU_CYCLE_1) | instskip(NEXT) | instid1(SALU_CYCLE_1)
	s_mul_i32 s13, s1, s10
	s_cmp_eq_u32 s13, s0
	s_cselect_b32 s13, -1, 0
	s_cmp_lt_u32 s1, s11
	s_cselect_b32 s1, -1, 0
	s_delay_alu instid0(SALU_CYCLE_1)
	s_or_b32 s1, s1, s13
	s_mov_b32 s13, -1
	s_and_b32 vcc_lo, exec_lo, s1
	s_mov_b32 s1, s18
	s_cbranch_vccnz .LBB45_16
; %bb.15:                               ;   in Loop: Header=BB45_9 Depth=1
	s_add_i32 s1, s18, -1
	s_mov_b32 s13, 0
	s_mov_b32 s19, s0
.LBB45_16:                              ;   in Loop: Header=BB45_9 Depth=1
	v_mad_u64_u32 v[9:10], null, 0x140, s18, v[3:4]
	s_load_b64 s[4:5], s[4:5], 0x0
	s_delay_alu instid0(VALU_DEP_1) | instskip(NEXT) | instid1(VALU_DEP_1)
	v_ashrrev_i32_e32 v10, 31, v9
	v_lshlrev_b64 v[9:10], 2, v[9:10]
	s_delay_alu instid0(VALU_DEP_1) | instskip(NEXT) | instid1(VALU_DEP_2)
	v_add_co_u32 v9, vcc_lo, s15, v9
	v_add_co_ci_u32_e32 v10, vcc_lo, s17, v10, vcc_lo
	s_waitcnt lgkmcnt(0)
	v_max_f32_e64 v11, s4, s4
	global_load_b32 v10, v[9:10], off
	v_max_f32_e32 v9, v8, v8
	s_delay_alu instid0(VALU_DEP_1) | instskip(NEXT) | instid1(VALU_DEP_1)
	v_max_f32_e32 v9, v9, v11
	v_sub_f32_e32 v12, v8, v9
	s_delay_alu instid0(VALU_DEP_1) | instskip(NEXT) | instid1(VALU_DEP_1)
	v_dual_mul_f32 v14, 0x3fb8aa3b, v12 :: v_dual_sub_f32 v11, s4, v9
	v_rndne_f32_e32 v18, v14
	s_delay_alu instid0(VALU_DEP_2) | instskip(SKIP_2) | instid1(VALU_DEP_4)
	v_mul_f32_e32 v13, 0x3fb8aa3b, v11
	v_fma_f32 v17, 0x3fb8aa3b, v12, -v14
	v_cmp_ngt_f32_e32 vcc_lo, 0xc2ce8ed0, v11
	v_sub_f32_e32 v14, v14, v18
	s_delay_alu instid0(VALU_DEP_4) | instskip(SKIP_2) | instid1(VALU_DEP_3)
	v_fma_f32 v15, 0x3fb8aa3b, v11, -v13
	v_rndne_f32_e32 v16, v13
	v_fmac_f32_e32 v17, 0x32a5705f, v12
	v_fmac_f32_e32 v15, 0x32a5705f, v11
	s_delay_alu instid0(VALU_DEP_2) | instskip(NEXT) | instid1(VALU_DEP_1)
	v_dual_sub_f32 v13, v13, v16 :: v_dual_add_f32 v14, v14, v17
	v_add_f32_e32 v13, v13, v15
	s_delay_alu instid0(VALU_DEP_2) | instskip(SKIP_2) | instid1(VALU_DEP_3)
	v_exp_f32_e32 v14, v14
	v_cvt_i32_f32_e32 v15, v16
	v_cvt_i32_f32_e32 v16, v18
	v_exp_f32_e32 v13, v13
	s_waitcnt_depctr 0xfff
	v_ldexp_f32 v14, v14, v16
	v_ldexp_f32 v13, v13, v15
	s_delay_alu instid0(VALU_DEP_1) | instskip(SKIP_1) | instid1(VALU_DEP_4)
	v_cndmask_b32_e32 v13, 0, v13, vcc_lo
	v_cmp_ngt_f32_e32 vcc_lo, 0xc2ce8ed0, v12
	v_cndmask_b32_e32 v14, 0, v14, vcc_lo
	v_cmp_nlt_f32_e32 vcc_lo, 0x42b17218, v11
	s_delay_alu instid0(VALU_DEP_4) | instskip(SKIP_1) | instid1(VALU_DEP_4)
	v_cndmask_b32_e32 v13, 0x7f800000, v13, vcc_lo
	v_cmp_nlt_f32_e32 vcc_lo, 0x42b17218, v12
	v_cndmask_b32_e32 v14, 0x7f800000, v14, vcc_lo
	v_cmp_le_f32_e32 vcc_lo, 0xc1a00000, v11
	s_delay_alu instid0(VALU_DEP_4) | instskip(SKIP_1) | instid1(VALU_DEP_4)
	v_cndmask_b32_e32 v11, 0, v13, vcc_lo
	v_cmp_le_f32_e32 vcc_lo, 0xc1a00000, v12
	v_cndmask_b32_e32 v12, 0, v14, vcc_lo
	s_waitcnt vmcnt(0)
	s_delay_alu instid0(VALU_DEP_3) | instskip(NEXT) | instid1(VALU_DEP_1)
	v_mul_f32_e32 v10, v10, v11
	v_dual_mul_f32 v11, s5, v11 :: v_dual_fmac_f32 v10, v5, v12
	s_delay_alu instid0(VALU_DEP_1)
	v_fmac_f32_e32 v11, v7, v12
	s_cbranch_execz .LBB45_18
	s_branch .LBB45_19
.LBB45_17:                              ;   in Loop: Header=BB45_9 Depth=1
                                        ; implicit-def: $sgpr13
                                        ; implicit-def: $vgpr10
                                        ; implicit-def: $vgpr9
                                        ; implicit-def: $vgpr11
                                        ; implicit-def: $sgpr1
                                        ; implicit-def: $sgpr19
.LBB45_18:                              ;   in Loop: Header=BB45_9 Depth=1
	s_waitcnt vmcnt(0)
	v_dual_mov_b32 v11, v7 :: v_dual_mov_b32 v10, v5
	v_mov_b32_e32 v9, v8
	s_add_i32 s1, s18, -1
	s_mov_b32 s13, 0
	s_mov_b32 s19, s16
.LBB45_19:                              ;   in Loop: Header=BB45_9 Depth=1
	s_and_not1_b32 vcc_lo, exec_lo, s13
	s_cbranch_vccz .LBB45_23
; %bb.20:                               ;   in Loop: Header=BB45_9 Depth=1
	v_dual_mov_b32 v7, v11 :: v_dual_mov_b32 v8, v9
	s_waitcnt vmcnt(0)
	v_mov_b32_e32 v5, v10
	s_mov_b32 s16, s19
	s_mov_b32 s18, s1
	s_branch .LBB45_9
.LBB45_21:
                                        ; implicit-def: $sgpr16_sgpr17
	s_load_b128 s[8:11], s[0:1], 0x44
	s_branch .LBB45_2
.LBB45_22:
                                        ; implicit-def: $sgpr18_sgpr19
	s_branch .LBB45_5
.LBB45_23:
	v_div_scale_f32 v0, null, v11, v11, v10
	s_delay_alu instid0(VALU_DEP_1) | instskip(SKIP_2) | instid1(VALU_DEP_1)
	v_rcp_f32_e32 v3, v0
	s_waitcnt_depctr 0xfff
	v_fma_f32 v4, -v0, v3, 1.0
	v_fmac_f32_e32 v3, v4, v3
	v_div_scale_f32 v4, vcc_lo, v10, v11, v10
	s_waitcnt vmcnt(0)
	s_delay_alu instid0(VALU_DEP_1) | instskip(NEXT) | instid1(VALU_DEP_1)
	v_mul_f32_e32 v5, v4, v3
	v_fma_f32 v6, -v0, v5, v4
	s_delay_alu instid0(VALU_DEP_1) | instskip(NEXT) | instid1(VALU_DEP_1)
	v_fmac_f32_e32 v5, v6, v3
	v_fma_f32 v0, -v0, v5, v4
	s_delay_alu instid0(VALU_DEP_1) | instskip(NEXT) | instid1(VALU_DEP_1)
	v_div_fmas_f32 v0, v0, v3, v5
	v_div_fixup_f32 v0, v0, v11, v10
	global_store_b32 v[1:2], v0, off
.LBB45_24:
	s_nop 0
	s_sendmsg sendmsg(MSG_DEALLOC_VGPRS)
	s_endpgm
	.section	.rodata,"a",@progbits
	.p2align	6, 0x0
	.amdhsa_kernel _ZL33flash_attn_stream_k_fixup_generalILi40ELi4ELi2EEvPfPK15HIP_vector_typeIfLj2EEiiiiS1_IjLj3EES5_S5_S5_
		.amdhsa_group_segment_fixed_size 0
		.amdhsa_private_segment_fixed_size 0
		.amdhsa_kernarg_size 336
		.amdhsa_user_sgpr_count 13
		.amdhsa_user_sgpr_dispatch_ptr 0
		.amdhsa_user_sgpr_queue_ptr 0
		.amdhsa_user_sgpr_kernarg_segment_ptr 1
		.amdhsa_user_sgpr_dispatch_id 0
		.amdhsa_user_sgpr_private_segment_size 0
		.amdhsa_wavefront_size32 1
		.amdhsa_uses_dynamic_stack 0
		.amdhsa_enable_private_segment 0
		.amdhsa_system_sgpr_workgroup_id_x 1
		.amdhsa_system_sgpr_workgroup_id_y 1
		.amdhsa_system_sgpr_workgroup_id_z 1
		.amdhsa_system_sgpr_workgroup_info 0
		.amdhsa_system_vgpr_workitem_id 0
		.amdhsa_next_free_vgpr 19
		.amdhsa_next_free_sgpr 32
		.amdhsa_reserve_vcc 1
		.amdhsa_float_round_mode_32 0
		.amdhsa_float_round_mode_16_64 0
		.amdhsa_float_denorm_mode_32 3
		.amdhsa_float_denorm_mode_16_64 3
		.amdhsa_dx10_clamp 1
		.amdhsa_ieee_mode 1
		.amdhsa_fp16_overflow 0
		.amdhsa_workgroup_processor_mode 1
		.amdhsa_memory_ordered 1
		.amdhsa_forward_progress 0
		.amdhsa_shared_vgpr_count 0
		.amdhsa_exception_fp_ieee_invalid_op 0
		.amdhsa_exception_fp_denorm_src 0
		.amdhsa_exception_fp_ieee_div_zero 0
		.amdhsa_exception_fp_ieee_overflow 0
		.amdhsa_exception_fp_ieee_underflow 0
		.amdhsa_exception_fp_ieee_inexact 0
		.amdhsa_exception_int_div_zero 0
	.end_amdhsa_kernel
	.section	.text._ZL33flash_attn_stream_k_fixup_generalILi40ELi4ELi2EEvPfPK15HIP_vector_typeIfLj2EEiiiiS1_IjLj3EES5_S5_S5_,"axG",@progbits,_ZL33flash_attn_stream_k_fixup_generalILi40ELi4ELi2EEvPfPK15HIP_vector_typeIfLj2EEiiiiS1_IjLj3EES5_S5_S5_,comdat
.Lfunc_end45:
	.size	_ZL33flash_attn_stream_k_fixup_generalILi40ELi4ELi2EEvPfPK15HIP_vector_typeIfLj2EEiiiiS1_IjLj3EES5_S5_S5_, .Lfunc_end45-_ZL33flash_attn_stream_k_fixup_generalILi40ELi4ELi2EEvPfPK15HIP_vector_typeIfLj2EEiiiiS1_IjLj3EES5_S5_S5_
                                        ; -- End function
	.section	.AMDGPU.csdata,"",@progbits
; Kernel info:
; codeLenInByte = 3220
; NumSgprs: 34
; NumVgprs: 19
; ScratchSize: 0
; MemoryBound: 0
; FloatMode: 240
; IeeeMode: 1
; LDSByteSize: 0 bytes/workgroup (compile time only)
; SGPRBlocks: 4
; VGPRBlocks: 2
; NumSGPRsForWavesPerEU: 34
; NumVGPRsForWavesPerEU: 19
; Occupancy: 16
; WaveLimiterHint : 0
; COMPUTE_PGM_RSRC2:SCRATCH_EN: 0
; COMPUTE_PGM_RSRC2:USER_SGPR: 13
; COMPUTE_PGM_RSRC2:TRAP_HANDLER: 0
; COMPUTE_PGM_RSRC2:TGID_X_EN: 1
; COMPUTE_PGM_RSRC2:TGID_Y_EN: 1
; COMPUTE_PGM_RSRC2:TGID_Z_EN: 1
; COMPUTE_PGM_RSRC2:TIDIG_COMP_CNT: 0
	.section	.text._ZL15flash_attn_tileILi40ELi40ELi2ELi2ELb0EEvPKcS1_S1_S1_S1_PKiPfP15HIP_vector_typeIfLj2EEffffjfiS5_IjLj3EEiiiiiiiiiiiliiliiiiil,"axG",@progbits,_ZL15flash_attn_tileILi40ELi40ELi2ELi2ELb0EEvPKcS1_S1_S1_S1_PKiPfP15HIP_vector_typeIfLj2EEffffjfiS5_IjLj3EEiiiiiiiiiiiliiliiiiil,comdat
	.globl	_ZL15flash_attn_tileILi40ELi40ELi2ELi2ELb0EEvPKcS1_S1_S1_S1_PKiPfP15HIP_vector_typeIfLj2EEffffjfiS5_IjLj3EEiiiiiiiiiiiliiliiiiil ; -- Begin function _ZL15flash_attn_tileILi40ELi40ELi2ELi2ELb0EEvPKcS1_S1_S1_S1_PKiPfP15HIP_vector_typeIfLj2EEffffjfiS5_IjLj3EEiiiiiiiiiiiliiliiiiil
	.p2align	8
	.type	_ZL15flash_attn_tileILi40ELi40ELi2ELi2ELb0EEvPKcS1_S1_S1_S1_PKiPfP15HIP_vector_typeIfLj2EEffffjfiS5_IjLj3EEiiiiiiiiiiiliiliiiiil,@function
_ZL15flash_attn_tileILi40ELi40ELi2ELi2ELb0EEvPKcS1_S1_S1_S1_PKiPfP15HIP_vector_typeIfLj2EEffffjfiS5_IjLj3EEiiiiiiiiiiiliiliiiiil: ; @_ZL15flash_attn_tileILi40ELi40ELi2ELi2ELb0EEvPKcS1_S1_S1_S1_PKiPfP15HIP_vector_typeIfLj2EEffffjfiS5_IjLj3EEiiiiiiiiiiiliiliiiiil
; %bb.0:
	s_clause 0x1
	s_load_b128 s[4:7], s[0:1], 0x5c
	s_load_b64 s[34:35], s[0:1], 0x80
	s_mov_b64 s[36:37], 0
	s_waitcnt lgkmcnt(0)
	s_lshr_b32 s2, s7, 31
	s_delay_alu instid0(SALU_CYCLE_1) | instskip(NEXT) | instid1(SALU_CYCLE_1)
	s_add_i32 s2, s7, s2
	s_ashr_i32 s2, s2, 1
	s_delay_alu instid0(SALU_CYCLE_1) | instskip(SKIP_1) | instid1(VALU_DEP_1)
	v_cvt_f32_u32_e32 v1, s2
	s_sub_i32 s8, 0, s2
	v_rcp_iflag_f32_e32 v1, v1
	s_waitcnt_depctr 0xfff
	v_mul_f32_e32 v1, 0x4f7ffffe, v1
	s_delay_alu instid0(VALU_DEP_1) | instskip(NEXT) | instid1(VALU_DEP_1)
	v_cvt_u32_f32_e32 v1, v1
	v_readfirstlane_b32 s3, v1
	s_delay_alu instid0(VALU_DEP_1) | instskip(NEXT) | instid1(SALU_CYCLE_1)
	s_mul_i32 s8, s8, s3
	s_mul_hi_u32 s8, s3, s8
	s_delay_alu instid0(SALU_CYCLE_1) | instskip(NEXT) | instid1(SALU_CYCLE_1)
	s_add_i32 s3, s3, s8
	s_mul_hi_u32 s3, s15, s3
	s_delay_alu instid0(SALU_CYCLE_1) | instskip(SKIP_2) | instid1(SALU_CYCLE_1)
	s_mul_i32 s8, s3, s2
	s_add_i32 s9, s3, 1
	s_sub_i32 s8, s15, s8
	s_sub_i32 s10, s8, s2
	s_cmp_ge_u32 s8, s2
	s_cselect_b32 s3, s9, s3
	s_cselect_b32 s8, s10, s8
	s_add_i32 s9, s3, 1
	s_cmp_ge_u32 s8, s2
	s_cselect_b32 s12, s9, s3
	s_abs_i32 s2, s35
	s_abs_i32 s9, s7
	v_cvt_f32_u32_e32 v1, s2
	s_sub_i32 s8, 0, s2
	s_xor_b32 s10, s7, s35
	s_delay_alu instid0(SALU_CYCLE_1) | instskip(NEXT) | instid1(VALU_DEP_1)
	s_ashr_i32 s10, s10, 31
	v_rcp_iflag_f32_e32 v1, v1
	s_waitcnt_depctr 0xfff
	v_mul_f32_e32 v1, 0x4f7ffffe, v1
	s_delay_alu instid0(VALU_DEP_1) | instskip(NEXT) | instid1(VALU_DEP_1)
	v_cvt_u32_f32_e32 v1, v1
	v_readfirstlane_b32 s3, v1
	s_delay_alu instid0(VALU_DEP_1) | instskip(NEXT) | instid1(SALU_CYCLE_1)
	s_mul_i32 s8, s8, s3
	s_mul_hi_u32 s8, s3, s8
	s_delay_alu instid0(SALU_CYCLE_1) | instskip(SKIP_2) | instid1(SALU_CYCLE_1)
	s_add_i32 s3, s3, s8
	s_lshl_b32 s8, s15, 1
	s_mul_hi_u32 s3, s9, s3
	s_mul_i32 s11, s3, s2
	s_delay_alu instid0(SALU_CYCLE_1)
	s_sub_i32 s9, s9, s11
	s_add_i32 s11, s3, 1
	s_sub_i32 s15, s9, s2
	s_cmp_ge_u32 s9, s2
	s_cselect_b32 s3, s11, s3
	s_cselect_b32 s9, s15, s9
	s_add_i32 s11, s3, 1
	s_cmp_ge_u32 s9, s2
	s_mul_i32 s9, s12, s7
	s_cselect_b32 s2, s11, s3
	s_delay_alu instid0(SALU_CYCLE_1) | instskip(NEXT) | instid1(SALU_CYCLE_1)
	s_xor_b32 s2, s2, s10
	s_sub_i32 s35, s2, s10
	s_clause 0x1
	s_load_b512 s[16:31], s[0:1], 0x0
	s_load_b64 s[2:3], s[0:1], 0xb8
	s_abs_i32 s33, s35
	s_delay_alu instid0(SALU_CYCLE_1) | instskip(NEXT) | instid1(VALU_DEP_1)
	v_cvt_f32_u32_e32 v1, s33
	v_rcp_iflag_f32_e32 v1, v1
	s_waitcnt_depctr 0xfff
	v_mul_f32_e32 v1, 0x4f7ffffe, v1
	s_waitcnt lgkmcnt(0)
	s_cmp_eq_u64 s[22:23], 0
	s_delay_alu instid0(VALU_DEP_1) | instskip(NEXT) | instid1(VALU_DEP_1)
	v_cvt_u32_f32_e32 v1, v1
	v_readfirstlane_b32 s38, v1
	s_cbranch_scc1 .LBB46_2
; %bb.1:
	s_abs_i32 s2, s2
	s_abs_i32 s15, s12
	v_cvt_f32_u32_e32 v1, s2
	s_sub_i32 s11, 0, s2
	s_delay_alu instid0(VALU_DEP_1) | instskip(SKIP_2) | instid1(VALU_DEP_1)
	v_rcp_iflag_f32_e32 v1, v1
	s_waitcnt_depctr 0xfff
	v_mul_f32_e32 v1, 0x4f7ffffe, v1
	v_cvt_u32_f32_e32 v1, v1
	s_delay_alu instid0(VALU_DEP_1) | instskip(NEXT) | instid1(VALU_DEP_1)
	v_readfirstlane_b32 s10, v1
	s_mul_i32 s11, s11, s10
	s_delay_alu instid0(SALU_CYCLE_1) | instskip(NEXT) | instid1(SALU_CYCLE_1)
	s_mul_hi_u32 s11, s10, s11
	s_add_i32 s36, s10, s11
	s_load_b64 s[10:11], s[0:1], 0xc8
	s_mul_hi_u32 s36, s15, s36
	s_delay_alu instid0(SALU_CYCLE_1) | instskip(NEXT) | instid1(SALU_CYCLE_1)
	s_mul_i32 s36, s36, s2
	s_sub_i32 s15, s15, s36
	s_ashr_i32 s36, s12, 31
	s_sub_i32 s37, s15, s2
	s_cmp_ge_u32 s15, s2
	s_cselect_b32 s15, s37, s15
	s_delay_alu instid0(SALU_CYCLE_1) | instskip(SKIP_2) | instid1(SALU_CYCLE_1)
	s_sub_i32 s37, s15, s2
	s_cmp_ge_u32 s15, s2
	s_cselect_b32 s2, s37, s15
	s_xor_b32 s2, s2, s36
	s_delay_alu instid0(SALU_CYCLE_1)
	s_sub_i32 s2, s2, s36
	s_waitcnt lgkmcnt(0)
	s_mul_i32 s11, s2, s11
	s_mul_hi_u32 s15, s2, s10
	s_ashr_i32 s36, s2, 31
	s_add_i32 s11, s15, s11
	s_mul_i32 s36, s36, s10
	s_mul_i32 s2, s2, s10
	s_add_i32 s11, s11, s36
	s_add_u32 s36, s22, s2
	s_addc_u32 s37, s23, s11
.LBB46_2:
	v_bfe_u32 v3, v0, 10, 10
	s_lshl_b32 s2, s13, 1
	v_and_b32_e32 v0, 0x3ff, v0
	s_sub_i32 s15, s8, s9
	s_delay_alu instid0(VALU_DEP_2) | instskip(SKIP_1) | instid1(VALU_DEP_2)
	v_lshrrev_b32_e32 v1, 1, v3
	v_and_b32_e32 v12, 1, v3
	v_add_nc_u32_e32 v1, s2, v1
	v_cmp_gt_u32_e64 s2, 20, v0
	s_delay_alu instid0(VALU_DEP_2) | instskip(NEXT) | instid1(VALU_DEP_2)
	v_mul_hi_u32 v4, s4, v1
	s_and_saveexec_b32 s4, s2
	s_cbranch_execz .LBB46_4
; %bb.3:
	s_load_b128 s[8:11], s[0:1], 0x70
	s_delay_alu instid0(VALU_DEP_1) | instskip(NEXT) | instid1(VALU_DEP_1)
	v_add_nc_u32_e32 v2, v1, v4
	v_lshrrev_b32_e32 v2, s5, v2
	s_delay_alu instid0(VALU_DEP_1) | instskip(NEXT) | instid1(VALU_DEP_1)
	v_mul_lo_u32 v2, v2, s6
	v_sub_nc_u32_e32 v9, v1, v2
	s_waitcnt lgkmcnt(0)
	s_mul_i32 s10, s12, s10
	s_mul_i32 s11, s15, s9
	s_ashr_i32 s22, s10, 31
	s_add_u32 s10, s16, s10
	s_addc_u32 s16, s17, s22
	s_ashr_i32 s17, s11, 31
	s_add_u32 s10, s10, s11
	s_addc_u32 s11, s16, s17
	s_ashr_i32 s16, s8, 31
	s_delay_alu instid0(SALU_CYCLE_1) | instskip(SKIP_1) | instid1(SALU_CYCLE_1)
	v_alignbit_b32 v2, s16, s8, 2
	s_ashr_i32 s8, s9, 31
	v_alignbit_b32 v10, s8, s9, 2
	s_lshr_b32 s9, s16, 2
	s_delay_alu instid0(VALU_DEP_2) | instskip(SKIP_1) | instid1(SALU_CYCLE_1)
	v_mad_u64_u32 v[5:6], null, v2, v9, 0
	s_lshr_b32 s8, s8, 2
	v_mul_lo_u32 v8, s8, v12
	s_load_b32 s8, s[0:1], 0x40
	s_delay_alu instid0(VALU_DEP_2) | instskip(NEXT) | instid1(VALU_DEP_1)
	v_mov_b32_e32 v2, v6
	v_mad_u64_u32 v[6:7], null, s9, v9, v[2:3]
	v_mul_lo_u32 v7, v10, v12
	s_delay_alu instid0(VALU_DEP_2) | instskip(NEXT) | instid1(VALU_DEP_2)
	v_lshlrev_b64 v[5:6], 2, v[5:6]
	v_lshlrev_b64 v[7:8], 2, v[7:8]
	s_delay_alu instid0(VALU_DEP_1) | instskip(NEXT) | instid1(VALU_DEP_2)
	v_add_co_u32 v2, vcc_lo, s10, v7
	v_add_co_ci_u32_e32 v7, vcc_lo, s11, v8, vcc_lo
	v_lshlrev_b32_e32 v8, 3, v0
	s_delay_alu instid0(VALU_DEP_3) | instskip(NEXT) | instid1(VALU_DEP_3)
	v_add_co_u32 v2, vcc_lo, v2, v5
	v_add_co_ci_u32_e32 v6, vcc_lo, v7, v6, vcc_lo
	s_delay_alu instid0(VALU_DEP_2) | instskip(NEXT) | instid1(VALU_DEP_2)
	v_add_co_u32 v5, vcc_lo, v2, v8
	v_add_co_ci_u32_e32 v6, vcc_lo, 0, v6, vcc_lo
	global_load_b64 v[5:6], v[5:6], off
	s_waitcnt vmcnt(0) lgkmcnt(0)
	v_fma_mixlo_f16 v2, v5, s8, 0
	v_mul_u32_u24_e32 v5, 20, v3
	s_delay_alu instid0(VALU_DEP_2) | instskip(NEXT) | instid1(VALU_DEP_2)
	v_fma_mixhi_f16 v2, v6, s8, 0
	v_add_lshl_u32 v5, v5, v0, 2
	ds_store_b32 v5, v2 offset:3168
.LBB46_4:
	s_or_b32 exec_lo, exec_lo, s4
	s_cmp_eq_u64 s[26:27], 0
	s_waitcnt lgkmcnt(0)
	s_barrier
	buffer_gl0_inv
	s_cbranch_scc1 .LBB46_6
; %bb.5:
	s_load_b32 s4, s[0:1], 0xd0
	s_mov_b32 s9, 0
	s_waitcnt lgkmcnt(0)
	s_mul_i32 s4, s4, s12
	s_delay_alu instid0(SALU_CYCLE_1) | instskip(NEXT) | instid1(SALU_CYCLE_1)
	s_add_i32 s8, s4, s13
	s_lshl_b64 s[8:9], s[8:9], 2
	s_delay_alu instid0(SALU_CYCLE_1)
	s_add_u32 s8, s26, s8
	s_addc_u32 s9, s27, s9
	s_load_b32 s34, s[8:9], 0x0
.LBB46_6:
	v_mbcnt_lo_u32_b32 v13, -1, 0
	s_lshl_b32 s13, s14, 5
	s_waitcnt lgkmcnt(0)
	s_cmp_lt_i32 s13, s34
	s_cbranch_scc1 .LBB46_8
; %bb.7:
	v_mbcnt_lo_u32_b32 v5, -1, 0
	v_mov_b32_e32 v15, 32
	s_mov_b32 s4, 0
	s_mov_b32 s8, 0xfeffffff
	s_delay_alu instid0(VALU_DEP_2)
	v_xor_b32_e32 v20, 16, v5
	v_xor_b32_e32 v19, 8, v5
	;; [unrolled: 1-line block ×5, first 2 shown]
	s_branch .LBB46_9
.LBB46_8:
	s_mov_b32 s4, -1
                                        ; implicit-def: $sgpr8
                                        ; implicit-def: $vgpr5
                                        ; implicit-def: $vgpr15
                                        ; implicit-def: $vgpr20
                                        ; implicit-def: $vgpr19
                                        ; implicit-def: $vgpr18
                                        ; implicit-def: $vgpr17
                                        ; implicit-def: $vgpr16
.LBB46_9:
	s_delay_alu instid0(SALU_CYCLE_1) | instskip(SKIP_1) | instid1(VALU_DEP_2)
	v_cndmask_b32_e64 v2, 0, 1, s4
	v_dual_mov_b32 v14, s4 :: v_dual_mov_b32 v33, s4
	v_cmp_ne_u32_e32 vcc_lo, 1, v2
	v_mov_b32_e32 v2, s8
	s_cbranch_vccnz .LBB46_18
; %bb.10:
	s_clause 0x1
	s_load_b64 s[16:17], s[0:1], 0x8c
	s_load_b128 s[8:11], s[0:1], 0x98
	s_sub_i32 s4, 0, s33
	v_dual_mov_b32 v14, 0 :: v_dual_lshlrev_b32 v21, 2, v0
	s_mul_i32 s4, s4, s38
	s_abs_i32 s26, s15
	s_mul_hi_u32 s4, s38, s4
	v_add_nc_u32_e32 v4, v1, v4
	s_add_i32 s38, s38, s4
	v_dual_mov_b32 v32, 0xfeffffff :: v_dual_and_b32 v15, 12, v21
	s_mul_hi_u32 s4, s26, s38
	s_ashr_i32 s38, s12, 31
	s_ashr_i32 s27, s15, 31
	;; [unrolled: 1-line block ×3, first 2 shown]
	s_load_b64 s[22:23], s[0:1], 0xa8
	s_ashr_i32 s3, s3, 1
	s_mul_i32 s39, s4, s33
	v_lshrrev_b32_e32 v2, 2, v0
	s_waitcnt lgkmcnt(0)
	s_ashr_i32 s16, s16, 2
	s_mul_i32 s9, s12, s9
	s_mul_hi_u32 s40, s12, s8
	s_mul_i32 s41, s38, s8
	s_add_i32 s9, s40, s9
	s_mul_i32 s8, s12, s8
	s_ashr_i32 s10, s10, 2
	s_add_i32 s9, s9, s41
	s_add_u32 s8, s18, s8
	s_addc_u32 s9, s19, s9
	s_sub_i32 s19, s26, s39
	v_dual_mov_b32 v31, 0 :: v_dual_lshlrev_b32 v16, 2, v15
	v_dual_mov_b32 v15, 32 :: v_dual_lshlrev_b32 v30, 2, v15
	v_lshrrev_b32_e32 v4, s5, v4
	s_xor_b32 s18, s27, s35
	s_add_i32 s26, s4, 1
	s_sub_i32 s27, s19, s33
	s_cmp_ge_u32 s19, s33
	v_lshl_add_u32 v2, v3, 3, v2
	s_cselect_b32 s4, s26, s4
	s_cselect_b32 s19, s27, s19
	v_lshl_add_u32 v5, v3, 5, v0
	v_mul_lo_u32 v4, v4, s6
	s_add_i32 s26, s4, 1
	s_cmp_ge_u32 s19, s33
	v_mul_lo_u32 v6, s16, v2
	s_cselect_b32 s4, s26, s4
	v_mul_lo_u32 v8, s16, v5
	v_mul_lo_u32 v10, s10, v5
	;; [unrolled: 1-line block ×3, first 2 shown]
	s_xor_b32 s4, s4, s18
	v_sub_nc_u32_e32 v11, v1, v4
	s_sub_i32 s4, s4, s18
	s_mul_i32 s19, s12, s23
	s_mul_i32 s17, s4, s17
	s_mul_hi_u32 s18, s12, s22
	s_ashr_i32 s23, s17, 31
	s_add_u32 s8, s8, s17
	v_cmp_gt_u32_e32 vcc_lo, 32, v5
	v_ashrrev_i32_e32 v7, 31, v6
	v_mul_u32_u24_e32 v24, 0x50, v3
	v_mad_u32_u24 v25, 0x60, v5, 64
	v_lshl_add_u32 v26, v3, 6, 0xda0
	v_lshlrev_b32_e32 v5, 4, v5
	v_ashrrev_i32_e32 v9, 31, v8
	v_mad_u64_u32 v[3:4], null, v11, s3, v[0:1]
	v_ashrrev_i32_e32 v11, 31, v10
	v_ashrrev_i32_e32 v34, 31, v33
	s_mul_i32 s38, s38, s22
	s_addc_u32 s9, s9, s23
	s_add_i32 s17, s18, s19
	s_mul_i32 s18, s12, s22
	s_add_i32 s17, s17, s38
	s_mul_i32 s4, s4, s11
	s_add_u32 s18, s20, s18
	s_addc_u32 s17, s21, s17
	s_ashr_i32 s5, s4, 31
	v_sub_nc_u32_e32 v28, v25, v5
	v_lshlrev_b64 v[4:5], 2, v[8:9]
	v_lshlrev_b64 v[6:7], 2, v[6:7]
	;; [unrolled: 1-line block ×4, first 2 shown]
	s_add_u32 s11, s18, s4
	v_mad_u32_u24 v22, 0x60, v2, v16
	v_mul_u32_u24_e32 v23, 0x60, v0
	v_lshl_add_u32 v27, v0, 1, v26
	v_mad_u32_u24 v29, 0x50, v2, v16
	v_xor_b32_e32 v20, 16, v13
	v_xor_b32_e32 v19, 8, v13
	;; [unrolled: 1-line block ×5, first 2 shown]
	s_addc_u32 s17, s17, s5
	s_add_u32 s4, s0, 0xd0
	s_addc_u32 s5, s1, 0
.LBB46_11:                              ; =>This Inner Loop Header: Depth=1
	s_mul_hi_i32 s19, s13, s16
	s_mul_i32 s18, s13, s16
	s_delay_alu instid0(SALU_CYCLE_1) | instskip(NEXT) | instid1(SALU_CYCLE_1)
	s_lshl_b64 s[18:19], s[18:19], 2
	s_add_u32 s18, s8, s18
	s_addc_u32 s19, s9, s19
	s_and_saveexec_b32 s20, vcc_lo
	s_cbranch_execz .LBB46_13
; %bb.12:                               ;   in Loop: Header=BB46_11 Depth=1
	v_add_co_u32 v33, s3, s18, v4
	s_delay_alu instid0(VALU_DEP_1)
	v_add_co_ci_u32_e64 v34, s3, s19, v5, s3
	global_load_b128 v[33:36], v[33:34], off offset:64
	s_waitcnt vmcnt(0)
	ds_store_b128 v25, v[33:36]
.LBB46_13:                              ;   in Loop: Header=BB46_11 Depth=1
	s_or_b32 exec_lo, exec_lo, s20
	v_add_co_u32 v2, s3, s18, v6
	s_delay_alu instid0(VALU_DEP_1) | instskip(SKIP_1) | instid1(VALU_DEP_2)
	v_add_co_ci_u32_e64 v34, s3, s19, v7, s3
	s_mul_hi_i32 s19, s13, s10
	v_add_co_u32 v33, s3, v2, v30
	s_delay_alu instid0(VALU_DEP_1)
	v_add_co_ci_u32_e64 v34, s3, 0, v34, s3
	v_dual_mov_b32 v2, 0 :: v_dual_add_nc_u32 v41, s13, v3
	s_mul_i32 s18, s13, s10
	global_load_b128 v[33:36], v[33:34], off
	s_lshl_b64 s[18:19], s[18:19], 2
	v_ashrrev_i32_e32 v42, 31, v41
	s_add_u32 s18, s11, s18
	s_addc_u32 s19, s17, s19
	s_delay_alu instid0(VALU_DEP_1) | instskip(NEXT) | instid1(VALU_DEP_1)
	v_lshlrev_b64 v[41:42], 1, v[41:42]
	v_add_co_u32 v41, s3, s36, v41
	s_delay_alu instid0(VALU_DEP_1)
	v_add_co_ci_u32_e64 v42, s3, s37, v42, s3
	v_cmp_gt_i32_e64 s3, 32, v20
	s_waitcnt vmcnt(0)
	ds_store_b128 v22, v[33:36]
	s_waitcnt lgkmcnt(0)
	s_barrier
	buffer_gl0_inv
	ds_load_b128 v[33:36], v23
	ds_load_b128 v[37:40], v24 offset:3168
	s_waitcnt lgkmcnt(0)
	;;#ASMSTART
	v_dot2_f32_f16 v2, v33, v37, v2
	;;#ASMEND
	;;#ASMSTART
	v_dot2_f32_f16 v2, v34, v38, v2
	;;#ASMEND
	;;#ASMSTART
	v_dot2_f32_f16 v2, v35, v39, v2
	;;#ASMEND
	;;#ASMSTART
	v_dot2_f32_f16 v2, v36, v40, v2
	;;#ASMEND
	ds_load_b128 v[33:36], v23 offset:16
	ds_load_b128 v[37:40], v24 offset:3184
	s_waitcnt lgkmcnt(0)
	;;#ASMSTART
	v_dot2_f32_f16 v2, v33, v37, v2
	;;#ASMEND
	;;#ASMSTART
	v_dot2_f32_f16 v2, v34, v38, v2
	;;#ASMEND
	;;#ASMSTART
	v_dot2_f32_f16 v2, v35, v39, v2
	;;#ASMEND
	;;#ASMSTART
	v_dot2_f32_f16 v2, v36, v40, v2
	;;#ASMEND
	ds_load_b128 v[33:36], v23 offset:32
	;; [unrolled: 15-line block ×4, first 2 shown]
	ds_load_b128 v[37:40], v24 offset:3232
	s_waitcnt lgkmcnt(0)
	;;#ASMSTART
	v_dot2_f32_f16 v2, v33, v37, v2
	;;#ASMEND
	;;#ASMSTART
	v_dot2_f32_f16 v2, v34, v38, v2
	;;#ASMEND
	;; [unrolled: 3-line block ×4, first 2 shown]
	flat_load_u16 v33, v[41:42]
	v_cndmask_b32_e64 v34, v13, v20, s3
	v_cmp_gt_i32_e64 s3, 32, v19
	s_waitcnt vmcnt(0) lgkmcnt(0)
	s_barrier
	buffer_gl0_inv
	v_lshlrev_b32_e32 v34, 2, v34
	v_cvt_f32_f16_e32 v33, v33
	s_delay_alu instid0(VALU_DEP_1) | instskip(NEXT) | instid1(VALU_DEP_1)
	v_dual_add_f32 v33, v2, v33 :: v_dual_max_f32 v2, v32, v32
	v_add_f32_e32 v35, 0x40051340, v33
	s_delay_alu instid0(VALU_DEP_1)
	v_max_f32_e32 v2, v2, v35
	v_cndmask_b32_e64 v35, v13, v19, s3
	v_cmp_gt_i32_e64 s3, 32, v18
	ds_bpermute_b32 v34, v34, v2
	s_waitcnt lgkmcnt(0)
	v_dual_max_f32 v34, v34, v34 :: v_dual_lshlrev_b32 v35, 2, v35
	s_delay_alu instid0(VALU_DEP_1) | instskip(SKIP_4) | instid1(VALU_DEP_2)
	v_max_f32_e32 v2, v2, v34
	ds_bpermute_b32 v34, v35, v2
	v_cndmask_b32_e64 v35, v13, v18, s3
	v_cmp_gt_i32_e64 s3, 32, v17
	s_waitcnt lgkmcnt(0)
	v_dual_max_f32 v34, v34, v34 :: v_dual_lshlrev_b32 v35, 2, v35
	s_delay_alu instid0(VALU_DEP_1) | instskip(SKIP_4) | instid1(VALU_DEP_2)
	v_max_f32_e32 v2, v2, v34
	ds_bpermute_b32 v34, v35, v2
	v_cndmask_b32_e64 v35, v13, v17, s3
	v_cmp_gt_i32_e64 s3, 32, v16
	s_waitcnt lgkmcnt(0)
	v_dual_max_f32 v34, v34, v34 :: v_dual_lshlrev_b32 v35, 2, v35
	s_delay_alu instid0(VALU_DEP_1) | instskip(SKIP_3) | instid1(VALU_DEP_1)
	v_max_f32_e32 v2, v2, v34
	ds_bpermute_b32 v34, v35, v2
	v_cndmask_b32_e64 v35, v13, v16, s3
	s_waitcnt lgkmcnt(0)
	v_dual_max_f32 v34, v34, v34 :: v_dual_lshlrev_b32 v35, 2, v35
	s_delay_alu instid0(VALU_DEP_1) | instskip(SKIP_3) | instid1(VALU_DEP_1)
	v_max_f32_e32 v2, v2, v34
	ds_bpermute_b32 v34, v35, v2
	s_waitcnt lgkmcnt(0)
	v_max_f32_e32 v34, v34, v34
	v_max_f32_e32 v2, v2, v34
	s_delay_alu instid0(VALU_DEP_1) | instskip(NEXT) | instid1(VALU_DEP_1)
	v_sub_f32_e32 v33, v33, v2
	v_mul_f32_e32 v34, 0x3fb8aa3b, v33
	s_delay_alu instid0(VALU_DEP_1) | instskip(SKIP_1) | instid1(VALU_DEP_1)
	v_fma_f32 v35, 0x3fb8aa3b, v33, -v34
	v_rndne_f32_e32 v36, v34
	v_dual_sub_f32 v34, v34, v36 :: v_dual_fmac_f32 v35, 0x32a5705f, v33
	v_cmp_ngt_f32_e64 s3, 0xc2ce8ed0, v33
	s_delay_alu instid0(VALU_DEP_2) | instskip(SKIP_1) | instid1(VALU_DEP_2)
	v_add_f32_e32 v34, v34, v35
	v_cvt_i32_f32_e32 v35, v36
	v_exp_f32_e32 v34, v34
	s_waitcnt_depctr 0xfff
	v_ldexp_f32 v34, v34, v35
	s_delay_alu instid0(VALU_DEP_1) | instskip(SKIP_1) | instid1(VALU_DEP_1)
	v_cndmask_b32_e64 v34, 0, v34, s3
	v_cmp_nlt_f32_e64 s3, 0x42b17218, v33
	v_cndmask_b32_e64 v33, 0x7f800000, v34, s3
	s_delay_alu instid0(VALU_DEP_1)
	v_cvt_f16_f32_e32 v34, v33
	ds_store_b16 v27, v34
	s_and_saveexec_b32 s20, vcc_lo
	s_cbranch_execz .LBB46_15
; %bb.14:                               ;   in Loop: Header=BB46_11 Depth=1
	v_add_co_u32 v34, s3, s18, v8
	s_delay_alu instid0(VALU_DEP_1)
	v_add_co_ci_u32_e64 v35, s3, s19, v9, s3
	global_load_b128 v[34:37], v[34:35], off offset:64
	s_waitcnt vmcnt(0)
	ds_store_b128 v28, v[34:37]
.LBB46_15:                              ;   in Loop: Header=BB46_11 Depth=1
	s_or_b32 exec_lo, exec_lo, s20
	v_add_co_u32 v34, s3, s18, v10
	s_delay_alu instid0(VALU_DEP_1) | instskip(SKIP_1) | instid1(VALU_DEP_3)
	v_add_co_ci_u32_e64 v35, s3, s19, v11, s3
	v_sub_f32_e32 v32, v32, v2
	v_add_co_u32 v34, s3, v34, v30
	s_delay_alu instid0(VALU_DEP_1) | instskip(NEXT) | instid1(VALU_DEP_3)
	v_add_co_ci_u32_e64 v35, s3, 0, v35, s3
	v_mul_f32_e32 v38, 0x3fb8aa3b, v32
	v_cmp_ngt_f32_e64 s3, 0xc2ce8ed0, v32
	global_load_b128 v[34:37], v[34:35], off
	v_fma_f32 v39, 0x3fb8aa3b, v32, -v38
	v_rndne_f32_e32 v40, v38
	s_delay_alu instid0(VALU_DEP_2) | instskip(NEXT) | instid1(VALU_DEP_2)
	v_fmac_f32_e32 v39, 0x32a5705f, v32
	v_sub_f32_e32 v38, v38, v40
	s_delay_alu instid0(VALU_DEP_1) | instskip(SKIP_1) | instid1(VALU_DEP_2)
	v_add_f32_e32 v38, v38, v39
	v_cvt_i32_f32_e32 v39, v40
	v_exp_f32_e32 v38, v38
	s_waitcnt_depctr 0xfff
	v_ldexp_f32 v38, v38, v39
	s_delay_alu instid0(VALU_DEP_1) | instskip(SKIP_1) | instid1(VALU_DEP_1)
	v_cndmask_b32_e64 v38, 0, v38, s3
	v_cmp_nlt_f32_e64 s3, 0x42b17218, v32
	v_cndmask_b32_e64 v32, 0x7f800000, v38, s3
	s_delay_alu instid0(VALU_DEP_1)
	v_fmac_f32_e32 v33, v31, v32
	v_cvt_f16_f32_e32 v48, v32
	s_waitcnt vmcnt(0)
	ds_store_b128 v29, v[34:37]
	s_waitcnt lgkmcnt(0)
	s_barrier
	buffer_gl0_inv
	ds_load_2addr_b32 v[42:43], v21 offset1:20
	ds_load_b128 v[34:37], v26
	ds_load_2addr_b32 v[44:45], v21 offset0:40 offset1:60
	ds_load_2addr_b32 v[46:47], v21 offset0:80 offset1:100
	ds_load_b128 v[38:41], v26 offset:16
	s_waitcnt lgkmcnt(3)
	v_pk_mul_f16 v42, v42, v34 op_sel_hi:[1,0]
	s_delay_alu instid0(VALU_DEP_1) | instskip(SKIP_1) | instid1(VALU_DEP_2)
	v_pk_fma_f16 v14, v14, v48, v42 op_sel_hi:[1,0,1]
	v_add_nc_u32_e32 v48, 0x400, v21
	v_pk_fma_f16 v14, v43, v34, v14 op_sel:[0,1,0]
	ds_load_2addr_b32 v[42:43], v21 offset0:120 offset1:140
	s_waitcnt lgkmcnt(3)
	v_pk_fma_f16 v14, v44, v35, v14 op_sel_hi:[1,0,1]
	s_delay_alu instid0(VALU_DEP_1) | instskip(SKIP_4) | instid1(VALU_DEP_1)
	v_pk_fma_f16 v14, v45, v35, v14 op_sel:[0,1,0]
	ds_load_2addr_b32 v[34:35], v21 offset0:160 offset1:180
	ds_load_2addr_b32 v[44:45], v21 offset0:200 offset1:220
	s_waitcnt lgkmcnt(4)
	v_pk_fma_f16 v14, v46, v36, v14 op_sel_hi:[1,0,1]
	v_pk_fma_f16 v14, v47, v36, v14 op_sel:[0,1,0]
	v_add_nc_u32_e32 v36, 0x200, v21
	ds_load_2addr_b32 v[46:47], v48 offset0:24 offset1:44
	s_waitcnt lgkmcnt(3)
	v_pk_fma_f16 v14, v42, v37, v14 op_sel_hi:[1,0,1]
	s_delay_alu instid0(VALU_DEP_1) | instskip(SKIP_3) | instid1(VALU_DEP_1)
	v_pk_fma_f16 v14, v43, v37, v14 op_sel:[0,1,0]
	ds_load_2addr_b32 v[42:43], v36 offset0:112 offset1:132
	s_waitcnt lgkmcnt(3)
	v_pk_fma_f16 v14, v34, v38, v14 op_sel_hi:[1,0,1]
	v_pk_fma_f16 v14, v35, v38, v14 op_sel:[0,1,0]
	ds_load_b128 v[34:37], v26 offset:32
	s_waitcnt lgkmcnt(3)
	v_pk_fma_f16 v14, v44, v39, v14 op_sel_hi:[1,0,1]
	s_delay_alu instid0(VALU_DEP_1) | instskip(SKIP_3) | instid1(VALU_DEP_1)
	v_pk_fma_f16 v14, v45, v39, v14 op_sel:[0,1,0]
	ds_load_2addr_b32 v[44:45], v48 offset0:64 offset1:84
	s_waitcnt lgkmcnt(2)
	v_pk_fma_f16 v14, v42, v40, v14 op_sel_hi:[1,0,1]
	v_pk_fma_f16 v14, v43, v40, v14 op_sel:[0,1,0]
	ds_load_2addr_b32 v[42:43], v48 offset0:104 offset1:124
	v_pk_fma_f16 v14, v46, v41, v14 op_sel_hi:[1,0,1]
	s_delay_alu instid0(VALU_DEP_1) | instskip(SKIP_4) | instid1(VALU_DEP_1)
	v_pk_fma_f16 v14, v47, v41, v14 op_sel:[0,1,0]
	ds_load_b128 v[38:41], v26 offset:48
	ds_load_2addr_b32 v[46:47], v48 offset0:144 offset1:164
	s_waitcnt lgkmcnt(3)
	v_pk_fma_f16 v14, v44, v34, v14 op_sel_hi:[1,0,1]
	v_pk_fma_f16 v14, v45, v34, v14 op_sel:[0,1,0]
	ds_load_2addr_b32 v[44:45], v48 offset0:184 offset1:204
	s_waitcnt lgkmcnt(3)
	v_pk_fma_f16 v14, v42, v35, v14 op_sel_hi:[1,0,1]
	s_delay_alu instid0(VALU_DEP_1) | instskip(SKIP_4) | instid1(VALU_DEP_2)
	v_pk_fma_f16 v14, v43, v35, v14 op_sel:[0,1,0]
	ds_load_2addr_b32 v[34:35], v48 offset0:224 offset1:244
	s_waitcnt lgkmcnt(2)
	v_pk_fma_f16 v14, v46, v36, v14 op_sel_hi:[1,0,1]
	v_add_nc_u32_e32 v46, 0x800, v21
	v_pk_fma_f16 v14, v47, v36, v14 op_sel:[0,1,0]
	ds_load_2addr_b32 v[42:43], v46 offset0:8 offset1:28
	s_waitcnt lgkmcnt(2)
	v_pk_fma_f16 v14, v44, v37, v14 op_sel_hi:[1,0,1]
	s_delay_alu instid0(VALU_DEP_1) | instskip(SKIP_3) | instid1(VALU_DEP_1)
	v_pk_fma_f16 v14, v45, v37, v14 op_sel:[0,1,0]
	ds_load_2addr_b32 v[36:37], v46 offset0:48 offset1:68
	s_waitcnt lgkmcnt(2)
	v_pk_fma_f16 v14, v34, v38, v14 op_sel_hi:[1,0,1]
	v_pk_fma_f16 v14, v35, v38, v14 op_sel:[0,1,0]
	ds_load_2addr_b32 v[34:35], v46 offset0:88 offset1:108
	s_waitcnt lgkmcnt(0)
	s_barrier
	buffer_gl0_inv
	v_pk_fma_f16 v14, v42, v39, v14 op_sel_hi:[1,0,1]
	s_load_b32 s3, s[4:5], 0x4
	s_delay_alu instid0(VALU_DEP_1) | instskip(NEXT) | instid1(VALU_DEP_1)
	v_pk_fma_f16 v14, v43, v39, v14 op_sel:[0,1,0]
	v_pk_fma_f16 v14, v36, v40, v14 op_sel_hi:[1,0,1]
	s_delay_alu instid0(VALU_DEP_1) | instskip(NEXT) | instid1(VALU_DEP_1)
	v_pk_fma_f16 v14, v37, v40, v14 op_sel:[0,1,0]
	v_pk_fma_f16 v14, v34, v41, v14 op_sel_hi:[1,0,1]
	s_waitcnt lgkmcnt(0)
	s_lshl_b32 s3, s3, 5
	s_delay_alu instid0(SALU_CYCLE_1) | instskip(NEXT) | instid1(VALU_DEP_1)
	s_add_i32 s13, s3, s13
	v_pk_fma_f16 v14, v35, v41, v14 op_sel:[0,1,0]
	s_cmp_lt_i32 s13, s34
	s_cbranch_scc0 .LBB46_17
; %bb.16:                               ;   in Loop: Header=BB46_11 Depth=1
	v_dual_mov_b32 v32, v2 :: v_dual_mov_b32 v31, v33
	s_branch .LBB46_11
.LBB46_17:
	v_mov_b32_e32 v5, v13
.LBB46_18:
	v_cmp_lt_i32_e32 vcc_lo, v20, v15
	s_cmp_eq_u64 s[24:25], 0
	s_cselect_b32 s3, -1, 0
	s_cmp_lg_u32 s14, 0
	v_cndmask_b32_e32 v3, v5, v20, vcc_lo
	v_cmp_lt_i32_e32 vcc_lo, v19, v15
	s_cselect_b32 s4, -1, 0
	s_delay_alu instid0(SALU_CYCLE_1) | instskip(SKIP_4) | instid1(VALU_DEP_2)
	s_or_b32 s3, s4, s3
	v_cndmask_b32_e32 v4, v5, v19, vcc_lo
	v_cmp_lt_i32_e32 vcc_lo, v18, v15
	v_cndmask_b32_e32 v6, v5, v18, vcc_lo
	v_cmp_lt_i32_e32 vcc_lo, v17, v15
	v_lshlrev_b32_e32 v6, 2, v6
	v_lshlrev_b32_e32 v3, 2, v3
	ds_bpermute_b32 v3, v3, v33
	s_waitcnt lgkmcnt(0)
	v_dual_add_f32 v3, v33, v3 :: v_dual_lshlrev_b32 v4, 2, v4
	ds_bpermute_b32 v4, v4, v3
	s_waitcnt lgkmcnt(0)
	v_add_f32_e32 v3, v3, v4
	ds_bpermute_b32 v4, v6, v3
	v_cndmask_b32_e32 v6, v5, v17, vcc_lo
	v_cmp_lt_i32_e32 vcc_lo, v16, v15
	s_delay_alu instid0(VALU_DEP_2) | instskip(SKIP_1) | instid1(VALU_DEP_1)
	v_dual_cndmask_b32 v5, v5, v16 :: v_dual_lshlrev_b32 v6, 2, v6
	s_and_b32 vcc_lo, exec_lo, s3
	v_lshlrev_b32_e32 v5, 2, v5
	s_waitcnt lgkmcnt(0)
	v_add_f32_e32 v3, v3, v4
	ds_bpermute_b32 v4, v6, v3
	s_waitcnt lgkmcnt(0)
	v_add_f32_e32 v3, v3, v4
	ds_bpermute_b32 v4, v5, v3
	s_waitcnt lgkmcnt(0)
	v_add_f32_e32 v3, v3, v4
	s_cbranch_vccnz .LBB46_20
; %bb.19:
	v_add_nc_u32_e32 v4, s15, v12
	s_delay_alu instid0(VALU_DEP_1) | instskip(NEXT) | instid1(VALU_DEP_1)
	v_ashrrev_i32_e32 v5, 31, v4
	v_lshlrev_b64 v[4:5], 2, v[4:5]
	s_delay_alu instid0(VALU_DEP_1) | instskip(NEXT) | instid1(VALU_DEP_2)
	v_add_co_u32 v4, vcc_lo, s24, v4
	v_add_co_ci_u32_e32 v5, vcc_lo, s25, v5, vcc_lo
	global_load_b32 v4, v[4:5], off
	s_waitcnt vmcnt(0)
	v_dual_max_f32 v5, v2, v2 :: v_dual_max_f32 v6, v4, v4
	s_delay_alu instid0(VALU_DEP_1) | instskip(NEXT) | instid1(VALU_DEP_1)
	v_max_f32_e32 v5, v5, v6
	v_sub_f32_e32 v2, v2, v5
	s_delay_alu instid0(VALU_DEP_1) | instskip(NEXT) | instid1(VALU_DEP_1)
	v_mul_f32_e32 v6, 0x3fb8aa3b, v2
	v_rndne_f32_e32 v9, v6
	v_fma_f32 v8, 0x3fb8aa3b, v2, -v6
	s_delay_alu instid0(VALU_DEP_2) | instskip(SKIP_1) | instid1(VALU_DEP_1)
	v_sub_f32_e32 v6, v6, v9
	v_sub_f32_e32 v4, v4, v5
	v_mul_f32_e32 v7, 0x3fb8aa3b, v4
	s_delay_alu instid0(VALU_DEP_4) | instskip(SKIP_1) | instid1(VALU_DEP_3)
	v_fmac_f32_e32 v8, 0x32a5705f, v2
	v_cmp_ngt_f32_e32 vcc_lo, 0xc2ce8ed0, v2
	v_fma_f32 v10, 0x3fb8aa3b, v4, -v7
	v_rndne_f32_e32 v11, v7
	s_delay_alu instid0(VALU_DEP_4) | instskip(SKIP_1) | instid1(VALU_DEP_3)
	v_add_f32_e32 v6, v6, v8
	v_cvt_i32_f32_e32 v8, v9
	v_dual_fmac_f32 v10, 0x32a5705f, v4 :: v_dual_sub_f32 v7, v7, v11
	s_delay_alu instid0(VALU_DEP_3) | instskip(SKIP_1) | instid1(VALU_DEP_2)
	v_exp_f32_e32 v6, v6
	v_cvt_i32_f32_e32 v9, v11
	v_add_f32_e32 v7, v7, v10
	s_delay_alu instid0(VALU_DEP_1) | instskip(SKIP_2) | instid1(VALU_DEP_1)
	v_exp_f32_e32 v7, v7
	s_waitcnt_depctr 0xfff
	v_ldexp_f32 v6, v6, v8
	v_cndmask_b32_e32 v6, 0, v6, vcc_lo
	v_cmp_ngt_f32_e32 vcc_lo, 0xc2ce8ed0, v4
	v_ldexp_f32 v7, v7, v9
	s_delay_alu instid0(VALU_DEP_1) | instskip(SKIP_3) | instid1(VALU_DEP_2)
	v_cndmask_b32_e32 v7, 0, v7, vcc_lo
	v_cmp_nlt_f32_e32 vcc_lo, 0x42b17218, v2
	v_cndmask_b32_e32 v2, 0x7f800000, v6, vcc_lo
	v_cmp_nlt_f32_e32 vcc_lo, 0x42b17218, v4
	v_cvt_f16_f32_e32 v6, v2
	v_cndmask_b32_e32 v4, 0x7f800000, v7, vcc_lo
	s_delay_alu instid0(VALU_DEP_2) | instskip(NEXT) | instid1(VALU_DEP_2)
	v_pk_mul_f16 v14, v14, v6 op_sel_hi:[1,0]
	v_fmac_f32_e32 v4, v3, v2
	s_delay_alu instid0(VALU_DEP_1)
	v_dual_mov_b32 v2, v5 :: v_dual_mov_b32 v3, v4
.LBB46_20:
	s_mov_b32 s3, exec_lo
	v_cmpx_gt_i32_e64 s6, v1
	s_cbranch_execz .LBB46_25
; %bb.21:
	s_delay_alu instid0(VALU_DEP_2) | instskip(SKIP_1) | instid1(VALU_DEP_1)
	v_mad_u64_u32 v[4:5], null, s12, s6, v[1:2]
	s_load_b32 s0, s[0:1], 0xd4
	v_mul_lo_u32 v1, v4, s7
	s_delay_alu instid0(VALU_DEP_1) | instskip(SKIP_2) | instid1(VALU_DEP_1)
	v_add3_u32 v1, s15, v12, v1
	s_waitcnt lgkmcnt(0)
	s_cmp_lg_u32 s0, 1
	v_mad_u64_u32 v[4:5], null, s0, v1, s[14:15]
	s_cselect_b32 s0, -1, 0
	s_and_saveexec_b32 s1, s2
	s_cbranch_execz .LBB46_23
; %bb.22:
	v_div_scale_f32 v1, null, v3, v3, 1.0
	v_div_scale_f32 v7, vcc_lo, 1.0, v3, 1.0
	v_cvt_f32_f16_e32 v9, v14
	s_delay_alu instid0(VALU_DEP_3) | instskip(SKIP_2) | instid1(VALU_DEP_1)
	v_rcp_f32_e32 v5, v1
	s_waitcnt_depctr 0xfff
	v_fma_f32 v6, -v1, v5, 1.0
	v_fmac_f32_e32 v5, v6, v5
	s_delay_alu instid0(VALU_DEP_1) | instskip(NEXT) | instid1(VALU_DEP_1)
	v_mul_f32_e32 v6, v7, v5
	v_fma_f32 v8, -v1, v6, v7
	s_delay_alu instid0(VALU_DEP_1) | instskip(SKIP_1) | instid1(VALU_DEP_2)
	v_fmac_f32_e32 v6, v8, v5
	v_lshrrev_b32_e32 v8, 16, v14
	v_fma_f32 v1, -v1, v6, v7
	v_mul_lo_u32 v7, v4, 40
	s_delay_alu instid0(VALU_DEP_2) | instskip(SKIP_1) | instid1(VALU_DEP_3)
	v_div_fmas_f32 v1, v1, v5, v6
	v_mov_b32_e32 v6, 0
	v_lshl_add_u32 v5, v0, 1, v7
	s_delay_alu instid0(VALU_DEP_3) | instskip(SKIP_1) | instid1(VALU_DEP_3)
	v_div_fixup_f32 v1, v1, v3, 1.0
	v_cvt_f32_f16_e32 v7, v8
	v_lshlrev_b64 v[5:6], 2, v[5:6]
	s_delay_alu instid0(VALU_DEP_3) | instskip(NEXT) | instid1(VALU_DEP_2)
	v_cndmask_b32_e64 v1, v1, 1.0, s0
	v_add_co_u32 v5, vcc_lo, s28, v5
	s_delay_alu instid0(VALU_DEP_2)
	v_mul_f32_e32 v8, v1, v7
	v_mul_f32_e32 v7, v1, v9
	v_add_co_ci_u32_e32 v6, vcc_lo, s29, v6, vcc_lo
	global_store_b64 v[5:6], v[7:8], off
.LBB46_23:
	s_or_b32 exec_lo, exec_lo, s1
	v_cmp_eq_u32_e32 vcc_lo, 0, v0
	s_and_b32 s0, vcc_lo, s0
	s_delay_alu instid0(SALU_CYCLE_1)
	s_and_b32 exec_lo, exec_lo, s0
	s_cbranch_execz .LBB46_25
; %bb.24:
	v_ashrrev_i32_e32 v5, 31, v4
	s_delay_alu instid0(VALU_DEP_1) | instskip(NEXT) | instid1(VALU_DEP_1)
	v_lshlrev_b64 v[0:1], 3, v[4:5]
	v_add_co_u32 v0, vcc_lo, s30, v0
	s_delay_alu instid0(VALU_DEP_2)
	v_add_co_ci_u32_e32 v1, vcc_lo, s31, v1, vcc_lo
	global_store_b64 v[0:1], v[2:3], off
.LBB46_25:
	s_nop 0
	s_sendmsg sendmsg(MSG_DEALLOC_VGPRS)
	s_endpgm
	.section	.rodata,"a",@progbits
	.p2align	6, 0x0
	.amdhsa_kernel _ZL15flash_attn_tileILi40ELi40ELi2ELi2ELb0EEvPKcS1_S1_S1_S1_PKiPfP15HIP_vector_typeIfLj2EEffffjfiS5_IjLj3EEiiiiiiiiiiiliiliiiiil
		.amdhsa_group_segment_fixed_size 3744
		.amdhsa_private_segment_fixed_size 0
		.amdhsa_kernarg_size 464
		.amdhsa_user_sgpr_count 13
		.amdhsa_user_sgpr_dispatch_ptr 0
		.amdhsa_user_sgpr_queue_ptr 0
		.amdhsa_user_sgpr_kernarg_segment_ptr 1
		.amdhsa_user_sgpr_dispatch_id 0
		.amdhsa_user_sgpr_private_segment_size 0
		.amdhsa_wavefront_size32 1
		.amdhsa_uses_dynamic_stack 0
		.amdhsa_enable_private_segment 0
		.amdhsa_system_sgpr_workgroup_id_x 1
		.amdhsa_system_sgpr_workgroup_id_y 1
		.amdhsa_system_sgpr_workgroup_id_z 1
		.amdhsa_system_sgpr_workgroup_info 0
		.amdhsa_system_vgpr_workitem_id 1
		.amdhsa_next_free_vgpr 49
		.amdhsa_next_free_sgpr 42
		.amdhsa_reserve_vcc 1
		.amdhsa_float_round_mode_32 0
		.amdhsa_float_round_mode_16_64 0
		.amdhsa_float_denorm_mode_32 3
		.amdhsa_float_denorm_mode_16_64 3
		.amdhsa_dx10_clamp 1
		.amdhsa_ieee_mode 1
		.amdhsa_fp16_overflow 0
		.amdhsa_workgroup_processor_mode 1
		.amdhsa_memory_ordered 1
		.amdhsa_forward_progress 0
		.amdhsa_shared_vgpr_count 0
		.amdhsa_exception_fp_ieee_invalid_op 0
		.amdhsa_exception_fp_denorm_src 0
		.amdhsa_exception_fp_ieee_div_zero 0
		.amdhsa_exception_fp_ieee_overflow 0
		.amdhsa_exception_fp_ieee_underflow 0
		.amdhsa_exception_fp_ieee_inexact 0
		.amdhsa_exception_int_div_zero 0
	.end_amdhsa_kernel
	.section	.text._ZL15flash_attn_tileILi40ELi40ELi2ELi2ELb0EEvPKcS1_S1_S1_S1_PKiPfP15HIP_vector_typeIfLj2EEffffjfiS5_IjLj3EEiiiiiiiiiiiliiliiiiil,"axG",@progbits,_ZL15flash_attn_tileILi40ELi40ELi2ELi2ELb0EEvPKcS1_S1_S1_S1_PKiPfP15HIP_vector_typeIfLj2EEffffjfiS5_IjLj3EEiiiiiiiiiiiliiliiiiil,comdat
.Lfunc_end46:
	.size	_ZL15flash_attn_tileILi40ELi40ELi2ELi2ELb0EEvPKcS1_S1_S1_S1_PKiPfP15HIP_vector_typeIfLj2EEffffjfiS5_IjLj3EEiiiiiiiiiiiliiliiiiil, .Lfunc_end46-_ZL15flash_attn_tileILi40ELi40ELi2ELi2ELb0EEvPKcS1_S1_S1_S1_PKiPfP15HIP_vector_typeIfLj2EEffffjfiS5_IjLj3EEiiiiiiiiiiiliiliiiiil
                                        ; -- End function
	.section	.AMDGPU.csdata,"",@progbits
; Kernel info:
; codeLenInByte = 4396
; NumSgprs: 44
; NumVgprs: 49
; ScratchSize: 0
; MemoryBound: 0
; FloatMode: 240
; IeeeMode: 1
; LDSByteSize: 3744 bytes/workgroup (compile time only)
; SGPRBlocks: 5
; VGPRBlocks: 6
; NumSGPRsForWavesPerEU: 44
; NumVGPRsForWavesPerEU: 49
; Occupancy: 16
; WaveLimiterHint : 1
; COMPUTE_PGM_RSRC2:SCRATCH_EN: 0
; COMPUTE_PGM_RSRC2:USER_SGPR: 13
; COMPUTE_PGM_RSRC2:TRAP_HANDLER: 0
; COMPUTE_PGM_RSRC2:TGID_X_EN: 1
; COMPUTE_PGM_RSRC2:TGID_Y_EN: 1
; COMPUTE_PGM_RSRC2:TGID_Z_EN: 1
; COMPUTE_PGM_RSRC2:TIDIG_COMP_CNT: 1
	.section	.text._ZL33flash_attn_stream_k_fixup_uniformILi40ELi2ELi2EEvPfPK15HIP_vector_typeIfLj2EEiiiiiiS1_IjLj3EES5_S5_,"axG",@progbits,_ZL33flash_attn_stream_k_fixup_uniformILi40ELi2ELi2EEvPfPK15HIP_vector_typeIfLj2EEiiiiiiS1_IjLj3EES5_S5_,comdat
	.globl	_ZL33flash_attn_stream_k_fixup_uniformILi40ELi2ELi2EEvPfPK15HIP_vector_typeIfLj2EEiiiiiiS1_IjLj3EES5_S5_ ; -- Begin function _ZL33flash_attn_stream_k_fixup_uniformILi40ELi2ELi2EEvPfPK15HIP_vector_typeIfLj2EEiiiiiiS1_IjLj3EES5_S5_
	.p2align	8
	.type	_ZL33flash_attn_stream_k_fixup_uniformILi40ELi2ELi2EEvPfPK15HIP_vector_typeIfLj2EEiiiiiiS1_IjLj3EES5_S5_,@function
_ZL33flash_attn_stream_k_fixup_uniformILi40ELi2ELi2EEvPfPK15HIP_vector_typeIfLj2EEiiiiiiS1_IjLj3EES5_S5_: ; @_ZL33flash_attn_stream_k_fixup_uniformILi40ELi2ELi2EEvPfPK15HIP_vector_typeIfLj2EEiiiiiiS1_IjLj3EES5_S5_
; %bb.0:
	s_clause 0x1
	s_load_b256 s[4:11], s[0:1], 0x1c
	s_load_b128 s[16:19], s[0:1], 0x3c
	s_waitcnt lgkmcnt(0)
	s_mul_hi_u32 s2, s7, s13
	s_delay_alu instid0(SALU_CYCLE_1) | instskip(NEXT) | instid1(SALU_CYCLE_1)
	s_add_i32 s2, s13, s2
	s_lshr_b32 s2, s2, s8
	s_delay_alu instid0(SALU_CYCLE_1) | instskip(SKIP_2) | instid1(SALU_CYCLE_1)
	s_mul_i32 s3, s2, s9
	s_load_b64 s[8:9], s[0:1], 0x10
	s_sub_i32 s3, s13, s3
	s_mul_hi_u32 s7, s3, s10
	s_delay_alu instid0(SALU_CYCLE_1) | instskip(NEXT) | instid1(SALU_CYCLE_1)
	s_add_i32 s7, s3, s7
	s_lshr_b32 s7, s7, s11
	s_delay_alu instid0(SALU_CYCLE_1) | instskip(NEXT) | instid1(SALU_CYCLE_1)
	s_mul_i32 s10, s7, s16
	s_sub_i32 s3, s3, s10
	s_delay_alu instid0(SALU_CYCLE_1) | instskip(NEXT) | instid1(SALU_CYCLE_1)
	s_mul_hi_u32 s10, s3, s17
	s_add_i32 s10, s3, s10
	s_delay_alu instid0(SALU_CYCLE_1) | instskip(NEXT) | instid1(SALU_CYCLE_1)
	s_lshr_b32 s11, s10, s18
	s_mul_i32 s10, s11, s19
	s_lshl_b32 s11, s11, 1
	s_sub_i32 s10, s3, s10
	s_delay_alu instid0(SALU_CYCLE_1) | instskip(NEXT) | instid1(SALU_CYCLE_1)
	s_lshl_b32 s3, s10, 1
	s_add_i32 s3, s3, s14
	s_waitcnt lgkmcnt(0)
	s_cmp_lt_i32 s3, s8
	s_cselect_b32 s3, -1, 0
	s_add_i32 s11, s11, s15
	s_delay_alu instid0(SALU_CYCLE_1) | instskip(SKIP_1) | instid1(SALU_CYCLE_1)
	s_cmp_lt_i32 s11, s5
	s_cselect_b32 s12, -1, 0
	s_and_b32 s3, s3, s12
	s_delay_alu instid0(SALU_CYCLE_1)
	s_and_not1_b32 vcc_lo, exec_lo, s3
	s_cbranch_vccnz .LBB47_6
; %bb.1:
	s_mul_i32 s8, s2, s8
	s_mul_i32 s7, s7, s5
	s_add_i32 s8, s8, s14
	s_add_i32 s5, s11, s7
	s_mul_i32 s8, s8, s9
	s_load_b128 s[0:3], s[0:1], 0x0
	s_mul_i32 s7, s9, s10
	s_add_i32 s5, s5, s8
	s_mulk_i32 s7, 0x50
	s_mul_i32 s5, s5, 40
	s_lshl_b32 s9, s14, 1
	v_add3_u32 v1, s5, s7, v0
	s_mul_i32 s5, s13, s6
	s_delay_alu instid0(SALU_CYCLE_1) | instskip(NEXT) | instid1(VALU_DEP_1)
	s_add_i32 s10, s5, s6
	v_ashrrev_i32_e32 v2, 31, v1
	s_delay_alu instid0(VALU_DEP_1) | instskip(SKIP_1) | instid1(VALU_DEP_1)
	v_lshlrev_b64 v[1:2], 2, v[1:2]
	s_waitcnt lgkmcnt(0)
	v_add_co_u32 v1, vcc_lo, s0, v1
	s_delay_alu instid0(VALU_DEP_2) | instskip(SKIP_4) | instid1(SALU_CYCLE_1)
	v_add_co_ci_u32_e32 v2, vcc_lo, s1, v2, vcc_lo
	s_add_i32 s0, s9, s15
	s_lshl_b32 s1, s10, 2
	global_load_b32 v5, v[1:2], off
	s_add_i32 s0, s0, s1
	s_add_i32 s0, s0, -4
	s_delay_alu instid0(SALU_CYCLE_1) | instskip(NEXT) | instid1(SALU_CYCLE_1)
	s_ashr_i32 s1, s0, 31
	s_lshl_b64 s[0:1], s[0:1], 3
	s_delay_alu instid0(SALU_CYCLE_1)
	s_add_u32 s0, s2, s0
	s_addc_u32 s1, s3, s1
	s_add_i32 s7, s10, -2
	s_load_b32 s11, s[0:1], 0x4
	s_cmp_lt_i32 s7, s5
	s_cbranch_scc1 .LBB47_4
; %bb.2:
	s_load_b32 s12, s[0:1], 0x0
	s_lshl_b32 s16, s4, 4
	s_mulk_i32 s14, 0x50
	s_ashr_i32 s17, s16, 31
	s_waitcnt lgkmcnt(0)
	v_mov_b32_e32 v6, s11
	s_lshl_b64 s[0:1], s[16:17], 2
	s_delay_alu instid0(SALU_CYCLE_1)
	s_add_u32 s7, s2, s0
	s_addc_u32 s8, s3, s1
	s_add_i32 s13, s13, 1
	s_lshl_b32 s4, s4, 2
	s_mul_i32 s0, s6, s13
	s_mul_i32 s6, s15, 40
	s_lshl_b32 s1, s0, 2
	s_mulk_i32 s0, 0xa0
	s_add_i32 s6, s6, s14
	s_add_i32 s1, s15, s1
	;; [unrolled: 1-line block ×4, first 2 shown]
	v_add3_u32 v3, s6, v0, 0xfffffec0
	v_mov_b32_e32 v0, s12
	s_add_i32 s0, s0, s9
	s_add_i32 s4, s10, -1
	s_add_i32 s0, s0, -8
.LBB47_3:                               ; =>This Inner Loop Header: Depth=1
	s_delay_alu instid0(VALU_DEP_2) | instskip(SKIP_1) | instid1(SALU_CYCLE_1)
	v_ashrrev_i32_e32 v4, 31, v3
	s_ashr_i32 s1, s0, 31
	s_lshl_b64 s[10:11], s[0:1], 3
	s_delay_alu instid0(SALU_CYCLE_1) | instskip(NEXT) | instid1(VALU_DEP_1)
	s_add_u32 s10, s2, s10
	v_lshlrev_b64 v[7:8], 2, v[3:4]
	s_addc_u32 s11, s3, s11
	s_add_i32 s4, s4, -1
	s_add_i32 s0, s0, -4
	s_cmp_le_i32 s4, s5
	s_load_b64 s[10:11], s[10:11], 0x0
	v_add_co_u32 v7, vcc_lo, s7, v7
	v_add_co_ci_u32_e32 v8, vcc_lo, s8, v8, vcc_lo
	global_load_b32 v4, v[7:8], off
	v_max_f32_e32 v7, v0, v0
	s_waitcnt lgkmcnt(0)
	v_max_f32_e64 v8, s10, s10
	s_delay_alu instid0(VALU_DEP_1) | instskip(NEXT) | instid1(VALU_DEP_1)
	v_max_f32_e32 v7, v7, v8
	v_sub_f32_e32 v8, s10, v7
	s_delay_alu instid0(VALU_DEP_1) | instskip(NEXT) | instid1(VALU_DEP_1)
	v_dual_sub_f32 v0, v0, v7 :: v_dual_mul_f32 v9, 0x3fb8aa3b, v8
	v_fma_f32 v10, 0x3fb8aa3b, v8, -v9
	v_rndne_f32_e32 v11, v9
	s_delay_alu instid0(VALU_DEP_3) | instskip(NEXT) | instid1(VALU_DEP_2)
	v_mul_f32_e32 v12, 0x3fb8aa3b, v0
	v_dual_fmac_f32 v10, 0x32a5705f, v8 :: v_dual_sub_f32 v9, v9, v11
	v_cvt_i32_f32_e32 v11, v11
	s_delay_alu instid0(VALU_DEP_3) | instskip(SKIP_1) | instid1(VALU_DEP_4)
	v_fma_f32 v13, 0x3fb8aa3b, v0, -v12
	v_rndne_f32_e32 v14, v12
	v_add_f32_e32 v9, v9, v10
	v_cmp_ngt_f32_e32 vcc_lo, 0xc2ce8ed0, v8
	s_delay_alu instid0(VALU_DEP_3) | instskip(NEXT) | instid1(VALU_DEP_3)
	v_sub_f32_e32 v10, v12, v14
	v_exp_f32_e32 v9, v9
	s_waitcnt_depctr 0xfff
	v_ldexp_f32 v9, v9, v11
	v_cvt_i32_f32_e32 v11, v14
	s_delay_alu instid0(VALU_DEP_2) | instskip(SKIP_1) | instid1(VALU_DEP_2)
	v_cndmask_b32_e32 v9, 0, v9, vcc_lo
	v_cmp_nlt_f32_e32 vcc_lo, 0x42b17218, v8
	v_cndmask_b32_e32 v9, 0x7f800000, v9, vcc_lo
	v_cmp_ngt_f32_e32 vcc_lo, 0xc2ce8ed0, v0
	v_fmac_f32_e32 v13, 0x32a5705f, v0
	s_delay_alu instid0(VALU_DEP_1) | instskip(NEXT) | instid1(VALU_DEP_1)
	v_add_f32_e32 v10, v10, v13
	v_exp_f32_e32 v10, v10
	s_waitcnt_depctr 0xfff
	v_ldexp_f32 v10, v10, v11
	s_delay_alu instid0(VALU_DEP_1)
	v_dual_mov_b32 v11, v6 :: v_dual_cndmask_b32 v10, 0, v10
	v_cmp_le_f32_e32 vcc_lo, 0xc1a00000, v8
	s_waitcnt vmcnt(1)
	v_dual_cndmask_b32 v8, 0, v9 :: v_dual_mov_b32 v9, v5
	v_cmp_nlt_f32_e32 vcc_lo, 0x42b17218, v0
	v_cndmask_b32_e32 v5, 0x7f800000, v10, vcc_lo
	s_delay_alu instid0(VALU_DEP_3) | instskip(SKIP_2) | instid1(VALU_DEP_3)
	v_mul_f32_e32 v10, s11, v8
	v_cmp_le_f32_e32 vcc_lo, 0xc1a00000, v0
	v_mov_b32_e32 v0, v7
	v_mov_b32_e32 v6, v10
	s_waitcnt vmcnt(0)
	v_dual_cndmask_b32 v12, 0, v5 :: v_dual_mul_f32 v5, v4, v8
	s_delay_alu instid0(VALU_DEP_1) | instskip(NEXT) | instid1(VALU_DEP_2)
	v_dual_fmac_f32 v6, v11, v12 :: v_dual_add_nc_u32 v3, 0xffffff60, v3
	v_fmac_f32_e32 v5, v9, v12
	s_cbranch_scc0 .LBB47_3
	s_branch .LBB47_5
.LBB47_4:
	s_waitcnt lgkmcnt(0)
	v_mov_b32_e32 v6, s11
.LBB47_5:
	s_waitcnt vmcnt(0)
	s_delay_alu instid0(VALU_DEP_1) | instskip(NEXT) | instid1(VALU_DEP_1)
	v_div_scale_f32 v0, null, v6, v6, v5
	v_rcp_f32_e32 v3, v0
	s_waitcnt_depctr 0xfff
	v_fma_f32 v4, -v0, v3, 1.0
	s_delay_alu instid0(VALU_DEP_1) | instskip(SKIP_1) | instid1(VALU_DEP_1)
	v_fmac_f32_e32 v3, v4, v3
	v_div_scale_f32 v4, vcc_lo, v5, v6, v5
	v_mul_f32_e32 v7, v4, v3
	s_delay_alu instid0(VALU_DEP_1) | instskip(NEXT) | instid1(VALU_DEP_1)
	v_fma_f32 v8, -v0, v7, v4
	v_fmac_f32_e32 v7, v8, v3
	s_delay_alu instid0(VALU_DEP_1) | instskip(NEXT) | instid1(VALU_DEP_1)
	v_fma_f32 v0, -v0, v7, v4
	v_div_fmas_f32 v0, v0, v3, v7
	s_delay_alu instid0(VALU_DEP_1)
	v_div_fixup_f32 v0, v0, v6, v5
	global_store_b32 v[1:2], v0, off
.LBB47_6:
	s_nop 0
	s_sendmsg sendmsg(MSG_DEALLOC_VGPRS)
	s_endpgm
	.section	.rodata,"a",@progbits
	.p2align	6, 0x0
	.amdhsa_kernel _ZL33flash_attn_stream_k_fixup_uniformILi40ELi2ELi2EEvPfPK15HIP_vector_typeIfLj2EEiiiiiiS1_IjLj3EES5_S5_
		.amdhsa_group_segment_fixed_size 0
		.amdhsa_private_segment_fixed_size 0
		.amdhsa_kernarg_size 76
		.amdhsa_user_sgpr_count 13
		.amdhsa_user_sgpr_dispatch_ptr 0
		.amdhsa_user_sgpr_queue_ptr 0
		.amdhsa_user_sgpr_kernarg_segment_ptr 1
		.amdhsa_user_sgpr_dispatch_id 0
		.amdhsa_user_sgpr_private_segment_size 0
		.amdhsa_wavefront_size32 1
		.amdhsa_uses_dynamic_stack 0
		.amdhsa_enable_private_segment 0
		.amdhsa_system_sgpr_workgroup_id_x 1
		.amdhsa_system_sgpr_workgroup_id_y 1
		.amdhsa_system_sgpr_workgroup_id_z 1
		.amdhsa_system_sgpr_workgroup_info 0
		.amdhsa_system_vgpr_workitem_id 0
		.amdhsa_next_free_vgpr 15
		.amdhsa_next_free_sgpr 20
		.amdhsa_reserve_vcc 1
		.amdhsa_float_round_mode_32 0
		.amdhsa_float_round_mode_16_64 0
		.amdhsa_float_denorm_mode_32 3
		.amdhsa_float_denorm_mode_16_64 3
		.amdhsa_dx10_clamp 1
		.amdhsa_ieee_mode 1
		.amdhsa_fp16_overflow 0
		.amdhsa_workgroup_processor_mode 1
		.amdhsa_memory_ordered 1
		.amdhsa_forward_progress 0
		.amdhsa_shared_vgpr_count 0
		.amdhsa_exception_fp_ieee_invalid_op 0
		.amdhsa_exception_fp_denorm_src 0
		.amdhsa_exception_fp_ieee_div_zero 0
		.amdhsa_exception_fp_ieee_overflow 0
		.amdhsa_exception_fp_ieee_underflow 0
		.amdhsa_exception_fp_ieee_inexact 0
		.amdhsa_exception_int_div_zero 0
	.end_amdhsa_kernel
	.section	.text._ZL33flash_attn_stream_k_fixup_uniformILi40ELi2ELi2EEvPfPK15HIP_vector_typeIfLj2EEiiiiiiS1_IjLj3EES5_S5_,"axG",@progbits,_ZL33flash_attn_stream_k_fixup_uniformILi40ELi2ELi2EEvPfPK15HIP_vector_typeIfLj2EEiiiiiiS1_IjLj3EES5_S5_,comdat
.Lfunc_end47:
	.size	_ZL33flash_attn_stream_k_fixup_uniformILi40ELi2ELi2EEvPfPK15HIP_vector_typeIfLj2EEiiiiiiS1_IjLj3EES5_S5_, .Lfunc_end47-_ZL33flash_attn_stream_k_fixup_uniformILi40ELi2ELi2EEvPfPK15HIP_vector_typeIfLj2EEiiiiiiS1_IjLj3EES5_S5_
                                        ; -- End function
	.section	.AMDGPU.csdata,"",@progbits
; Kernel info:
; codeLenInByte = 988
; NumSgprs: 22
; NumVgprs: 15
; ScratchSize: 0
; MemoryBound: 0
; FloatMode: 240
; IeeeMode: 1
; LDSByteSize: 0 bytes/workgroup (compile time only)
; SGPRBlocks: 2
; VGPRBlocks: 1
; NumSGPRsForWavesPerEU: 22
; NumVGPRsForWavesPerEU: 15
; Occupancy: 16
; WaveLimiterHint : 0
; COMPUTE_PGM_RSRC2:SCRATCH_EN: 0
; COMPUTE_PGM_RSRC2:USER_SGPR: 13
; COMPUTE_PGM_RSRC2:TRAP_HANDLER: 0
; COMPUTE_PGM_RSRC2:TGID_X_EN: 1
; COMPUTE_PGM_RSRC2:TGID_Y_EN: 1
; COMPUTE_PGM_RSRC2:TGID_Z_EN: 1
; COMPUTE_PGM_RSRC2:TIDIG_COMP_CNT: 0
	.section	.text._ZL33flash_attn_stream_k_fixup_generalILi40ELi2ELi2EEvPfPK15HIP_vector_typeIfLj2EEiiiiS1_IjLj3EES5_S5_S5_,"axG",@progbits,_ZL33flash_attn_stream_k_fixup_generalILi40ELi2ELi2EEvPfPK15HIP_vector_typeIfLj2EEiiiiS1_IjLj3EES5_S5_S5_,comdat
	.globl	_ZL33flash_attn_stream_k_fixup_generalILi40ELi2ELi2EEvPfPK15HIP_vector_typeIfLj2EEiiiiS1_IjLj3EES5_S5_S5_ ; -- Begin function _ZL33flash_attn_stream_k_fixup_generalILi40ELi2ELi2EEvPfPK15HIP_vector_typeIfLj2EEiiiiS1_IjLj3EES5_S5_S5_
	.p2align	8
	.type	_ZL33flash_attn_stream_k_fixup_generalILi40ELi2ELi2EEvPfPK15HIP_vector_typeIfLj2EEiiiiS1_IjLj3EES5_S5_S5_,@function
_ZL33flash_attn_stream_k_fixup_generalILi40ELi2ELi2EEvPfPK15HIP_vector_typeIfLj2EEiiiiS1_IjLj3EES5_S5_S5_: ; @_ZL33flash_attn_stream_k_fixup_generalILi40ELi2ELi2EEvPfPK15HIP_vector_typeIfLj2EEiiiiS1_IjLj3EES5_S5_S5_
; %bb.0:
	s_clause 0x1
	s_load_b128 s[4:7], s[0:1], 0x10
	s_load_b32 s20, s[0:1], 0x50
	s_mov_b32 s2, 0
	s_waitcnt lgkmcnt(0)
	s_mul_hi_i32 s3, s7, s13
	s_mul_i32 s12, s7, s13
	s_cmp_lg_u64 s[2:3], 0
	s_cbranch_scc0 .LBB48_21
; %bb.1:
	v_cvt_f32_ubyte0_e32 v1, 0
	v_cvt_f32_u32_e32 v2, s20
	s_sub_u32 s10, 0, s20
	s_subb_u32 s11, 0, 0
	s_delay_alu instid0(VALU_DEP_1) | instskip(NEXT) | instid1(VALU_DEP_1)
	v_fmamk_f32 v1, v1, 0x4f800000, v2
	v_rcp_f32_e32 v1, v1
	s_waitcnt_depctr 0xfff
	v_mul_f32_e32 v1, 0x5f7ffffc, v1
	s_delay_alu instid0(VALU_DEP_1) | instskip(NEXT) | instid1(VALU_DEP_1)
	v_mul_f32_e32 v2, 0x2f800000, v1
	v_trunc_f32_e32 v2, v2
	s_delay_alu instid0(VALU_DEP_1) | instskip(SKIP_1) | instid1(VALU_DEP_2)
	v_fmamk_f32 v1, v2, 0xcf800000, v1
	v_cvt_u32_f32_e32 v2, v2
	v_cvt_u32_f32_e32 v1, v1
	s_delay_alu instid0(VALU_DEP_2) | instskip(NEXT) | instid1(VALU_DEP_2)
	v_readfirstlane_b32 s8, v2
	v_readfirstlane_b32 s9, v1
	s_delay_alu instid0(VALU_DEP_2) | instskip(NEXT) | instid1(VALU_DEP_1)
	s_mul_i32 s16, s10, s8
	s_mul_hi_u32 s18, s10, s9
	s_mul_i32 s17, s11, s9
	s_add_i32 s16, s18, s16
	s_mul_i32 s19, s10, s9
	s_add_i32 s16, s16, s17
	s_mul_hi_u32 s18, s9, s19
	s_mul_hi_u32 s21, s8, s19
	s_mul_i32 s17, s8, s19
	s_mul_hi_u32 s19, s9, s16
	s_mul_i32 s9, s9, s16
	s_mul_hi_u32 s22, s8, s16
	s_add_u32 s9, s18, s9
	s_addc_u32 s18, 0, s19
	s_add_u32 s9, s9, s17
	s_mul_i32 s16, s8, s16
	s_addc_u32 s9, s18, s21
	s_addc_u32 s17, s22, 0
	s_add_u32 s9, s9, s16
	s_addc_u32 s16, 0, s17
	v_add_co_u32 v1, s9, v1, s9
	s_delay_alu instid0(VALU_DEP_1) | instskip(SKIP_1) | instid1(VALU_DEP_1)
	s_cmp_lg_u32 s9, 0
	s_addc_u32 s8, s8, s16
	v_readfirstlane_b32 s9, v1
	s_mul_i32 s16, s10, s8
	s_delay_alu instid0(VALU_DEP_1)
	s_mul_hi_u32 s17, s10, s9
	s_mul_i32 s11, s11, s9
	s_add_i32 s16, s17, s16
	s_mul_i32 s10, s10, s9
	s_add_i32 s16, s16, s11
	s_mul_hi_u32 s17, s8, s10
	s_mul_i32 s18, s8, s10
	s_mul_hi_u32 s10, s9, s10
	s_mul_hi_u32 s19, s9, s16
	s_mul_i32 s9, s9, s16
	s_mul_hi_u32 s11, s8, s16
	s_add_u32 s9, s10, s9
	s_addc_u32 s10, 0, s19
	s_add_u32 s9, s9, s18
	s_mul_i32 s16, s8, s16
	s_addc_u32 s9, s10, s17
	s_addc_u32 s10, s11, 0
	s_add_u32 s9, s9, s16
	s_addc_u32 s10, 0, s10
	v_add_co_u32 v1, s9, v1, s9
	s_delay_alu instid0(VALU_DEP_1) | instskip(SKIP_2) | instid1(SALU_CYCLE_1)
	s_cmp_lg_u32 s9, 0
	s_addc_u32 s16, s8, s10
	s_ashr_i32 s8, s3, 31
	s_add_u32 s10, s12, s8
	s_addc_u32 s11, s3, s8
	v_readfirstlane_b32 s3, v1
	s_mov_b32 s9, s8
	s_delay_alu instid0(SALU_CYCLE_1) | instskip(NEXT) | instid1(SALU_CYCLE_1)
	s_xor_b64 s[10:11], s[10:11], s[8:9]
	s_mul_i32 s18, s10, s16
	s_delay_alu instid0(VALU_DEP_1)
	s_mul_hi_u32 s19, s10, s3
	s_mul_hi_u32 s17, s10, s16
	;; [unrolled: 1-line block ×3, first 2 shown]
	s_mul_i32 s3, s11, s3
	s_add_u32 s18, s19, s18
	s_addc_u32 s17, 0, s17
	s_mul_hi_u32 s21, s11, s16
	s_add_u32 s3, s18, s3
	s_mul_i32 s16, s11, s16
	s_addc_u32 s3, s17, s22
	s_addc_u32 s17, s21, 0
	s_add_u32 s3, s3, s16
	s_addc_u32 s16, 0, s17
	s_mul_i32 s18, s20, s3
	s_add_u32 s17, s3, 1
	v_sub_co_u32 v1, s10, s10, s18
	s_mul_hi_u32 s18, s20, s3
	s_addc_u32 s19, s16, 0
	s_mul_i32 s21, s20, s16
	s_delay_alu instid0(VALU_DEP_1)
	v_sub_co_u32 v2, s22, v1, s20
	s_add_u32 s23, s3, 2
	s_addc_u32 s24, s16, 0
	s_add_i32 s18, s18, s21
	s_cmp_lg_u32 s10, 0
	v_readfirstlane_b32 s10, v2
	s_subb_u32 s11, s11, s18
	s_cmp_lg_u32 s22, 0
	s_subb_u32 s18, s11, 0
	s_delay_alu instid0(VALU_DEP_1) | instskip(SKIP_4) | instid1(SALU_CYCLE_1)
	s_cmp_ge_u32 s10, s20
	s_cselect_b32 s10, -1, 0
	s_cmp_eq_u32 s18, 0
	v_readfirstlane_b32 s18, v1
	s_cselect_b32 s10, s10, -1
	s_cmp_lg_u32 s10, 0
	s_cselect_b32 s10, s23, s17
	s_cselect_b32 s17, s24, s19
	s_cmp_ge_u32 s18, s20
	s_cselect_b32 s18, -1, 0
	s_cmp_eq_u32 s11, 0
	s_cselect_b32 s11, s18, -1
	s_delay_alu instid0(SALU_CYCLE_1) | instskip(SKIP_2) | instid1(SALU_CYCLE_1)
	s_cmp_lg_u32 s11, 0
	s_cselect_b32 s11, s17, s16
	s_cselect_b32 s10, s10, s3
	s_xor_b64 s[10:11], s[10:11], s[8:9]
	s_delay_alu instid0(SALU_CYCLE_1)
	s_sub_u32 s16, s10, s8
	s_load_b128 s[8:11], s[0:1], 0x44
	s_and_not1_b32 vcc_lo, exec_lo, s2
	s_cbranch_vccnz .LBB48_3
.LBB48_2:
	v_cvt_f32_u32_e32 v1, s20
	s_sub_i32 s3, 0, s20
	s_delay_alu instid0(VALU_DEP_1) | instskip(SKIP_2) | instid1(VALU_DEP_1)
	v_rcp_iflag_f32_e32 v1, v1
	s_waitcnt_depctr 0xfff
	v_mul_f32_e32 v1, 0x4f7ffffe, v1
	v_cvt_u32_f32_e32 v1, v1
	s_delay_alu instid0(VALU_DEP_1) | instskip(NEXT) | instid1(VALU_DEP_1)
	v_readfirstlane_b32 s2, v1
	s_mul_i32 s3, s3, s2
	s_delay_alu instid0(SALU_CYCLE_1) | instskip(NEXT) | instid1(SALU_CYCLE_1)
	s_mul_hi_u32 s3, s2, s3
	s_add_i32 s2, s2, s3
	s_delay_alu instid0(SALU_CYCLE_1) | instskip(NEXT) | instid1(SALU_CYCLE_1)
	s_mul_hi_u32 s2, s12, s2
	s_mul_i32 s3, s2, s20
	s_waitcnt lgkmcnt(0)
	s_add_i32 s11, s2, 1
	s_sub_i32 s3, s12, s3
	s_delay_alu instid0(SALU_CYCLE_1)
	s_sub_i32 s12, s3, s20
	s_cmp_ge_u32 s3, s20
	s_cselect_b32 s2, s11, s2
	s_cselect_b32 s3, s12, s3
	s_add_i32 s11, s2, 1
	s_cmp_ge_u32 s3, s20
	s_cselect_b32 s16, s11, s2
.LBB48_3:
	s_waitcnt lgkmcnt(0)
	s_add_i32 s11, s13, 1
	s_mov_b32 s2, 0
	s_mul_hi_i32 s3, s7, s11
	s_mul_i32 s11, s7, s11
	s_cmp_lg_u64 s[2:3], 0
	s_cbranch_scc0 .LBB48_22
; %bb.4:
	v_cvt_f32_ubyte0_e32 v1, 0
	v_cvt_f32_u32_e32 v2, s20
	s_sub_u32 s18, 0, s20
	s_subb_u32 s19, 0, 0
	s_delay_alu instid0(VALU_DEP_1) | instskip(NEXT) | instid1(VALU_DEP_1)
	v_fmamk_f32 v1, v1, 0x4f800000, v2
	v_rcp_f32_e32 v1, v1
	s_waitcnt_depctr 0xfff
	v_mul_f32_e32 v1, 0x5f7ffffc, v1
	s_delay_alu instid0(VALU_DEP_1) | instskip(NEXT) | instid1(VALU_DEP_1)
	v_mul_f32_e32 v2, 0x2f800000, v1
	v_trunc_f32_e32 v2, v2
	s_delay_alu instid0(VALU_DEP_1) | instskip(SKIP_1) | instid1(VALU_DEP_2)
	v_fmamk_f32 v1, v2, 0xcf800000, v1
	v_cvt_u32_f32_e32 v2, v2
	v_cvt_u32_f32_e32 v1, v1
	s_delay_alu instid0(VALU_DEP_2) | instskip(NEXT) | instid1(VALU_DEP_2)
	v_readfirstlane_b32 s12, v2
	v_readfirstlane_b32 s17, v1
	s_delay_alu instid0(VALU_DEP_2) | instskip(NEXT) | instid1(VALU_DEP_1)
	s_mul_i32 s21, s18, s12
	s_mul_hi_u32 s23, s18, s17
	s_mul_i32 s22, s19, s17
	s_add_i32 s21, s23, s21
	s_mul_i32 s24, s18, s17
	s_add_i32 s21, s21, s22
	s_mul_hi_u32 s23, s17, s24
	s_mul_hi_u32 s25, s12, s24
	s_mul_i32 s22, s12, s24
	s_mul_hi_u32 s24, s17, s21
	s_mul_i32 s17, s17, s21
	s_mul_hi_u32 s26, s12, s21
	s_add_u32 s17, s23, s17
	s_addc_u32 s23, 0, s24
	s_add_u32 s17, s17, s22
	s_mul_i32 s21, s12, s21
	s_addc_u32 s17, s23, s25
	s_addc_u32 s22, s26, 0
	s_add_u32 s17, s17, s21
	s_addc_u32 s21, 0, s22
	v_add_co_u32 v1, s17, v1, s17
	s_delay_alu instid0(VALU_DEP_1) | instskip(SKIP_1) | instid1(VALU_DEP_1)
	s_cmp_lg_u32 s17, 0
	s_addc_u32 s12, s12, s21
	v_readfirstlane_b32 s17, v1
	s_mul_i32 s21, s18, s12
	s_delay_alu instid0(VALU_DEP_1)
	s_mul_hi_u32 s22, s18, s17
	s_mul_i32 s19, s19, s17
	s_add_i32 s21, s22, s21
	s_mul_i32 s18, s18, s17
	s_add_i32 s21, s21, s19
	s_mul_hi_u32 s22, s12, s18
	s_mul_i32 s23, s12, s18
	s_mul_hi_u32 s18, s17, s18
	s_mul_hi_u32 s24, s17, s21
	s_mul_i32 s17, s17, s21
	s_mul_hi_u32 s19, s12, s21
	s_add_u32 s17, s18, s17
	s_addc_u32 s18, 0, s24
	s_add_u32 s17, s17, s23
	s_mul_i32 s21, s12, s21
	s_addc_u32 s17, s18, s22
	s_addc_u32 s18, s19, 0
	s_add_u32 s17, s17, s21
	s_addc_u32 s18, 0, s18
	v_add_co_u32 v1, s17, v1, s17
	s_delay_alu instid0(VALU_DEP_1) | instskip(SKIP_2) | instid1(SALU_CYCLE_1)
	s_cmp_lg_u32 s17, 0
	s_addc_u32 s12, s12, s18
	s_ashr_i32 s18, s3, 31
	s_add_u32 s22, s11, s18
	s_addc_u32 s23, s3, s18
	v_readfirstlane_b32 s3, v1
	s_mov_b32 s19, s18
	s_delay_alu instid0(SALU_CYCLE_1) | instskip(NEXT) | instid1(SALU_CYCLE_1)
	s_xor_b64 s[22:23], s[22:23], s[18:19]
	s_mul_i32 s21, s22, s12
	s_delay_alu instid0(VALU_DEP_1)
	s_mul_hi_u32 s24, s22, s3
	s_mul_hi_u32 s17, s22, s12
	;; [unrolled: 1-line block ×3, first 2 shown]
	s_mul_i32 s3, s23, s3
	s_add_u32 s21, s24, s21
	s_addc_u32 s17, 0, s17
	s_mul_hi_u32 s25, s23, s12
	s_add_u32 s3, s21, s3
	s_mul_i32 s12, s23, s12
	s_addc_u32 s3, s17, s26
	s_addc_u32 s17, s25, 0
	s_add_u32 s3, s3, s12
	s_addc_u32 s12, 0, s17
	s_mul_i32 s21, s20, s3
	s_add_u32 s17, s3, 1
	v_sub_co_u32 v1, s21, s22, s21
	s_mul_hi_u32 s22, s20, s3
	s_addc_u32 s24, s12, 0
	s_mul_i32 s25, s20, s12
	s_delay_alu instid0(VALU_DEP_1)
	v_sub_co_u32 v2, s26, v1, s20
	s_add_u32 s27, s3, 2
	s_addc_u32 s28, s12, 0
	s_add_i32 s22, s22, s25
	s_cmp_lg_u32 s21, 0
	v_readfirstlane_b32 s21, v2
	s_subb_u32 s22, s23, s22
	s_cmp_lg_u32 s26, 0
	s_subb_u32 s23, s22, 0
	s_delay_alu instid0(VALU_DEP_1) | instskip(SKIP_4) | instid1(SALU_CYCLE_1)
	s_cmp_ge_u32 s21, s20
	s_cselect_b32 s21, -1, 0
	s_cmp_eq_u32 s23, 0
	v_readfirstlane_b32 s23, v1
	s_cselect_b32 s21, s21, -1
	s_cmp_lg_u32 s21, 0
	s_cselect_b32 s17, s27, s17
	s_cselect_b32 s21, s28, s24
	s_cmp_ge_u32 s23, s20
	s_cselect_b32 s23, -1, 0
	s_cmp_eq_u32 s22, 0
	s_cselect_b32 s22, s23, -1
	s_delay_alu instid0(SALU_CYCLE_1) | instskip(SKIP_2) | instid1(SALU_CYCLE_1)
	s_cmp_lg_u32 s22, 0
	s_cselect_b32 s23, s21, s12
	s_cselect_b32 s22, s17, s3
	s_xor_b64 s[22:23], s[22:23], s[18:19]
	s_delay_alu instid0(SALU_CYCLE_1)
	s_sub_u32 s18, s22, s18
	s_and_not1_b32 vcc_lo, exec_lo, s2
	s_cbranch_vccnz .LBB48_6
.LBB48_5:
	v_cvt_f32_u32_e32 v1, s20
	s_sub_i32 s3, 0, s20
	s_delay_alu instid0(VALU_DEP_1) | instskip(SKIP_2) | instid1(VALU_DEP_1)
	v_rcp_iflag_f32_e32 v1, v1
	s_waitcnt_depctr 0xfff
	v_mul_f32_e32 v1, 0x4f7ffffe, v1
	v_cvt_u32_f32_e32 v1, v1
	s_delay_alu instid0(VALU_DEP_1) | instskip(NEXT) | instid1(VALU_DEP_1)
	v_readfirstlane_b32 s2, v1
	s_mul_i32 s3, s3, s2
	s_delay_alu instid0(SALU_CYCLE_1) | instskip(NEXT) | instid1(SALU_CYCLE_1)
	s_mul_hi_u32 s3, s2, s3
	s_add_i32 s2, s2, s3
	s_delay_alu instid0(SALU_CYCLE_1) | instskip(NEXT) | instid1(SALU_CYCLE_1)
	s_mul_hi_u32 s2, s11, s2
	s_mul_i32 s3, s2, s20
	s_delay_alu instid0(SALU_CYCLE_1)
	s_sub_i32 s3, s11, s3
	s_add_i32 s11, s2, 1
	s_sub_i32 s12, s3, s20
	s_cmp_ge_u32 s3, s20
	s_cselect_b32 s2, s11, s2
	s_cselect_b32 s3, s12, s3
	s_add_i32 s11, s2, 1
	s_cmp_ge_u32 s3, s20
	s_cselect_b32 s18, s11, s2
.LBB48_6:
	s_delay_alu instid0(SALU_CYCLE_1) | instskip(SKIP_3) | instid1(SALU_CYCLE_1)
	s_cmp_eq_u32 s16, s18
	s_mul_hi_u32 s2, s16, s8
	s_cselect_b32 s3, -1, 0
	s_add_i32 s2, s2, s16
	s_lshr_b32 s11, s2, s9
	s_delay_alu instid0(SALU_CYCLE_1) | instskip(NEXT) | instid1(SALU_CYCLE_1)
	s_mul_i32 s2, s11, s10
	s_cmp_eq_u32 s2, s16
	s_mul_hi_u32 s2, s18, s8
	s_cselect_b32 s12, -1, 0
	s_add_i32 s2, s2, s18
	s_delay_alu instid0(SALU_CYCLE_1) | instskip(NEXT) | instid1(SALU_CYCLE_1)
	s_lshr_b32 s2, s2, s9
	s_cmp_eq_u32 s11, s2
	s_mul_i32 s2, s2, s10
	s_cselect_b32 s17, -1, 0
	s_cmp_lg_u32 s2, s18
	s_cselect_b32 s2, -1, 0
	s_or_b32 s3, s3, s12
	s_and_b32 s2, s17, s2
	s_delay_alu instid0(SALU_CYCLE_1) | instskip(NEXT) | instid1(SALU_CYCLE_1)
	s_or_b32 s2, s3, s2
	s_and_b32 vcc_lo, exec_lo, s2
	s_cbranch_vccnz .LBB48_24
; %bb.7:
	s_load_b256 s[24:31], s[0:1], 0x20
	s_waitcnt lgkmcnt(0)
	s_mul_hi_u32 s2, s16, s24
	s_delay_alu instid0(SALU_CYCLE_1) | instskip(NEXT) | instid1(SALU_CYCLE_1)
	s_add_i32 s2, s2, s16
	s_lshr_b32 s17, s2, s25
	s_load_b32 s2, s[0:1], 0x40
	s_mul_i32 s3, s17, s26
	s_delay_alu instid0(SALU_CYCLE_1) | instskip(NEXT) | instid1(SALU_CYCLE_1)
	s_sub_i32 s3, s16, s3
	s_mul_hi_u32 s12, s3, s27
	s_delay_alu instid0(SALU_CYCLE_1) | instskip(NEXT) | instid1(SALU_CYCLE_1)
	s_add_i32 s12, s3, s12
	s_lshr_b32 s19, s12, s28
	s_delay_alu instid0(SALU_CYCLE_1) | instskip(NEXT) | instid1(SALU_CYCLE_1)
	s_mul_i32 s12, s19, s29
	s_sub_i32 s3, s3, s12
	s_delay_alu instid0(SALU_CYCLE_1) | instskip(NEXT) | instid1(SALU_CYCLE_1)
	s_mul_hi_u32 s12, s3, s30
	s_add_i32 s12, s3, s12
	s_delay_alu instid0(SALU_CYCLE_1)
	s_lshr_b32 s12, s12, s31
	s_waitcnt lgkmcnt(0)
	s_mul_i32 s2, s12, s2
	s_lshl_b32 s21, s12, 1
	s_sub_i32 s2, s3, s2
	s_mov_b32 s12, 0
	s_mul_hi_u32 s3, s2, s8
	s_delay_alu instid0(SALU_CYCLE_1) | instskip(NEXT) | instid1(SALU_CYCLE_1)
	s_add_i32 s2, s2, s3
	s_lshr_b32 s18, s2, s9
	s_delay_alu instid0(SALU_CYCLE_1) | instskip(NEXT) | instid1(SALU_CYCLE_1)
	s_lshl_b32 s2, s18, 1
	s_add_i32 s2, s2, s14
	s_delay_alu instid0(SALU_CYCLE_1) | instskip(SKIP_2) | instid1(SALU_CYCLE_1)
	s_cmp_lt_i32 s2, s4
	s_cselect_b32 s2, -1, 0
	s_add_i32 s21, s21, s15
	s_cmp_lt_i32 s21, s6
	s_cselect_b32 s3, -1, 0
	s_delay_alu instid0(SALU_CYCLE_1) | instskip(NEXT) | instid1(SALU_CYCLE_1)
	s_and_b32 s2, s2, s3
	s_and_not1_b32 vcc_lo, exec_lo, s2
	s_cbranch_vccnz .LBB48_24
; %bb.8:
	s_load_b128 s[0:3], s[0:1], 0x0
	s_lshl_b32 s22, s20, 4
	s_mov_b32 s23, s12
	s_lshl_b32 s24, s14, 1
	s_lshl_b64 s[22:23], s[22:23], 2
	s_mul_i32 s19, s19, s6
	s_mul_i32 s4, s17, s4
	s_add_i32 s6, s24, s15
	v_cvt_f32_ubyte0_e32 v3, 0
	v_cvt_f32_u32_e32 v4, s20
	s_waitcnt lgkmcnt(0)
	s_add_u32 s15, s2, s22
	s_addc_u32 s17, s3, s23
	s_add_i32 s4, s4, s14
	s_add_i32 s14, s21, s19
	s_mul_i32 s4, s4, s5
	s_mul_i32 s5, s5, s18
	s_add_i32 s4, s14, s4
	s_mulk_i32 s5, 0x50
	s_mul_i32 s4, s4, 40
	s_delay_alu instid0(SALU_CYCLE_1) | instskip(NEXT) | instid1(VALU_DEP_1)
	v_add3_u32 v1, s5, s4, v0
	v_ashrrev_i32_e32 v2, 31, v1
	s_delay_alu instid0(VALU_DEP_1) | instskip(NEXT) | instid1(VALU_DEP_1)
	v_lshlrev_b64 v[1:2], 2, v[1:2]
	v_add_co_u32 v1, vcc_lo, s0, v1
	s_delay_alu instid0(VALU_DEP_2) | instskip(SKIP_1) | instid1(SALU_CYCLE_1)
	v_add_co_ci_u32_e32 v2, vcc_lo, s1, v2, vcc_lo
	s_lshl_b32 s0, s13, 2
	s_add_i32 s0, s6, s0
	global_load_b32 v5, v[1:2], off
	s_ashr_i32 s1, s0, 31
	s_delay_alu instid0(SALU_CYCLE_1) | instskip(NEXT) | instid1(SALU_CYCLE_1)
	s_lshl_b64 s[0:1], s[0:1], 3
	s_add_u32 s0, s2, s0
	s_addc_u32 s1, s3, s1
	s_add_i32 s18, s13, -1
	s_load_b64 s[0:1], s[0:1], 0x0
	v_fmac_f32_e32 v4, 0x4f800000, v3
	s_sub_i32 s14, 0, s20
	s_delay_alu instid0(VALU_DEP_1)
	v_rcp_f32_e32 v3, v4
	s_waitcnt_depctr 0xfff
	v_mul_f32_e32 v6, 0x5f7ffffc, v3
	v_cvt_f32_u32_e32 v3, s20
	s_waitcnt lgkmcnt(0)
	v_mov_b32_e32 v8, s0
	s_delay_alu instid0(VALU_DEP_3) | instskip(NEXT) | instid1(VALU_DEP_3)
	v_mul_f32_e32 v4, 0x2f800000, v6
	v_rcp_iflag_f32_e32 v7, v3
	s_delay_alu instid0(VALU_DEP_1) | instskip(SKIP_1) | instid1(VALU_DEP_2)
	v_trunc_f32_e32 v9, v4
	v_mad_u64_u32 v[3:4], null, s6, 40, v[0:1]
	v_fmac_f32_e32 v6, 0xcf800000, v9
	s_waitcnt_depctr 0xfff
	v_dual_mul_f32 v10, 0x4f7ffffe, v7 :: v_dual_mov_b32 v7, s1
	v_cvt_u32_f32_e32 v4, v9
	v_cvt_u32_f32_e32 v0, v6
	s_delay_alu instid0(VALU_DEP_3)
	v_cvt_u32_f32_e32 v6, v10
.LBB48_9:                               ; =>This Inner Loop Header: Depth=1
	s_mul_hi_i32 s13, s18, s7
	s_mul_i32 s4, s18, s7
	s_cmp_lg_u64 s[12:13], 0
	s_mov_b32 s5, -1
                                        ; implicit-def: $sgpr0_sgpr1
	s_cbranch_scc0 .LBB48_11
; %bb.10:                               ;   in Loop: Header=BB48_9 Depth=1
	v_readfirstlane_b32 s0, v0
	v_readfirstlane_b32 s1, v4
	s_sub_u32 s5, 0, s20
	s_subb_u32 s19, 0, 0
	s_delay_alu instid0(VALU_DEP_2) | instskip(NEXT) | instid1(VALU_DEP_1)
	s_mul_hi_u32 s21, s5, s0
	s_mul_i32 s22, s5, s1
	s_mul_i32 s23, s19, s0
	s_add_i32 s21, s21, s22
	s_mul_i32 s22, s5, s0
	s_add_i32 s21, s21, s23
	s_mul_hi_u32 s23, s0, s22
	s_mul_i32 s24, s0, s21
	s_mul_hi_u32 s0, s0, s21
	s_add_u32 s23, s23, s24
	s_mul_i32 s25, s1, s22
	s_addc_u32 s0, 0, s0
	s_mul_hi_u32 s22, s1, s22
	s_mul_hi_u32 s24, s1, s21
	s_add_u32 s23, s23, s25
	s_addc_u32 s0, s0, s22
	s_mul_i32 s21, s1, s21
	s_addc_u32 s22, s24, 0
	s_add_u32 s0, s0, s21
	s_addc_u32 s21, 0, s22
	v_add_co_u32 v9, s0, v0, s0
	s_delay_alu instid0(VALU_DEP_1) | instskip(SKIP_1) | instid1(VALU_DEP_1)
	s_cmp_lg_u32 s0, 0
	s_addc_u32 s1, s1, s21
	v_readfirstlane_b32 s0, v9
	s_mul_i32 s21, s5, s1
	s_delay_alu instid0(VALU_DEP_1)
	s_mul_hi_u32 s22, s5, s0
	s_mul_i32 s19, s19, s0
	s_add_i32 s21, s22, s21
	s_mul_i32 s5, s5, s0
	s_add_i32 s21, s21, s19
	s_mul_hi_u32 s19, s1, s5
	s_mul_i32 s23, s1, s5
	s_mul_i32 s24, s0, s21
	s_mul_hi_u32 s5, s0, s5
	s_mul_hi_u32 s0, s0, s21
	s_add_u32 s5, s5, s24
	s_addc_u32 s0, 0, s0
	s_mul_hi_u32 s22, s1, s21
	s_add_u32 s5, s5, s23
	s_addc_u32 s0, s0, s19
	s_mul_i32 s5, s1, s21
	s_addc_u32 s19, s22, 0
	s_add_u32 s0, s0, s5
	s_addc_u32 s5, 0, s19
	v_add_co_u32 v9, s0, v9, s0
	s_delay_alu instid0(VALU_DEP_1) | instskip(SKIP_2) | instid1(SALU_CYCLE_1)
	s_cmp_lg_u32 s0, 0
	s_addc_u32 s5, s1, s5
	s_ashr_i32 s0, s13, 31
	s_add_u32 s22, s4, s0
	s_addc_u32 s23, s13, s0
	v_readfirstlane_b32 s13, v9
	s_mov_b32 s1, s0
	s_delay_alu instid0(SALU_CYCLE_1) | instskip(NEXT) | instid1(SALU_CYCLE_1)
	s_xor_b64 s[22:23], s[22:23], s[0:1]
	s_mul_i32 s19, s22, s5
	s_delay_alu instid0(VALU_DEP_1)
	s_mul_hi_u32 s21, s22, s13
	s_mul_hi_u32 s24, s22, s5
	s_add_u32 s19, s21, s19
	s_mul_i32 s25, s23, s13
	s_addc_u32 s21, 0, s24
	s_mul_hi_u32 s13, s23, s13
	s_mul_hi_u32 s24, s23, s5
	s_add_u32 s19, s19, s25
	s_addc_u32 s13, s21, s13
	s_mul_i32 s5, s23, s5
	s_addc_u32 s19, s24, 0
	s_add_u32 s5, s13, s5
	s_addc_u32 s13, 0, s19
	s_mul_i32 s21, s20, s5
	s_add_u32 s19, s5, 1
	v_sub_co_u32 v9, s21, s22, s21
	s_addc_u32 s22, s13, 0
	s_mul_i32 s25, s20, s13
	s_mul_hi_u32 s27, s20, s5
	s_delay_alu instid0(VALU_DEP_1)
	v_sub_co_u32 v10, s26, v9, s20
	s_add_u32 s24, s5, 2
	s_addc_u32 s28, s13, 0
	s_add_i32 s27, s27, s25
	s_cmp_lg_u32 s21, 0
	v_readfirstlane_b32 s21, v10
	s_subb_u32 s23, s23, s27
	s_cmp_lg_u32 s26, 0
	s_subb_u32 s25, s23, 0
	s_delay_alu instid0(VALU_DEP_1) | instskip(SKIP_4) | instid1(SALU_CYCLE_1)
	s_cmp_ge_u32 s21, s20
	s_cselect_b32 s21, -1, 0
	s_cmp_eq_u32 s25, 0
	v_readfirstlane_b32 s25, v9
	s_cselect_b32 s21, s21, -1
	s_cmp_lg_u32 s21, 0
	s_cselect_b32 s19, s24, s19
	s_cselect_b32 s21, s28, s22
	s_cmp_ge_u32 s25, s20
	s_cselect_b32 s22, -1, 0
	s_cmp_eq_u32 s23, 0
	s_cselect_b32 s22, s22, -1
	s_delay_alu instid0(SALU_CYCLE_1) | instskip(SKIP_4) | instid1(SALU_CYCLE_1)
	s_cmp_lg_u32 s22, 0
	s_cselect_b32 s23, s21, s13
	s_cselect_b32 s22, s19, s5
	s_mov_b32 s5, 0
	s_xor_b64 s[22:23], s[22:23], s[0:1]
	s_sub_u32 s0, s22, s0
.LBB48_11:                              ;   in Loop: Header=BB48_9 Depth=1
	s_and_not1_b32 vcc_lo, exec_lo, s5
	s_cbranch_vccnz .LBB48_13
; %bb.12:                               ;   in Loop: Header=BB48_9 Depth=1
	v_readfirstlane_b32 s0, v6
	s_delay_alu instid0(VALU_DEP_1) | instskip(NEXT) | instid1(SALU_CYCLE_1)
	s_mul_i32 s1, s14, s0
	s_mul_hi_u32 s1, s0, s1
	s_delay_alu instid0(SALU_CYCLE_1) | instskip(NEXT) | instid1(SALU_CYCLE_1)
	s_add_i32 s0, s0, s1
	s_mul_hi_u32 s0, s4, s0
	s_delay_alu instid0(SALU_CYCLE_1) | instskip(NEXT) | instid1(SALU_CYCLE_1)
	s_mul_i32 s1, s0, s20
	s_sub_i32 s1, s4, s1
	s_add_i32 s4, s0, 1
	s_sub_i32 s5, s1, s20
	s_cmp_ge_u32 s1, s20
	s_cselect_b32 s0, s4, s0
	s_cselect_b32 s1, s5, s1
	s_add_i32 s4, s0, 1
	s_cmp_ge_u32 s1, s20
	s_cselect_b32 s0, s4, s0
.LBB48_13:                              ;   in Loop: Header=BB48_9 Depth=1
	s_delay_alu instid0(SALU_CYCLE_1)
	s_cmp_lg_u32 s16, s0
	s_cbranch_scc0 .LBB48_17
; %bb.14:                               ;   in Loop: Header=BB48_9 Depth=1
	s_add_i32 s1, s18, s20
	s_mov_b32 s5, s12
	s_lshl_b32 s1, s1, 2
	s_mov_b32 s19, s16
	s_add_i32 s4, s1, s6
	s_mul_hi_u32 s1, s0, s8
	s_lshl_b64 s[4:5], s[4:5], 3
	s_delay_alu instid0(SALU_CYCLE_1) | instskip(SKIP_2) | instid1(SALU_CYCLE_1)
	s_add_u32 s4, s2, s4
	s_addc_u32 s5, s3, s5
	s_add_i32 s1, s1, s0
	s_lshr_b32 s1, s1, s9
	s_delay_alu instid0(SALU_CYCLE_1) | instskip(NEXT) | instid1(SALU_CYCLE_1)
	s_mul_i32 s13, s1, s10
	s_cmp_eq_u32 s13, s0
	s_cselect_b32 s13, -1, 0
	s_cmp_lt_u32 s1, s11
	s_cselect_b32 s1, -1, 0
	s_delay_alu instid0(SALU_CYCLE_1)
	s_or_b32 s1, s1, s13
	s_mov_b32 s13, -1
	s_and_b32 vcc_lo, exec_lo, s1
	s_mov_b32 s1, s18
	s_cbranch_vccnz .LBB48_16
; %bb.15:                               ;   in Loop: Header=BB48_9 Depth=1
	s_add_i32 s1, s18, -1
	s_mov_b32 s13, 0
	s_mov_b32 s19, s0
.LBB48_16:                              ;   in Loop: Header=BB48_9 Depth=1
	v_mad_u64_u32 v[9:10], null, 0xa0, s18, v[3:4]
	s_load_b64 s[4:5], s[4:5], 0x0
	s_delay_alu instid0(VALU_DEP_1) | instskip(NEXT) | instid1(VALU_DEP_1)
	v_ashrrev_i32_e32 v10, 31, v9
	v_lshlrev_b64 v[9:10], 2, v[9:10]
	s_delay_alu instid0(VALU_DEP_1) | instskip(NEXT) | instid1(VALU_DEP_2)
	v_add_co_u32 v9, vcc_lo, s15, v9
	v_add_co_ci_u32_e32 v10, vcc_lo, s17, v10, vcc_lo
	s_waitcnt lgkmcnt(0)
	v_max_f32_e64 v11, s4, s4
	global_load_b32 v10, v[9:10], off
	v_max_f32_e32 v9, v8, v8
	s_delay_alu instid0(VALU_DEP_1) | instskip(NEXT) | instid1(VALU_DEP_1)
	v_max_f32_e32 v9, v9, v11
	v_sub_f32_e32 v12, v8, v9
	s_delay_alu instid0(VALU_DEP_1) | instskip(NEXT) | instid1(VALU_DEP_1)
	v_dual_mul_f32 v14, 0x3fb8aa3b, v12 :: v_dual_sub_f32 v11, s4, v9
	v_rndne_f32_e32 v18, v14
	s_delay_alu instid0(VALU_DEP_2) | instskip(SKIP_2) | instid1(VALU_DEP_4)
	v_mul_f32_e32 v13, 0x3fb8aa3b, v11
	v_fma_f32 v17, 0x3fb8aa3b, v12, -v14
	v_cmp_ngt_f32_e32 vcc_lo, 0xc2ce8ed0, v11
	v_sub_f32_e32 v14, v14, v18
	s_delay_alu instid0(VALU_DEP_4) | instskip(SKIP_2) | instid1(VALU_DEP_3)
	v_fma_f32 v15, 0x3fb8aa3b, v11, -v13
	v_rndne_f32_e32 v16, v13
	v_fmac_f32_e32 v17, 0x32a5705f, v12
	v_fmac_f32_e32 v15, 0x32a5705f, v11
	s_delay_alu instid0(VALU_DEP_2) | instskip(NEXT) | instid1(VALU_DEP_1)
	v_dual_sub_f32 v13, v13, v16 :: v_dual_add_f32 v14, v14, v17
	v_add_f32_e32 v13, v13, v15
	s_delay_alu instid0(VALU_DEP_2) | instskip(SKIP_2) | instid1(VALU_DEP_3)
	v_exp_f32_e32 v14, v14
	v_cvt_i32_f32_e32 v15, v16
	v_cvt_i32_f32_e32 v16, v18
	v_exp_f32_e32 v13, v13
	s_waitcnt_depctr 0xfff
	v_ldexp_f32 v14, v14, v16
	v_ldexp_f32 v13, v13, v15
	s_delay_alu instid0(VALU_DEP_1) | instskip(SKIP_1) | instid1(VALU_DEP_4)
	v_cndmask_b32_e32 v13, 0, v13, vcc_lo
	v_cmp_ngt_f32_e32 vcc_lo, 0xc2ce8ed0, v12
	v_cndmask_b32_e32 v14, 0, v14, vcc_lo
	v_cmp_nlt_f32_e32 vcc_lo, 0x42b17218, v11
	s_delay_alu instid0(VALU_DEP_4) | instskip(SKIP_1) | instid1(VALU_DEP_4)
	v_cndmask_b32_e32 v13, 0x7f800000, v13, vcc_lo
	v_cmp_nlt_f32_e32 vcc_lo, 0x42b17218, v12
	v_cndmask_b32_e32 v14, 0x7f800000, v14, vcc_lo
	v_cmp_le_f32_e32 vcc_lo, 0xc1a00000, v11
	s_delay_alu instid0(VALU_DEP_4) | instskip(SKIP_1) | instid1(VALU_DEP_4)
	v_cndmask_b32_e32 v11, 0, v13, vcc_lo
	v_cmp_le_f32_e32 vcc_lo, 0xc1a00000, v12
	v_cndmask_b32_e32 v12, 0, v14, vcc_lo
	s_waitcnt vmcnt(0)
	s_delay_alu instid0(VALU_DEP_3) | instskip(NEXT) | instid1(VALU_DEP_1)
	v_mul_f32_e32 v10, v10, v11
	v_dual_mul_f32 v11, s5, v11 :: v_dual_fmac_f32 v10, v5, v12
	s_delay_alu instid0(VALU_DEP_1)
	v_fmac_f32_e32 v11, v7, v12
	s_cbranch_execz .LBB48_18
	s_branch .LBB48_19
.LBB48_17:                              ;   in Loop: Header=BB48_9 Depth=1
                                        ; implicit-def: $sgpr13
                                        ; implicit-def: $vgpr10
                                        ; implicit-def: $vgpr9
                                        ; implicit-def: $vgpr11
                                        ; implicit-def: $sgpr1
                                        ; implicit-def: $sgpr19
.LBB48_18:                              ;   in Loop: Header=BB48_9 Depth=1
	s_waitcnt vmcnt(0)
	v_dual_mov_b32 v11, v7 :: v_dual_mov_b32 v10, v5
	v_mov_b32_e32 v9, v8
	s_add_i32 s1, s18, -1
	s_mov_b32 s13, 0
	s_mov_b32 s19, s16
.LBB48_19:                              ;   in Loop: Header=BB48_9 Depth=1
	s_and_not1_b32 vcc_lo, exec_lo, s13
	s_cbranch_vccz .LBB48_23
; %bb.20:                               ;   in Loop: Header=BB48_9 Depth=1
	v_dual_mov_b32 v7, v11 :: v_dual_mov_b32 v8, v9
	s_waitcnt vmcnt(0)
	v_mov_b32_e32 v5, v10
	s_mov_b32 s16, s19
	s_mov_b32 s18, s1
	s_branch .LBB48_9
.LBB48_21:
                                        ; implicit-def: $sgpr16_sgpr17
	s_load_b128 s[8:11], s[0:1], 0x44
	s_branch .LBB48_2
.LBB48_22:
                                        ; implicit-def: $sgpr18_sgpr19
	s_branch .LBB48_5
.LBB48_23:
	v_div_scale_f32 v0, null, v11, v11, v10
	s_delay_alu instid0(VALU_DEP_1) | instskip(SKIP_2) | instid1(VALU_DEP_1)
	v_rcp_f32_e32 v3, v0
	s_waitcnt_depctr 0xfff
	v_fma_f32 v4, -v0, v3, 1.0
	v_fmac_f32_e32 v3, v4, v3
	v_div_scale_f32 v4, vcc_lo, v10, v11, v10
	s_waitcnt vmcnt(0)
	s_delay_alu instid0(VALU_DEP_1) | instskip(NEXT) | instid1(VALU_DEP_1)
	v_mul_f32_e32 v5, v4, v3
	v_fma_f32 v6, -v0, v5, v4
	s_delay_alu instid0(VALU_DEP_1) | instskip(NEXT) | instid1(VALU_DEP_1)
	v_fmac_f32_e32 v5, v6, v3
	v_fma_f32 v0, -v0, v5, v4
	s_delay_alu instid0(VALU_DEP_1) | instskip(NEXT) | instid1(VALU_DEP_1)
	v_div_fmas_f32 v0, v0, v3, v5
	v_div_fixup_f32 v0, v0, v11, v10
	global_store_b32 v[1:2], v0, off
.LBB48_24:
	s_nop 0
	s_sendmsg sendmsg(MSG_DEALLOC_VGPRS)
	s_endpgm
	.section	.rodata,"a",@progbits
	.p2align	6, 0x0
	.amdhsa_kernel _ZL33flash_attn_stream_k_fixup_generalILi40ELi2ELi2EEvPfPK15HIP_vector_typeIfLj2EEiiiiS1_IjLj3EES5_S5_S5_
		.amdhsa_group_segment_fixed_size 0
		.amdhsa_private_segment_fixed_size 0
		.amdhsa_kernarg_size 336
		.amdhsa_user_sgpr_count 13
		.amdhsa_user_sgpr_dispatch_ptr 0
		.amdhsa_user_sgpr_queue_ptr 0
		.amdhsa_user_sgpr_kernarg_segment_ptr 1
		.amdhsa_user_sgpr_dispatch_id 0
		.amdhsa_user_sgpr_private_segment_size 0
		.amdhsa_wavefront_size32 1
		.amdhsa_uses_dynamic_stack 0
		.amdhsa_enable_private_segment 0
		.amdhsa_system_sgpr_workgroup_id_x 1
		.amdhsa_system_sgpr_workgroup_id_y 1
		.amdhsa_system_sgpr_workgroup_id_z 1
		.amdhsa_system_sgpr_workgroup_info 0
		.amdhsa_system_vgpr_workitem_id 0
		.amdhsa_next_free_vgpr 19
		.amdhsa_next_free_sgpr 32
		.amdhsa_reserve_vcc 1
		.amdhsa_float_round_mode_32 0
		.amdhsa_float_round_mode_16_64 0
		.amdhsa_float_denorm_mode_32 3
		.amdhsa_float_denorm_mode_16_64 3
		.amdhsa_dx10_clamp 1
		.amdhsa_ieee_mode 1
		.amdhsa_fp16_overflow 0
		.amdhsa_workgroup_processor_mode 1
		.amdhsa_memory_ordered 1
		.amdhsa_forward_progress 0
		.amdhsa_shared_vgpr_count 0
		.amdhsa_exception_fp_ieee_invalid_op 0
		.amdhsa_exception_fp_denorm_src 0
		.amdhsa_exception_fp_ieee_div_zero 0
		.amdhsa_exception_fp_ieee_overflow 0
		.amdhsa_exception_fp_ieee_underflow 0
		.amdhsa_exception_fp_ieee_inexact 0
		.amdhsa_exception_int_div_zero 0
	.end_amdhsa_kernel
	.section	.text._ZL33flash_attn_stream_k_fixup_generalILi40ELi2ELi2EEvPfPK15HIP_vector_typeIfLj2EEiiiiS1_IjLj3EES5_S5_S5_,"axG",@progbits,_ZL33flash_attn_stream_k_fixup_generalILi40ELi2ELi2EEvPfPK15HIP_vector_typeIfLj2EEiiiiS1_IjLj3EES5_S5_S5_,comdat
.Lfunc_end48:
	.size	_ZL33flash_attn_stream_k_fixup_generalILi40ELi2ELi2EEvPfPK15HIP_vector_typeIfLj2EEiiiiS1_IjLj3EES5_S5_S5_, .Lfunc_end48-_ZL33flash_attn_stream_k_fixup_generalILi40ELi2ELi2EEvPfPK15HIP_vector_typeIfLj2EEiiiiS1_IjLj3EES5_S5_S5_
                                        ; -- End function
	.section	.AMDGPU.csdata,"",@progbits
; Kernel info:
; codeLenInByte = 3220
; NumSgprs: 34
; NumVgprs: 19
; ScratchSize: 0
; MemoryBound: 0
; FloatMode: 240
; IeeeMode: 1
; LDSByteSize: 0 bytes/workgroup (compile time only)
; SGPRBlocks: 4
; VGPRBlocks: 2
; NumSGPRsForWavesPerEU: 34
; NumVGPRsForWavesPerEU: 19
; Occupancy: 16
; WaveLimiterHint : 0
; COMPUTE_PGM_RSRC2:SCRATCH_EN: 0
; COMPUTE_PGM_RSRC2:USER_SGPR: 13
; COMPUTE_PGM_RSRC2:TRAP_HANDLER: 0
; COMPUTE_PGM_RSRC2:TGID_X_EN: 1
; COMPUTE_PGM_RSRC2:TGID_Y_EN: 1
; COMPUTE_PGM_RSRC2:TGID_Z_EN: 1
; COMPUTE_PGM_RSRC2:TIDIG_COMP_CNT: 0
	.section	.text._ZL15flash_attn_tileILi40ELi40ELi1ELi2ELb0EEvPKcS1_S1_S1_S1_PKiPfP15HIP_vector_typeIfLj2EEffffjfiS5_IjLj3EEiiiiiiiiiiiliiliiiiil,"axG",@progbits,_ZL15flash_attn_tileILi40ELi40ELi1ELi2ELb0EEvPKcS1_S1_S1_S1_PKiPfP15HIP_vector_typeIfLj2EEffffjfiS5_IjLj3EEiiiiiiiiiiiliiliiiiil,comdat
	.globl	_ZL15flash_attn_tileILi40ELi40ELi1ELi2ELb0EEvPKcS1_S1_S1_S1_PKiPfP15HIP_vector_typeIfLj2EEffffjfiS5_IjLj3EEiiiiiiiiiiiliiliiiiil ; -- Begin function _ZL15flash_attn_tileILi40ELi40ELi1ELi2ELb0EEvPKcS1_S1_S1_S1_PKiPfP15HIP_vector_typeIfLj2EEffffjfiS5_IjLj3EEiiiiiiiiiiiliiliiiiil
	.p2align	8
	.type	_ZL15flash_attn_tileILi40ELi40ELi1ELi2ELb0EEvPKcS1_S1_S1_S1_PKiPfP15HIP_vector_typeIfLj2EEffffjfiS5_IjLj3EEiiiiiiiiiiiliiliiiiil,@function
_ZL15flash_attn_tileILi40ELi40ELi1ELi2ELb0EEvPKcS1_S1_S1_S1_PKiPfP15HIP_vector_typeIfLj2EEffffjfiS5_IjLj3EEiiiiiiiiiiiliiliiiiil: ; @_ZL15flash_attn_tileILi40ELi40ELi1ELi2ELb0EEvPKcS1_S1_S1_S1_PKiPfP15HIP_vector_typeIfLj2EEffffjfiS5_IjLj3EEiiiiiiiiiiiliiliiiiil
; %bb.0:
	s_clause 0x1
	s_load_b128 s[4:7], s[0:1], 0x5c
	s_load_b64 s[34:35], s[0:1], 0x80
	s_mov_b64 s[36:37], 0
	s_waitcnt lgkmcnt(0)
	s_lshr_b32 s2, s7, 31
	s_delay_alu instid0(SALU_CYCLE_1) | instskip(NEXT) | instid1(SALU_CYCLE_1)
	s_add_i32 s2, s7, s2
	s_ashr_i32 s2, s2, 1
	s_delay_alu instid0(SALU_CYCLE_1) | instskip(SKIP_1) | instid1(VALU_DEP_1)
	v_cvt_f32_u32_e32 v1, s2
	s_sub_i32 s8, 0, s2
	v_rcp_iflag_f32_e32 v1, v1
	s_waitcnt_depctr 0xfff
	v_mul_f32_e32 v1, 0x4f7ffffe, v1
	s_delay_alu instid0(VALU_DEP_1) | instskip(NEXT) | instid1(VALU_DEP_1)
	v_cvt_u32_f32_e32 v1, v1
	v_readfirstlane_b32 s3, v1
	s_delay_alu instid0(VALU_DEP_1) | instskip(NEXT) | instid1(SALU_CYCLE_1)
	s_mul_i32 s8, s8, s3
	s_mul_hi_u32 s8, s3, s8
	s_delay_alu instid0(SALU_CYCLE_1) | instskip(NEXT) | instid1(SALU_CYCLE_1)
	s_add_i32 s3, s3, s8
	s_mul_hi_u32 s3, s15, s3
	s_delay_alu instid0(SALU_CYCLE_1) | instskip(SKIP_2) | instid1(SALU_CYCLE_1)
	s_mul_i32 s8, s3, s2
	s_add_i32 s9, s3, 1
	s_sub_i32 s8, s15, s8
	s_sub_i32 s10, s8, s2
	s_cmp_ge_u32 s8, s2
	s_cselect_b32 s3, s9, s3
	s_cselect_b32 s8, s10, s8
	s_add_i32 s9, s3, 1
	s_cmp_ge_u32 s8, s2
	s_cselect_b32 s12, s9, s3
	s_abs_i32 s2, s35
	s_abs_i32 s9, s7
	v_cvt_f32_u32_e32 v1, s2
	s_sub_i32 s8, 0, s2
	s_xor_b32 s10, s7, s35
	s_delay_alu instid0(SALU_CYCLE_1) | instskip(NEXT) | instid1(VALU_DEP_1)
	s_ashr_i32 s10, s10, 31
	v_rcp_iflag_f32_e32 v1, v1
	s_waitcnt_depctr 0xfff
	v_mul_f32_e32 v1, 0x4f7ffffe, v1
	s_delay_alu instid0(VALU_DEP_1) | instskip(NEXT) | instid1(VALU_DEP_1)
	v_cvt_u32_f32_e32 v1, v1
	v_readfirstlane_b32 s3, v1
	s_delay_alu instid0(VALU_DEP_1) | instskip(NEXT) | instid1(SALU_CYCLE_1)
	s_mul_i32 s8, s8, s3
	s_mul_hi_u32 s8, s3, s8
	s_delay_alu instid0(SALU_CYCLE_1) | instskip(SKIP_2) | instid1(SALU_CYCLE_1)
	s_add_i32 s3, s3, s8
	s_lshl_b32 s8, s15, 1
	s_mul_hi_u32 s3, s9, s3
	s_mul_i32 s11, s3, s2
	s_delay_alu instid0(SALU_CYCLE_1)
	s_sub_i32 s9, s9, s11
	s_add_i32 s11, s3, 1
	s_sub_i32 s15, s9, s2
	s_cmp_ge_u32 s9, s2
	s_cselect_b32 s3, s11, s3
	s_cselect_b32 s9, s15, s9
	s_add_i32 s11, s3, 1
	s_cmp_ge_u32 s9, s2
	s_mul_i32 s9, s12, s7
	s_cselect_b32 s2, s11, s3
	s_delay_alu instid0(SALU_CYCLE_1) | instskip(NEXT) | instid1(SALU_CYCLE_1)
	s_xor_b32 s2, s2, s10
	s_sub_i32 s35, s2, s10
	s_clause 0x1
	s_load_b512 s[16:31], s[0:1], 0x0
	s_load_b64 s[2:3], s[0:1], 0xb8
	s_abs_i32 s33, s35
	s_delay_alu instid0(SALU_CYCLE_1) | instskip(NEXT) | instid1(VALU_DEP_1)
	v_cvt_f32_u32_e32 v1, s33
	v_rcp_iflag_f32_e32 v1, v1
	s_waitcnt_depctr 0xfff
	v_mul_f32_e32 v1, 0x4f7ffffe, v1
	s_waitcnt lgkmcnt(0)
	s_cmp_eq_u64 s[22:23], 0
	s_delay_alu instid0(VALU_DEP_1) | instskip(NEXT) | instid1(VALU_DEP_1)
	v_cvt_u32_f32_e32 v1, v1
	v_readfirstlane_b32 s38, v1
	s_cbranch_scc1 .LBB49_2
; %bb.1:
	s_abs_i32 s2, s2
	s_abs_i32 s15, s12
	v_cvt_f32_u32_e32 v1, s2
	s_sub_i32 s11, 0, s2
	s_delay_alu instid0(VALU_DEP_1) | instskip(SKIP_2) | instid1(VALU_DEP_1)
	v_rcp_iflag_f32_e32 v1, v1
	s_waitcnt_depctr 0xfff
	v_mul_f32_e32 v1, 0x4f7ffffe, v1
	v_cvt_u32_f32_e32 v1, v1
	s_delay_alu instid0(VALU_DEP_1) | instskip(NEXT) | instid1(VALU_DEP_1)
	v_readfirstlane_b32 s10, v1
	s_mul_i32 s11, s11, s10
	s_delay_alu instid0(SALU_CYCLE_1) | instskip(NEXT) | instid1(SALU_CYCLE_1)
	s_mul_hi_u32 s11, s10, s11
	s_add_i32 s36, s10, s11
	s_load_b64 s[10:11], s[0:1], 0xc8
	s_mul_hi_u32 s36, s15, s36
	s_delay_alu instid0(SALU_CYCLE_1) | instskip(NEXT) | instid1(SALU_CYCLE_1)
	s_mul_i32 s36, s36, s2
	s_sub_i32 s15, s15, s36
	s_ashr_i32 s36, s12, 31
	s_sub_i32 s37, s15, s2
	s_cmp_ge_u32 s15, s2
	s_cselect_b32 s15, s37, s15
	s_delay_alu instid0(SALU_CYCLE_1) | instskip(SKIP_2) | instid1(SALU_CYCLE_1)
	s_sub_i32 s37, s15, s2
	s_cmp_ge_u32 s15, s2
	s_cselect_b32 s2, s37, s15
	s_xor_b32 s2, s2, s36
	s_delay_alu instid0(SALU_CYCLE_1)
	s_sub_i32 s2, s2, s36
	s_waitcnt lgkmcnt(0)
	s_mul_i32 s11, s2, s11
	s_mul_hi_u32 s15, s2, s10
	s_ashr_i32 s36, s2, 31
	s_add_i32 s11, s15, s11
	s_mul_i32 s36, s36, s10
	s_mul_i32 s2, s2, s10
	s_add_i32 s11, s11, s36
	s_add_u32 s36, s22, s2
	s_addc_u32 s37, s23, s11
.LBB49_2:
	v_bfe_u32 v1, v0, 10, 10
	v_and_b32_e32 v0, 0x3ff, v0
	s_sub_i32 s15, s8, s9
	s_delay_alu instid0(VALU_DEP_2) | instskip(SKIP_1) | instid1(VALU_DEP_3)
	v_lshrrev_b32_e32 v15, 1, v1
	v_and_b32_e32 v16, 1, v1
	v_cmp_gt_u32_e64 s2, 20, v0
	s_delay_alu instid0(VALU_DEP_3) | instskip(NEXT) | instid1(VALU_DEP_1)
	v_add_nc_u32_e32 v3, s13, v15
	v_mul_hi_u32 v4, s4, v3
	s_delay_alu instid0(VALU_DEP_3)
	s_and_saveexec_b32 s4, s2
	s_cbranch_execz .LBB49_4
; %bb.3:
	s_load_b128 s[8:11], s[0:1], 0x70
	s_delay_alu instid0(VALU_DEP_1) | instskip(NEXT) | instid1(VALU_DEP_1)
	v_add_nc_u32_e32 v2, v3, v4
	v_lshrrev_b32_e32 v2, s5, v2
	s_delay_alu instid0(VALU_DEP_1) | instskip(NEXT) | instid1(VALU_DEP_1)
	v_mul_lo_u32 v2, v2, s6
	v_sub_nc_u32_e32 v9, v3, v2
	s_waitcnt lgkmcnt(0)
	s_mul_i32 s10, s12, s10
	s_mul_i32 s11, s15, s9
	s_ashr_i32 s22, s10, 31
	s_add_u32 s10, s16, s10
	s_addc_u32 s16, s17, s22
	s_ashr_i32 s17, s11, 31
	s_add_u32 s10, s10, s11
	s_addc_u32 s11, s16, s17
	s_ashr_i32 s16, s8, 31
	s_delay_alu instid0(SALU_CYCLE_1) | instskip(SKIP_1) | instid1(SALU_CYCLE_1)
	v_alignbit_b32 v2, s16, s8, 2
	s_ashr_i32 s8, s9, 31
	v_alignbit_b32 v10, s8, s9, 2
	s_lshr_b32 s9, s16, 2
	s_delay_alu instid0(VALU_DEP_2) | instskip(SKIP_1) | instid1(SALU_CYCLE_1)
	v_mad_u64_u32 v[5:6], null, v2, v9, 0
	s_lshr_b32 s8, s8, 2
	v_mul_lo_u32 v8, s8, v16
	s_load_b32 s8, s[0:1], 0x40
	s_delay_alu instid0(VALU_DEP_2) | instskip(NEXT) | instid1(VALU_DEP_1)
	v_mov_b32_e32 v2, v6
	v_mad_u64_u32 v[6:7], null, s9, v9, v[2:3]
	v_mul_lo_u32 v7, v10, v16
	s_delay_alu instid0(VALU_DEP_2) | instskip(NEXT) | instid1(VALU_DEP_2)
	v_lshlrev_b64 v[5:6], 2, v[5:6]
	v_lshlrev_b64 v[7:8], 2, v[7:8]
	s_delay_alu instid0(VALU_DEP_1) | instskip(NEXT) | instid1(VALU_DEP_2)
	v_add_co_u32 v2, vcc_lo, s10, v7
	v_add_co_ci_u32_e32 v7, vcc_lo, s11, v8, vcc_lo
	v_lshlrev_b32_e32 v8, 3, v0
	s_delay_alu instid0(VALU_DEP_3) | instskip(NEXT) | instid1(VALU_DEP_3)
	v_add_co_u32 v2, vcc_lo, v2, v5
	v_add_co_ci_u32_e32 v6, vcc_lo, v7, v6, vcc_lo
	s_delay_alu instid0(VALU_DEP_2) | instskip(NEXT) | instid1(VALU_DEP_2)
	v_add_co_u32 v5, vcc_lo, v2, v8
	v_add_co_ci_u32_e32 v6, vcc_lo, 0, v6, vcc_lo
	global_load_b64 v[5:6], v[5:6], off
	s_waitcnt vmcnt(0) lgkmcnt(0)
	v_fma_mixlo_f16 v2, v5, s8, 0
	v_mul_u32_u24_e32 v5, 20, v1
	s_delay_alu instid0(VALU_DEP_2) | instskip(NEXT) | instid1(VALU_DEP_2)
	v_fma_mixhi_f16 v2, v6, s8, 0
	v_add_lshl_u32 v5, v5, v0, 2
	ds_store_b32 v5, v2 offset:3168
.LBB49_4:
	s_or_b32 exec_lo, exec_lo, s4
	s_cmp_eq_u64 s[26:27], 0
	s_waitcnt lgkmcnt(0)
	s_barrier
	buffer_gl0_inv
	s_cbranch_scc1 .LBB49_6
; %bb.5:
	s_load_b32 s4, s[0:1], 0xd0
	s_mov_b32 s9, 0
	s_waitcnt lgkmcnt(0)
	s_mul_i32 s4, s4, s12
	s_delay_alu instid0(SALU_CYCLE_1) | instskip(NEXT) | instid1(SALU_CYCLE_1)
	s_add_i32 s8, s4, s13
	s_lshl_b64 s[8:9], s[8:9], 2
	s_delay_alu instid0(SALU_CYCLE_1)
	s_add_u32 s8, s26, s8
	s_addc_u32 s9, s27, s9
	s_load_b32 s34, s[8:9], 0x0
.LBB49_6:
	v_mbcnt_lo_u32_b32 v17, -1, 0
	s_lshl_b32 s16, s14, 5
	s_waitcnt lgkmcnt(0)
	s_cmp_lt_i32 s16, s34
	s_cbranch_scc1 .LBB49_8
; %bb.7:
	v_mbcnt_lo_u32_b32 v5, -1, 0
	v_mov_b32_e32 v19, 32
	s_mov_b32 s4, 0
	s_mov_b32 s8, 0xfeffffff
	s_delay_alu instid0(VALU_DEP_2)
	v_xor_b32_e32 v25, 16, v5
	v_xor_b32_e32 v24, 8, v5
	;; [unrolled: 1-line block ×5, first 2 shown]
	s_branch .LBB49_9
.LBB49_8:
	s_mov_b32 s4, -1
                                        ; implicit-def: $sgpr8
                                        ; implicit-def: $vgpr5
                                        ; implicit-def: $vgpr19
                                        ; implicit-def: $vgpr25
                                        ; implicit-def: $vgpr24
                                        ; implicit-def: $vgpr23
                                        ; implicit-def: $vgpr22
                                        ; implicit-def: $vgpr21
.LBB49_9:
	s_delay_alu instid0(SALU_CYCLE_1) | instskip(SKIP_1) | instid1(VALU_DEP_2)
	v_cndmask_b32_e64 v2, 0, 1, s4
	v_dual_mov_b32 v18, s4 :: v_dual_mov_b32 v39, s4
	v_cmp_ne_u32_e32 vcc_lo, 1, v2
	v_mov_b32_e32 v2, s8
	s_cbranch_vccnz .LBB49_18
; %bb.10:
	s_clause 0x1
	s_load_b64 s[22:23], s[0:1], 0x8c
	s_load_b128 s[8:11], s[0:1], 0x98
	s_sub_i32 s4, 0, s33
	s_abs_i32 s39, s15
	s_mul_i32 s4, s4, s38
	v_lshrrev_b32_e32 v2, 2, v0
	s_mul_hi_u32 s4, s38, s4
	s_ashr_i32 s40, s15, 31
	s_add_i32 s38, s38, s4
	s_ashr_i32 s35, s35, 31
	s_mul_hi_u32 s4, s39, s38
	s_ashr_i32 s38, s12, 31
	s_load_b64 s[26:27], s[0:1], 0xa8
	s_ashr_i32 s3, s3, 1
	s_mul_i32 s41, s4, s33
	v_dual_mov_b32 v37, 0 :: v_dual_add_nc_u32 v4, v3, v4
	v_lshl_add_u32 v12, v1, 3, v2
	v_lshlrev_b32_e32 v20, 2, v0
	v_lshl_add_u32 v2, v1, 5, v0
	s_waitcnt lgkmcnt(0)
	s_ashr_i32 s17, s22, 2
	s_mul_i32 s9, s12, s9
	s_mul_hi_u32 s22, s12, s8
	s_mul_i32 s42, s38, s8
	s_add_i32 s9, s22, s9
	s_mul_i32 s8, s12, s8
	s_ashr_i32 s10, s10, 2
	s_add_i32 s9, s9, s42
	s_add_u32 s8, s18, s8
	s_addc_u32 s9, s19, s9
	s_sub_i32 s19, s39, s41
	s_xor_b32 s18, s40, s35
	s_add_i32 s22, s4, 1
	s_sub_i32 s35, s19, s33
	s_cmp_ge_u32 s19, s33
	v_lshrrev_b32_e32 v4, s5, v4
	s_cselect_b32 s4, s22, s4
	s_cselect_b32 s19, s35, s19
	v_mul_lo_u32 v5, s17, v12
	v_mul_lo_u32 v11, s10, v12
	s_add_i32 s22, s4, 1
	s_cmp_ge_u32 s19, s33
	v_dual_mov_b32 v18, 0 :: v_dual_and_b32 v19, 12, v20
	v_mul_lo_u32 v4, v4, s6
	s_cselect_b32 s4, s22, s4
	v_mul_lo_u32 v9, s17, v2
	v_mul_lo_u32 v13, s10, v2
	s_xor_b32 s4, s4, s18
	v_lshlrev_b32_e32 v14, 2, v19
	s_sub_i32 s4, s4, s18
	v_lshl_add_u32 v7, s17, 4, v5
	v_lshl_add_u32 v39, s10, 4, v11
	s_mul_i32 s22, s4, s23
	v_sub_nc_u32_e32 v3, v3, v4
	s_mul_i32 s19, s12, s27
	s_mul_hi_u32 s18, s12, s26
	s_ashr_i32 s23, s22, 31
	s_add_u32 s8, s8, s22
	v_mad_u32_u24 v26, 0x60, v12, v14
	v_ashrrev_i32_e32 v6, 31, v5
	v_ashrrev_i32_e32 v8, 31, v7
	;; [unrolled: 1-line block ×3, first 2 shown]
	v_mad_u32_u24 v30, 0x60, v2, 64
	v_lshlrev_b32_e32 v4, 4, v2
	v_mad_u32_u24 v33, 0x50, v12, v14
	v_ashrrev_i32_e32 v14, 31, v13
	v_ashrrev_i32_e32 v12, 31, v11
	v_ashrrev_i32_e32 v40, 31, v39
	s_mul_i32 s38, s38, s26
	s_addc_u32 s9, s9, s23
	s_add_i32 s18, s18, s19
	v_lshl_add_u32 v31, v1, 6, 0xd00
	s_mul_i32 s19, s12, s26
	s_add_i32 s18, s18, s38
	s_mul_i32 s4, s4, s11
	v_cmp_gt_u32_e32 vcc_lo, 32, v2
	v_mul_u32_u24_e32 v29, 0x50, v1
	v_mad_u64_u32 v[1:2], null, v3, s3, v[0:1]
	s_add_u32 s19, s20, s19
	s_addc_u32 s18, s21, s18
	s_ashr_i32 s20, s4, 31
	v_sub_nc_u32_e32 v34, v30, v4
	v_lshlrev_b64 v[3:4], 2, v[9:10]
	v_lshlrev_b64 v[5:6], 2, v[5:6]
	v_lshlrev_b64 v[7:8], 2, v[7:8]
	v_lshlrev_b64 v[9:10], 2, v[13:14]
	v_lshlrev_b64 v[11:12], 2, v[11:12]
	v_lshlrev_b64 v[13:14], 2, v[39:40]
	s_add_u32 s11, s19, s4
	v_add_nc_u32_e32 v27, 0x600, v26
	v_mul_u32_u24_e32 v28, 0x60, v0
	v_lshl_add_u32 v32, v0, 1, v31
	v_add_nc_u32_e32 v35, 0x500, v33
	v_mov_b32_e32 v38, 0xfeffffff
	v_dual_mov_b32 v19, 32 :: v_dual_lshlrev_b32 v36, 2, v19
	v_xor_b32_e32 v25, 16, v17
	v_xor_b32_e32 v24, 8, v17
	;; [unrolled: 1-line block ×5, first 2 shown]
	s_addc_u32 s18, s18, s20
	s_add_u32 s4, s0, 0xd0
	s_addc_u32 s5, s1, 0
.LBB49_11:                              ; =>This Inner Loop Header: Depth=1
	s_mul_hi_i32 s21, s16, s17
	s_mul_i32 s20, s16, s17
	s_delay_alu instid0(SALU_CYCLE_1) | instskip(NEXT) | instid1(SALU_CYCLE_1)
	s_lshl_b64 s[20:21], s[20:21], 2
	s_add_u32 s19, s8, s20
	s_addc_u32 s20, s9, s21
	s_and_saveexec_b32 s21, vcc_lo
	s_cbranch_execz .LBB49_13
; %bb.12:                               ;   in Loop: Header=BB49_11 Depth=1
	v_add_co_u32 v39, s3, s19, v3
	s_delay_alu instid0(VALU_DEP_1)
	v_add_co_ci_u32_e64 v40, s3, s20, v4, s3
	global_load_b128 v[39:42], v[39:40], off offset:64
	s_waitcnt vmcnt(0)
	ds_store_b128 v30, v[39:42]
.LBB49_13:                              ;   in Loop: Header=BB49_11 Depth=1
	s_or_b32 exec_lo, exec_lo, s21
	v_add_co_u32 v2, s3, s19, v5
	s_delay_alu instid0(VALU_DEP_1) | instskip(SKIP_1) | instid1(VALU_DEP_1)
	v_add_co_ci_u32_e64 v40, s3, s20, v6, s3
	v_add_co_u32 v41, s3, s19, v7
	v_add_co_ci_u32_e64 v42, s3, s20, v8, s3
	s_delay_alu instid0(VALU_DEP_4) | instskip(NEXT) | instid1(VALU_DEP_1)
	v_add_co_u32 v39, s3, v2, v36
	v_add_co_ci_u32_e64 v40, s3, 0, v40, s3
	s_delay_alu instid0(VALU_DEP_4) | instskip(NEXT) | instid1(VALU_DEP_1)
	v_add_co_u32 v43, s3, v41, v36
	v_add_co_ci_u32_e64 v44, s3, 0, v42, s3
	s_clause 0x1
	global_load_b128 v[39:42], v[39:40], off
	global_load_b128 v[43:46], v[43:44], off
	v_dual_mov_b32 v2, 0 :: v_dual_add_nc_u32 v47, s16, v1
	s_mul_hi_i32 s21, s16, s10
	s_mul_i32 s20, s16, s10
	s_waitcnt vmcnt(1)
	ds_store_b128 v26, v[39:42]
	s_waitcnt vmcnt(0)
	ds_store_b128 v27, v[43:46]
	s_waitcnt lgkmcnt(0)
	s_barrier
	buffer_gl0_inv
	ds_load_b128 v[39:42], v28
	ds_load_b128 v[43:46], v29 offset:3168
	v_ashrrev_i32_e32 v48, 31, v47
	s_lshl_b64 s[20:21], s[20:21], 2
	s_waitcnt lgkmcnt(0)
	;;#ASMSTART
	v_dot2_f32_f16 v2, v39, v43, v2
	;;#ASMEND
	;;#ASMSTART
	v_dot2_f32_f16 v2, v40, v44, v2
	;;#ASMEND
	;; [unrolled: 3-line block ×4, first 2 shown]
	ds_load_b128 v[39:42], v28 offset:16
	ds_load_b128 v[43:46], v29 offset:3184
	v_lshlrev_b64 v[47:48], 1, v[47:48]
	s_add_u32 s19, s11, s20
	s_addc_u32 s20, s18, s21
	s_waitcnt lgkmcnt(0)
	;;#ASMSTART
	v_dot2_f32_f16 v2, v39, v43, v2
	;;#ASMEND
	;;#ASMSTART
	v_dot2_f32_f16 v2, v40, v44, v2
	;;#ASMEND
	;; [unrolled: 3-line block ×4, first 2 shown]
	ds_load_b128 v[39:42], v28 offset:32
	ds_load_b128 v[43:46], v29 offset:3200
	v_add_co_u32 v47, s3, s36, v47
	s_delay_alu instid0(VALU_DEP_1)
	v_add_co_ci_u32_e64 v48, s3, s37, v48, s3
	v_cmp_gt_i32_e64 s3, 32, v25
	s_waitcnt lgkmcnt(0)
	;;#ASMSTART
	v_dot2_f32_f16 v2, v39, v43, v2
	;;#ASMEND
	;;#ASMSTART
	v_dot2_f32_f16 v2, v40, v44, v2
	;;#ASMEND
	;; [unrolled: 3-line block ×4, first 2 shown]
	ds_load_b128 v[39:42], v28 offset:48
	ds_load_b128 v[43:46], v29 offset:3216
	s_waitcnt lgkmcnt(0)
	;;#ASMSTART
	v_dot2_f32_f16 v2, v39, v43, v2
	;;#ASMEND
	;;#ASMSTART
	v_dot2_f32_f16 v2, v40, v44, v2
	;;#ASMEND
	;; [unrolled: 3-line block ×4, first 2 shown]
	ds_load_b128 v[39:42], v28 offset:64
	ds_load_b128 v[43:46], v29 offset:3232
	s_waitcnt lgkmcnt(0)
	;;#ASMSTART
	v_dot2_f32_f16 v2, v39, v43, v2
	;;#ASMEND
	;;#ASMSTART
	v_dot2_f32_f16 v2, v40, v44, v2
	;;#ASMEND
	;; [unrolled: 3-line block ×4, first 2 shown]
	flat_load_u16 v39, v[47:48]
	v_cndmask_b32_e64 v40, v17, v25, s3
	v_cmp_gt_i32_e64 s3, 32, v24
	s_waitcnt vmcnt(0) lgkmcnt(0)
	s_barrier
	buffer_gl0_inv
	v_lshlrev_b32_e32 v40, 2, v40
	v_cvt_f32_f16_e32 v39, v39
	s_delay_alu instid0(VALU_DEP_1) | instskip(NEXT) | instid1(VALU_DEP_1)
	v_add_f32_e32 v39, v2, v39
	v_dual_max_f32 v2, v38, v38 :: v_dual_add_f32 v41, 0x40051340, v39
	s_delay_alu instid0(VALU_DEP_1)
	v_max_f32_e32 v2, v2, v41
	v_cndmask_b32_e64 v41, v17, v24, s3
	v_cmp_gt_i32_e64 s3, 32, v23
	ds_bpermute_b32 v40, v40, v2
	s_waitcnt lgkmcnt(0)
	v_dual_max_f32 v40, v40, v40 :: v_dual_lshlrev_b32 v41, 2, v41
	s_delay_alu instid0(VALU_DEP_1) | instskip(SKIP_4) | instid1(VALU_DEP_2)
	v_max_f32_e32 v2, v2, v40
	ds_bpermute_b32 v40, v41, v2
	v_cndmask_b32_e64 v41, v17, v23, s3
	v_cmp_gt_i32_e64 s3, 32, v22
	s_waitcnt lgkmcnt(0)
	v_dual_max_f32 v40, v40, v40 :: v_dual_lshlrev_b32 v41, 2, v41
	s_delay_alu instid0(VALU_DEP_1) | instskip(SKIP_4) | instid1(VALU_DEP_2)
	v_max_f32_e32 v2, v2, v40
	ds_bpermute_b32 v40, v41, v2
	v_cndmask_b32_e64 v41, v17, v22, s3
	v_cmp_gt_i32_e64 s3, 32, v21
	s_waitcnt lgkmcnt(0)
	v_dual_max_f32 v40, v40, v40 :: v_dual_lshlrev_b32 v41, 2, v41
	s_delay_alu instid0(VALU_DEP_1) | instskip(SKIP_3) | instid1(VALU_DEP_1)
	v_max_f32_e32 v2, v2, v40
	ds_bpermute_b32 v40, v41, v2
	v_cndmask_b32_e64 v41, v17, v21, s3
	s_waitcnt lgkmcnt(0)
	v_dual_max_f32 v40, v40, v40 :: v_dual_lshlrev_b32 v41, 2, v41
	s_delay_alu instid0(VALU_DEP_1) | instskip(SKIP_3) | instid1(VALU_DEP_1)
	v_max_f32_e32 v2, v2, v40
	ds_bpermute_b32 v40, v41, v2
	s_waitcnt lgkmcnt(0)
	v_max_f32_e32 v40, v40, v40
	v_max_f32_e32 v2, v2, v40
	s_delay_alu instid0(VALU_DEP_1) | instskip(NEXT) | instid1(VALU_DEP_1)
	v_sub_f32_e32 v39, v39, v2
	v_mul_f32_e32 v40, 0x3fb8aa3b, v39
	v_cmp_ngt_f32_e64 s3, 0xc2ce8ed0, v39
	s_delay_alu instid0(VALU_DEP_2) | instskip(SKIP_1) | instid1(VALU_DEP_1)
	v_fma_f32 v41, 0x3fb8aa3b, v39, -v40
	v_rndne_f32_e32 v42, v40
	v_dual_fmac_f32 v41, 0x32a5705f, v39 :: v_dual_sub_f32 v40, v40, v42
	s_delay_alu instid0(VALU_DEP_1) | instskip(SKIP_1) | instid1(VALU_DEP_2)
	v_add_f32_e32 v40, v40, v41
	v_cvt_i32_f32_e32 v41, v42
	v_exp_f32_e32 v40, v40
	s_waitcnt_depctr 0xfff
	v_ldexp_f32 v40, v40, v41
	s_delay_alu instid0(VALU_DEP_1) | instskip(SKIP_1) | instid1(VALU_DEP_1)
	v_cndmask_b32_e64 v40, 0, v40, s3
	v_cmp_nlt_f32_e64 s3, 0x42b17218, v39
	v_cndmask_b32_e64 v39, 0x7f800000, v40, s3
	s_delay_alu instid0(VALU_DEP_1)
	v_cvt_f16_f32_e32 v40, v39
	ds_store_b16 v32, v40
	s_and_saveexec_b32 s21, vcc_lo
	s_cbranch_execz .LBB49_15
; %bb.14:                               ;   in Loop: Header=BB49_11 Depth=1
	v_add_co_u32 v40, s3, s19, v9
	s_delay_alu instid0(VALU_DEP_1)
	v_add_co_ci_u32_e64 v41, s3, s20, v10, s3
	global_load_b128 v[40:43], v[40:41], off offset:64
	s_waitcnt vmcnt(0)
	ds_store_b128 v34, v[40:43]
.LBB49_15:                              ;   in Loop: Header=BB49_11 Depth=1
	s_or_b32 exec_lo, exec_lo, s21
	v_add_co_u32 v40, s3, s19, v11
	s_delay_alu instid0(VALU_DEP_1) | instskip(SKIP_1) | instid1(VALU_DEP_1)
	v_add_co_ci_u32_e64 v41, s3, s20, v12, s3
	v_add_co_u32 v42, s3, s19, v13
	v_add_co_ci_u32_e64 v43, s3, s20, v14, s3
	s_delay_alu instid0(VALU_DEP_4) | instskip(NEXT) | instid1(VALU_DEP_1)
	v_add_co_u32 v40, s3, v40, v36
	v_add_co_ci_u32_e64 v41, s3, 0, v41, s3
	s_delay_alu instid0(VALU_DEP_4) | instskip(NEXT) | instid1(VALU_DEP_1)
	v_add_co_u32 v44, s3, v42, v36
	v_add_co_ci_u32_e64 v45, s3, 0, v43, s3
	s_clause 0x1
	global_load_b128 v[40:43], v[40:41], off
	global_load_b128 v[44:47], v[44:45], off
	v_sub_f32_e32 v38, v38, v2
	s_waitcnt vmcnt(1)
	ds_store_b128 v33, v[40:43]
	s_waitcnt vmcnt(0)
	ds_store_b128 v35, v[44:47]
	v_mul_f32_e32 v48, 0x3fb8aa3b, v38
	s_waitcnt lgkmcnt(0)
	s_barrier
	buffer_gl0_inv
	v_cmp_ngt_f32_e64 s3, 0xc2ce8ed0, v38
	v_fma_f32 v49, 0x3fb8aa3b, v38, -v48
	v_rndne_f32_e32 v50, v48
	s_delay_alu instid0(VALU_DEP_2) | instskip(NEXT) | instid1(VALU_DEP_2)
	v_fmac_f32_e32 v49, 0x32a5705f, v38
	v_sub_f32_e32 v48, v48, v50
	v_cvt_i32_f32_e32 v50, v50
	s_delay_alu instid0(VALU_DEP_2) | instskip(NEXT) | instid1(VALU_DEP_1)
	v_add_f32_e32 v48, v48, v49
	v_exp_f32_e32 v51, v48
	ds_load_2addr_b32 v[48:49], v20 offset1:20
	ds_load_b128 v[40:43], v31
	ds_load_2addr_b32 v[52:53], v20 offset0:80 offset1:100
	v_ldexp_f32 v44, v51, v50
	ds_load_2addr_b32 v[50:51], v20 offset0:40 offset1:60
	v_cndmask_b32_e64 v44, 0, v44, s3
	v_cmp_nlt_f32_e64 s3, 0x42b17218, v38
	s_delay_alu instid0(VALU_DEP_1)
	v_cndmask_b32_e64 v38, 0x7f800000, v44, s3
	s_waitcnt lgkmcnt(2)
	v_pk_mul_f16 v48, v48, v40 op_sel_hi:[1,0]
	ds_load_b128 v[44:47], v31 offset:16
	v_fmac_f32_e32 v39, v37, v38
	v_cvt_f16_f32_e32 v54, v38
	s_delay_alu instid0(VALU_DEP_1) | instskip(SKIP_1) | instid1(VALU_DEP_2)
	v_pk_fma_f16 v18, v18, v54, v48 op_sel_hi:[1,0,1]
	v_add_nc_u32_e32 v54, 0x400, v20
	v_pk_fma_f16 v18, v49, v40, v18 op_sel:[0,1,0]
	ds_load_2addr_b32 v[48:49], v20 offset0:120 offset1:140
	s_waitcnt lgkmcnt(2)
	v_pk_fma_f16 v18, v50, v41, v18 op_sel_hi:[1,0,1]
	s_delay_alu instid0(VALU_DEP_1) | instskip(SKIP_3) | instid1(VALU_DEP_1)
	v_pk_fma_f16 v18, v51, v41, v18 op_sel:[0,1,0]
	ds_load_2addr_b32 v[40:41], v20 offset0:160 offset1:180
	ds_load_2addr_b32 v[50:51], v20 offset0:200 offset1:220
	v_pk_fma_f16 v18, v52, v42, v18 op_sel_hi:[1,0,1]
	v_pk_fma_f16 v18, v53, v42, v18 op_sel:[0,1,0]
	v_add_nc_u32_e32 v42, 0x200, v20
	ds_load_2addr_b32 v[52:53], v54 offset0:24 offset1:44
	s_waitcnt lgkmcnt(3)
	v_pk_fma_f16 v18, v48, v43, v18 op_sel_hi:[1,0,1]
	s_delay_alu instid0(VALU_DEP_1) | instskip(SKIP_3) | instid1(VALU_DEP_1)
	v_pk_fma_f16 v18, v49, v43, v18 op_sel:[0,1,0]
	ds_load_2addr_b32 v[48:49], v42 offset0:112 offset1:132
	s_waitcnt lgkmcnt(3)
	v_pk_fma_f16 v18, v40, v44, v18 op_sel_hi:[1,0,1]
	v_pk_fma_f16 v18, v41, v44, v18 op_sel:[0,1,0]
	ds_load_b128 v[40:43], v31 offset:32
	s_waitcnt lgkmcnt(3)
	v_pk_fma_f16 v18, v50, v45, v18 op_sel_hi:[1,0,1]
	s_delay_alu instid0(VALU_DEP_1) | instskip(SKIP_3) | instid1(VALU_DEP_1)
	v_pk_fma_f16 v18, v51, v45, v18 op_sel:[0,1,0]
	ds_load_2addr_b32 v[50:51], v54 offset0:64 offset1:84
	s_waitcnt lgkmcnt(2)
	v_pk_fma_f16 v18, v48, v46, v18 op_sel_hi:[1,0,1]
	v_pk_fma_f16 v18, v49, v46, v18 op_sel:[0,1,0]
	ds_load_2addr_b32 v[48:49], v54 offset0:104 offset1:124
	v_pk_fma_f16 v18, v52, v47, v18 op_sel_hi:[1,0,1]
	s_delay_alu instid0(VALU_DEP_1) | instskip(SKIP_4) | instid1(VALU_DEP_1)
	v_pk_fma_f16 v18, v53, v47, v18 op_sel:[0,1,0]
	ds_load_b128 v[44:47], v31 offset:48
	ds_load_2addr_b32 v[52:53], v54 offset0:144 offset1:164
	s_waitcnt lgkmcnt(3)
	v_pk_fma_f16 v18, v50, v40, v18 op_sel_hi:[1,0,1]
	v_pk_fma_f16 v18, v51, v40, v18 op_sel:[0,1,0]
	ds_load_2addr_b32 v[50:51], v54 offset0:184 offset1:204
	s_waitcnt lgkmcnt(3)
	v_pk_fma_f16 v18, v48, v41, v18 op_sel_hi:[1,0,1]
	s_delay_alu instid0(VALU_DEP_1) | instskip(SKIP_4) | instid1(VALU_DEP_2)
	v_pk_fma_f16 v18, v49, v41, v18 op_sel:[0,1,0]
	ds_load_2addr_b32 v[40:41], v54 offset0:224 offset1:244
	s_waitcnt lgkmcnt(2)
	v_pk_fma_f16 v18, v52, v42, v18 op_sel_hi:[1,0,1]
	v_add_nc_u32_e32 v52, 0x800, v20
	v_pk_fma_f16 v18, v53, v42, v18 op_sel:[0,1,0]
	ds_load_2addr_b32 v[48:49], v52 offset0:8 offset1:28
	s_waitcnt lgkmcnt(2)
	v_pk_fma_f16 v18, v50, v43, v18 op_sel_hi:[1,0,1]
	s_delay_alu instid0(VALU_DEP_1) | instskip(SKIP_3) | instid1(VALU_DEP_1)
	v_pk_fma_f16 v18, v51, v43, v18 op_sel:[0,1,0]
	ds_load_2addr_b32 v[42:43], v52 offset0:48 offset1:68
	s_waitcnt lgkmcnt(2)
	v_pk_fma_f16 v18, v40, v44, v18 op_sel_hi:[1,0,1]
	v_pk_fma_f16 v18, v41, v44, v18 op_sel:[0,1,0]
	ds_load_2addr_b32 v[40:41], v52 offset0:88 offset1:108
	s_waitcnt lgkmcnt(0)
	s_barrier
	buffer_gl0_inv
	v_pk_fma_f16 v18, v48, v45, v18 op_sel_hi:[1,0,1]
	s_load_b32 s3, s[4:5], 0x4
	s_delay_alu instid0(VALU_DEP_1) | instskip(NEXT) | instid1(VALU_DEP_1)
	v_pk_fma_f16 v18, v49, v45, v18 op_sel:[0,1,0]
	v_pk_fma_f16 v18, v42, v46, v18 op_sel_hi:[1,0,1]
	s_delay_alu instid0(VALU_DEP_1) | instskip(NEXT) | instid1(VALU_DEP_1)
	v_pk_fma_f16 v18, v43, v46, v18 op_sel:[0,1,0]
	v_pk_fma_f16 v18, v40, v47, v18 op_sel_hi:[1,0,1]
	s_waitcnt lgkmcnt(0)
	s_lshl_b32 s3, s3, 5
	s_delay_alu instid0(SALU_CYCLE_1) | instskip(NEXT) | instid1(VALU_DEP_1)
	s_add_i32 s16, s3, s16
	v_pk_fma_f16 v18, v41, v47, v18 op_sel:[0,1,0]
	s_cmp_lt_i32 s16, s34
	s_cbranch_scc0 .LBB49_17
; %bb.16:                               ;   in Loop: Header=BB49_11 Depth=1
	v_dual_mov_b32 v38, v2 :: v_dual_mov_b32 v37, v39
	s_branch .LBB49_11
.LBB49_17:
	v_mov_b32_e32 v5, v17
.LBB49_18:
	v_cmp_lt_i32_e32 vcc_lo, v25, v19
	s_cmp_eq_u64 s[24:25], 0
	s_cselect_b32 s3, -1, 0
	s_cmp_lg_u32 s14, 0
	v_cndmask_b32_e32 v1, v5, v25, vcc_lo
	v_cmp_lt_i32_e32 vcc_lo, v24, v19
	s_cselect_b32 s4, -1, 0
	s_delay_alu instid0(SALU_CYCLE_1) | instskip(SKIP_2) | instid1(VALU_DEP_2)
	s_or_b32 s3, s4, s3
	v_cndmask_b32_e32 v3, v5, v24, vcc_lo
	v_cmp_lt_i32_e32 vcc_lo, v23, v19
	v_lshlrev_b32_e32 v3, 2, v3
	v_cndmask_b32_e32 v4, v5, v23, vcc_lo
	v_cmp_lt_i32_e32 vcc_lo, v22, v19
	s_delay_alu instid0(VALU_DEP_2)
	v_lshlrev_b32_e32 v4, 2, v4
	v_lshlrev_b32_e32 v1, 2, v1
	ds_bpermute_b32 v1, v1, v39
	s_waitcnt lgkmcnt(0)
	v_add_f32_e32 v1, v39, v1
	ds_bpermute_b32 v3, v3, v1
	s_waitcnt lgkmcnt(0)
	v_add_f32_e32 v1, v1, v3
	ds_bpermute_b32 v3, v4, v1
	v_cndmask_b32_e32 v4, v5, v22, vcc_lo
	v_cmp_lt_i32_e32 vcc_lo, v21, v19
	s_waitcnt lgkmcnt(0)
	s_delay_alu instid0(VALU_DEP_2) | instskip(SKIP_4) | instid1(VALU_DEP_1)
	v_dual_add_f32 v1, v1, v3 :: v_dual_lshlrev_b32 v4, 2, v4
	ds_bpermute_b32 v3, v4, v1
	v_cndmask_b32_e32 v4, v5, v21, vcc_lo
	s_and_b32 vcc_lo, exec_lo, s3
	s_waitcnt lgkmcnt(0)
	v_dual_add_f32 v1, v1, v3 :: v_dual_lshlrev_b32 v4, 2, v4
	ds_bpermute_b32 v3, v4, v1
	s_waitcnt lgkmcnt(0)
	v_dual_add_f32 v3, v1, v3 :: v_dual_add_nc_u32 v4, s15, v16
	s_cbranch_vccnz .LBB49_20
; %bb.19:
	s_delay_alu instid0(VALU_DEP_1) | instskip(NEXT) | instid1(VALU_DEP_1)
	v_ashrrev_i32_e32 v5, 31, v4
	v_lshlrev_b64 v[5:6], 2, v[4:5]
	s_delay_alu instid0(VALU_DEP_1) | instskip(NEXT) | instid1(VALU_DEP_2)
	v_add_co_u32 v5, vcc_lo, s24, v5
	v_add_co_ci_u32_e32 v6, vcc_lo, s25, v6, vcc_lo
	global_load_b32 v1, v[5:6], off
	s_waitcnt vmcnt(0)
	v_dual_max_f32 v5, v2, v2 :: v_dual_max_f32 v6, v1, v1
	s_delay_alu instid0(VALU_DEP_1) | instskip(NEXT) | instid1(VALU_DEP_1)
	v_max_f32_e32 v5, v5, v6
	v_sub_f32_e32 v2, v2, v5
	s_delay_alu instid0(VALU_DEP_1) | instskip(NEXT) | instid1(VALU_DEP_1)
	v_mul_f32_e32 v6, 0x3fb8aa3b, v2
	v_rndne_f32_e32 v9, v6
	v_fma_f32 v8, 0x3fb8aa3b, v2, -v6
	s_delay_alu instid0(VALU_DEP_2) | instskip(SKIP_1) | instid1(VALU_DEP_1)
	v_sub_f32_e32 v6, v6, v9
	v_sub_f32_e32 v1, v1, v5
	v_mul_f32_e32 v7, 0x3fb8aa3b, v1
	s_delay_alu instid0(VALU_DEP_1) | instskip(SKIP_1) | instid1(VALU_DEP_2)
	v_rndne_f32_e32 v11, v7
	v_fma_f32 v10, 0x3fb8aa3b, v1, -v7
	v_dual_sub_f32 v7, v7, v11 :: v_dual_fmac_f32 v8, 0x32a5705f, v2
	v_cmp_ngt_f32_e32 vcc_lo, 0xc2ce8ed0, v2
	s_delay_alu instid0(VALU_DEP_2) | instskip(SKIP_2) | instid1(VALU_DEP_3)
	v_add_f32_e32 v6, v6, v8
	v_cvt_i32_f32_e32 v8, v9
	v_cvt_i32_f32_e32 v9, v11
	v_exp_f32_e32 v6, v6
	s_waitcnt_depctr 0xfff
	v_ldexp_f32 v6, v6, v8
	s_delay_alu instid0(VALU_DEP_1) | instskip(SKIP_2) | instid1(VALU_DEP_1)
	v_cndmask_b32_e32 v6, 0, v6, vcc_lo
	v_cmp_ngt_f32_e32 vcc_lo, 0xc2ce8ed0, v1
	v_fmac_f32_e32 v10, 0x32a5705f, v1
	v_add_f32_e32 v7, v7, v10
	s_delay_alu instid0(VALU_DEP_1) | instskip(SKIP_2) | instid1(VALU_DEP_1)
	v_exp_f32_e32 v7, v7
	s_waitcnt_depctr 0xfff
	v_ldexp_f32 v7, v7, v9
	v_cndmask_b32_e32 v7, 0, v7, vcc_lo
	v_cmp_nlt_f32_e32 vcc_lo, 0x42b17218, v2
	v_cndmask_b32_e32 v2, 0x7f800000, v6, vcc_lo
	v_cmp_nlt_f32_e32 vcc_lo, 0x42b17218, v1
	s_delay_alu instid0(VALU_DEP_2) | instskip(SKIP_1) | instid1(VALU_DEP_2)
	v_cvt_f16_f32_e32 v6, v2
	v_cndmask_b32_e32 v1, 0x7f800000, v7, vcc_lo
	v_pk_mul_f16 v18, v18, v6 op_sel_hi:[1,0]
	s_delay_alu instid0(VALU_DEP_2) | instskip(NEXT) | instid1(VALU_DEP_1)
	v_dual_fmac_f32 v1, v3, v2 :: v_dual_mov_b32 v2, v5
	v_mov_b32_e32 v3, v1
.LBB49_20:
	s_load_b32 s0, s[0:1], 0xd4
	s_mul_i32 s12, s12, s6
	s_delay_alu instid0(SALU_CYCLE_1) | instskip(NEXT) | instid1(VALU_DEP_1)
	v_add3_u32 v1, s12, s13, v15
	v_mad_u64_u32 v[6:7], null, v1, s7, v[4:5]
	s_waitcnt lgkmcnt(0)
	s_delay_alu instid0(VALU_DEP_1)
	v_mad_u64_u32 v[4:5], null, s0, v6, s[14:15]
	s_cmp_lg_u32 s0, 1
	s_cselect_b32 s0, -1, 0
	s_and_saveexec_b32 s1, s2
	s_cbranch_execz .LBB49_22
; %bb.21:
	v_div_scale_f32 v1, null, v3, v3, 1.0
	v_div_scale_f32 v7, vcc_lo, 1.0, v3, 1.0
	v_cvt_f32_f16_e32 v9, v18
	s_delay_alu instid0(VALU_DEP_3) | instskip(SKIP_2) | instid1(VALU_DEP_1)
	v_rcp_f32_e32 v5, v1
	s_waitcnt_depctr 0xfff
	v_fma_f32 v6, -v1, v5, 1.0
	v_fmac_f32_e32 v5, v6, v5
	s_delay_alu instid0(VALU_DEP_1) | instskip(NEXT) | instid1(VALU_DEP_1)
	v_mul_f32_e32 v6, v7, v5
	v_fma_f32 v8, -v1, v6, v7
	s_delay_alu instid0(VALU_DEP_1) | instskip(SKIP_1) | instid1(VALU_DEP_2)
	v_fmac_f32_e32 v6, v8, v5
	v_lshrrev_b32_e32 v8, 16, v18
	v_fma_f32 v1, -v1, v6, v7
	v_mul_lo_u32 v7, v4, 40
	s_delay_alu instid0(VALU_DEP_2) | instskip(SKIP_1) | instid1(VALU_DEP_3)
	v_div_fmas_f32 v1, v1, v5, v6
	v_mov_b32_e32 v6, 0
	v_lshl_add_u32 v5, v0, 1, v7
	s_delay_alu instid0(VALU_DEP_3) | instskip(SKIP_1) | instid1(VALU_DEP_3)
	v_div_fixup_f32 v1, v1, v3, 1.0
	v_cvt_f32_f16_e32 v7, v8
	v_lshlrev_b64 v[5:6], 2, v[5:6]
	s_delay_alu instid0(VALU_DEP_3) | instskip(NEXT) | instid1(VALU_DEP_2)
	v_cndmask_b32_e64 v1, v1, 1.0, s0
	v_add_co_u32 v5, vcc_lo, s28, v5
	s_delay_alu instid0(VALU_DEP_2)
	v_mul_f32_e32 v8, v1, v7
	v_mul_f32_e32 v7, v1, v9
	v_add_co_ci_u32_e32 v6, vcc_lo, s29, v6, vcc_lo
	global_store_b64 v[5:6], v[7:8], off
.LBB49_22:
	s_or_b32 exec_lo, exec_lo, s1
	v_cmp_eq_u32_e32 vcc_lo, 0, v0
	s_and_b32 s0, vcc_lo, s0
	s_delay_alu instid0(SALU_CYCLE_1)
	s_and_saveexec_b32 s1, s0
	s_cbranch_execz .LBB49_24
; %bb.23:
	v_ashrrev_i32_e32 v5, 31, v4
	s_delay_alu instid0(VALU_DEP_1) | instskip(NEXT) | instid1(VALU_DEP_1)
	v_lshlrev_b64 v[0:1], 3, v[4:5]
	v_add_co_u32 v0, vcc_lo, s30, v0
	s_delay_alu instid0(VALU_DEP_2)
	v_add_co_ci_u32_e32 v1, vcc_lo, s31, v1, vcc_lo
	global_store_b64 v[0:1], v[2:3], off
.LBB49_24:
	s_nop 0
	s_sendmsg sendmsg(MSG_DEALLOC_VGPRS)
	s_endpgm
	.section	.rodata,"a",@progbits
	.p2align	6, 0x0
	.amdhsa_kernel _ZL15flash_attn_tileILi40ELi40ELi1ELi2ELb0EEvPKcS1_S1_S1_S1_PKiPfP15HIP_vector_typeIfLj2EEffffjfiS5_IjLj3EEiiiiiiiiiiiliiliiiiil
		.amdhsa_group_segment_fixed_size 3456
		.amdhsa_private_segment_fixed_size 0
		.amdhsa_kernarg_size 464
		.amdhsa_user_sgpr_count 13
		.amdhsa_user_sgpr_dispatch_ptr 0
		.amdhsa_user_sgpr_queue_ptr 0
		.amdhsa_user_sgpr_kernarg_segment_ptr 1
		.amdhsa_user_sgpr_dispatch_id 0
		.amdhsa_user_sgpr_private_segment_size 0
		.amdhsa_wavefront_size32 1
		.amdhsa_uses_dynamic_stack 0
		.amdhsa_enable_private_segment 0
		.amdhsa_system_sgpr_workgroup_id_x 1
		.amdhsa_system_sgpr_workgroup_id_y 1
		.amdhsa_system_sgpr_workgroup_id_z 1
		.amdhsa_system_sgpr_workgroup_info 0
		.amdhsa_system_vgpr_workitem_id 1
		.amdhsa_next_free_vgpr 55
		.amdhsa_next_free_sgpr 43
		.amdhsa_reserve_vcc 1
		.amdhsa_float_round_mode_32 0
		.amdhsa_float_round_mode_16_64 0
		.amdhsa_float_denorm_mode_32 3
		.amdhsa_float_denorm_mode_16_64 3
		.amdhsa_dx10_clamp 1
		.amdhsa_ieee_mode 1
		.amdhsa_fp16_overflow 0
		.amdhsa_workgroup_processor_mode 1
		.amdhsa_memory_ordered 1
		.amdhsa_forward_progress 0
		.amdhsa_shared_vgpr_count 0
		.amdhsa_exception_fp_ieee_invalid_op 0
		.amdhsa_exception_fp_denorm_src 0
		.amdhsa_exception_fp_ieee_div_zero 0
		.amdhsa_exception_fp_ieee_overflow 0
		.amdhsa_exception_fp_ieee_underflow 0
		.amdhsa_exception_fp_ieee_inexact 0
		.amdhsa_exception_int_div_zero 0
	.end_amdhsa_kernel
	.section	.text._ZL15flash_attn_tileILi40ELi40ELi1ELi2ELb0EEvPKcS1_S1_S1_S1_PKiPfP15HIP_vector_typeIfLj2EEffffjfiS5_IjLj3EEiiiiiiiiiiiliiliiiiil,"axG",@progbits,_ZL15flash_attn_tileILi40ELi40ELi1ELi2ELb0EEvPKcS1_S1_S1_S1_PKiPfP15HIP_vector_typeIfLj2EEffffjfiS5_IjLj3EEiiiiiiiiiiiliiliiiiil,comdat
.Lfunc_end49:
	.size	_ZL15flash_attn_tileILi40ELi40ELi1ELi2ELb0EEvPKcS1_S1_S1_S1_PKiPfP15HIP_vector_typeIfLj2EEffffjfiS5_IjLj3EEiiiiiiiiiiiliiliiiiil, .Lfunc_end49-_ZL15flash_attn_tileILi40ELi40ELi1ELi2ELb0EEvPKcS1_S1_S1_S1_PKiPfP15HIP_vector_typeIfLj2EEffffjfiS5_IjLj3EEiiiiiiiiiiiliiliiiiil
                                        ; -- End function
	.section	.AMDGPU.csdata,"",@progbits
; Kernel info:
; codeLenInByte = 4540
; NumSgprs: 45
; NumVgprs: 55
; ScratchSize: 0
; MemoryBound: 0
; FloatMode: 240
; IeeeMode: 1
; LDSByteSize: 3456 bytes/workgroup (compile time only)
; SGPRBlocks: 5
; VGPRBlocks: 6
; NumSGPRsForWavesPerEU: 45
; NumVGPRsForWavesPerEU: 55
; Occupancy: 16
; WaveLimiterHint : 1
; COMPUTE_PGM_RSRC2:SCRATCH_EN: 0
; COMPUTE_PGM_RSRC2:USER_SGPR: 13
; COMPUTE_PGM_RSRC2:TRAP_HANDLER: 0
; COMPUTE_PGM_RSRC2:TGID_X_EN: 1
; COMPUTE_PGM_RSRC2:TGID_Y_EN: 1
; COMPUTE_PGM_RSRC2:TGID_Z_EN: 1
; COMPUTE_PGM_RSRC2:TIDIG_COMP_CNT: 1
	.section	.text._ZL33flash_attn_stream_k_fixup_uniformILi40ELi1ELi2EEvPfPK15HIP_vector_typeIfLj2EEiiiiiiS1_IjLj3EES5_S5_,"axG",@progbits,_ZL33flash_attn_stream_k_fixup_uniformILi40ELi1ELi2EEvPfPK15HIP_vector_typeIfLj2EEiiiiiiS1_IjLj3EES5_S5_,comdat
	.globl	_ZL33flash_attn_stream_k_fixup_uniformILi40ELi1ELi2EEvPfPK15HIP_vector_typeIfLj2EEiiiiiiS1_IjLj3EES5_S5_ ; -- Begin function _ZL33flash_attn_stream_k_fixup_uniformILi40ELi1ELi2EEvPfPK15HIP_vector_typeIfLj2EEiiiiiiS1_IjLj3EES5_S5_
	.p2align	8
	.type	_ZL33flash_attn_stream_k_fixup_uniformILi40ELi1ELi2EEvPfPK15HIP_vector_typeIfLj2EEiiiiiiS1_IjLj3EES5_S5_,@function
_ZL33flash_attn_stream_k_fixup_uniformILi40ELi1ELi2EEvPfPK15HIP_vector_typeIfLj2EEiiiiiiS1_IjLj3EES5_S5_: ; @_ZL33flash_attn_stream_k_fixup_uniformILi40ELi1ELi2EEvPfPK15HIP_vector_typeIfLj2EEiiiiiiS1_IjLj3EES5_S5_
; %bb.0:
	s_clause 0x1
	s_load_b256 s[4:11], s[0:1], 0x1c
	s_load_b128 s[16:19], s[0:1], 0x3c
	s_waitcnt lgkmcnt(0)
	s_mul_hi_u32 s2, s7, s13
	s_delay_alu instid0(SALU_CYCLE_1) | instskip(NEXT) | instid1(SALU_CYCLE_1)
	s_add_i32 s2, s13, s2
	s_lshr_b32 s7, s2, s8
	s_delay_alu instid0(SALU_CYCLE_1) | instskip(NEXT) | instid1(SALU_CYCLE_1)
	s_mul_i32 s2, s7, s9
	s_sub_i32 s9, s13, s2
	s_load_b64 s[2:3], s[0:1], 0x10
	s_mul_hi_u32 s8, s9, s10
	s_delay_alu instid0(SALU_CYCLE_1) | instskip(NEXT) | instid1(SALU_CYCLE_1)
	s_add_i32 s8, s9, s8
	s_lshr_b32 s8, s8, s11
	s_delay_alu instid0(SALU_CYCLE_1) | instskip(NEXT) | instid1(SALU_CYCLE_1)
	s_mul_i32 s10, s8, s16
	s_sub_i32 s9, s9, s10
	s_delay_alu instid0(SALU_CYCLE_1) | instskip(NEXT) | instid1(SALU_CYCLE_1)
	s_mul_hi_u32 s10, s9, s17
	s_add_i32 s10, s9, s10
	s_delay_alu instid0(SALU_CYCLE_1) | instskip(NEXT) | instid1(SALU_CYCLE_1)
	s_lshr_b32 s10, s10, s18
	s_mul_i32 s11, s10, s19
	s_lshl_b32 s10, s10, 1
	s_sub_i32 s9, s9, s11
	s_delay_alu instid0(SALU_CYCLE_1) | instskip(SKIP_4) | instid1(SALU_CYCLE_1)
	s_add_i32 s9, s9, s14
	s_waitcnt lgkmcnt(0)
	s_cmp_lt_i32 s9, s2
	s_cselect_b32 s11, -1, 0
	s_add_i32 s10, s10, s15
	s_cmp_lt_i32 s10, s5
	s_cselect_b32 s12, -1, 0
	s_delay_alu instid0(SALU_CYCLE_1) | instskip(NEXT) | instid1(SALU_CYCLE_1)
	s_and_b32 s11, s11, s12
	s_and_not1_b32 vcc_lo, exec_lo, s11
	s_cbranch_vccnz .LBB50_6
; %bb.1:
	s_mul_i32 s7, s7, s2
	s_mul_i32 s8, s8, s5
	s_add_i32 s2, s9, s7
	s_add_i32 s5, s10, s8
	s_mul_i32 s7, s2, s3
	s_load_b128 s[0:3], s[0:1], 0x0
	s_add_i32 s5, s5, s7
	s_delay_alu instid0(SALU_CYCLE_1) | instskip(SKIP_1) | instid1(SALU_CYCLE_1)
	v_mad_u64_u32 v[1:2], null, s5, 40, v[0:1]
	s_mul_i32 s5, s13, s6
	s_add_i32 s9, s5, s6
	s_delay_alu instid0(VALU_DEP_1) | instskip(NEXT) | instid1(VALU_DEP_1)
	v_ashrrev_i32_e32 v2, 31, v1
	v_lshlrev_b64 v[1:2], 2, v[1:2]
	s_waitcnt lgkmcnt(0)
	s_delay_alu instid0(VALU_DEP_1) | instskip(NEXT) | instid1(VALU_DEP_2)
	v_add_co_u32 v1, vcc_lo, s0, v1
	v_add_co_ci_u32_e32 v2, vcc_lo, s1, v2, vcc_lo
	s_add_i32 s0, s14, s9
	s_delay_alu instid0(SALU_CYCLE_1) | instskip(SKIP_2) | instid1(SALU_CYCLE_1)
	s_lshl_b32 s0, s0, 1
	global_load_b32 v5, v[1:2], off
	s_add_i32 s0, s0, s15
	s_add_i32 s0, s0, -2
	s_delay_alu instid0(SALU_CYCLE_1) | instskip(NEXT) | instid1(SALU_CYCLE_1)
	s_ashr_i32 s1, s0, 31
	s_lshl_b64 s[0:1], s[0:1], 3
	s_delay_alu instid0(SALU_CYCLE_1)
	s_add_u32 s0, s2, s0
	s_addc_u32 s1, s3, s1
	s_add_i32 s7, s9, -2
	s_load_b32 s10, s[0:1], 0x4
	s_cmp_lt_i32 s7, s5
	s_cbranch_scc1 .LBB50_4
; %bb.2:
	s_load_b32 s11, s[0:1], 0x0
	s_lshl_b32 s16, s4, 3
	s_waitcnt lgkmcnt(0)
	v_mov_b32_e32 v6, s10
	s_ashr_i32 s17, s16, 31
	s_delay_alu instid0(SALU_CYCLE_1) | instskip(NEXT) | instid1(SALU_CYCLE_1)
	s_lshl_b64 s[0:1], s[16:17], 2
	s_add_u32 s7, s2, s0
	s_addc_u32 s8, s3, s1
	s_add_i32 s13, s13, 1
	s_mul_i32 s1, s14, 0x50
	s_mul_i32 s0, s6, s13
	;; [unrolled: 1-line block ×3, first 2 shown]
	s_add_i32 s4, s14, s4
	s_mulk_i32 s0, 0x50
	s_add_i32 s1, s6, s1
	s_add_i32 s4, s4, s9
	;; [unrolled: 1-line block ×3, first 2 shown]
	s_lshl_b32 s0, s4, 1
	v_add3_u32 v3, s1, v0, 0xffffff60
	v_mov_b32_e32 v0, s11
	s_add_i32 s0, s15, s0
	s_add_i32 s4, s9, -1
	s_add_i32 s0, s0, -4
.LBB50_3:                               ; =>This Inner Loop Header: Depth=1
	s_delay_alu instid0(VALU_DEP_2) | instskip(SKIP_1) | instid1(SALU_CYCLE_1)
	v_ashrrev_i32_e32 v4, 31, v3
	s_ashr_i32 s1, s0, 31
	s_lshl_b64 s[10:11], s[0:1], 3
	s_delay_alu instid0(SALU_CYCLE_1) | instskip(NEXT) | instid1(VALU_DEP_1)
	s_add_u32 s10, s2, s10
	v_lshlrev_b64 v[7:8], 2, v[3:4]
	s_addc_u32 s11, s3, s11
	s_add_i32 s4, s4, -1
	s_add_i32 s0, s0, -2
	s_cmp_le_i32 s4, s5
	s_load_b64 s[10:11], s[10:11], 0x0
	v_add_co_u32 v7, vcc_lo, s7, v7
	v_add_co_ci_u32_e32 v8, vcc_lo, s8, v8, vcc_lo
	global_load_b32 v4, v[7:8], off
	v_max_f32_e32 v7, v0, v0
	s_waitcnt lgkmcnt(0)
	v_max_f32_e64 v8, s10, s10
	s_delay_alu instid0(VALU_DEP_1) | instskip(NEXT) | instid1(VALU_DEP_1)
	v_max_f32_e32 v7, v7, v8
	v_sub_f32_e32 v8, s10, v7
	s_delay_alu instid0(VALU_DEP_1) | instskip(NEXT) | instid1(VALU_DEP_1)
	v_dual_sub_f32 v0, v0, v7 :: v_dual_mul_f32 v9, 0x3fb8aa3b, v8
	v_fma_f32 v10, 0x3fb8aa3b, v8, -v9
	v_rndne_f32_e32 v11, v9
	s_delay_alu instid0(VALU_DEP_3) | instskip(NEXT) | instid1(VALU_DEP_2)
	v_mul_f32_e32 v12, 0x3fb8aa3b, v0
	v_dual_fmac_f32 v10, 0x32a5705f, v8 :: v_dual_sub_f32 v9, v9, v11
	v_cvt_i32_f32_e32 v11, v11
	s_delay_alu instid0(VALU_DEP_3) | instskip(SKIP_1) | instid1(VALU_DEP_4)
	v_fma_f32 v13, 0x3fb8aa3b, v0, -v12
	v_rndne_f32_e32 v14, v12
	v_add_f32_e32 v9, v9, v10
	v_cmp_ngt_f32_e32 vcc_lo, 0xc2ce8ed0, v8
	s_delay_alu instid0(VALU_DEP_3) | instskip(NEXT) | instid1(VALU_DEP_3)
	v_sub_f32_e32 v10, v12, v14
	v_exp_f32_e32 v9, v9
	s_waitcnt_depctr 0xfff
	v_ldexp_f32 v9, v9, v11
	v_cvt_i32_f32_e32 v11, v14
	s_delay_alu instid0(VALU_DEP_2) | instskip(SKIP_1) | instid1(VALU_DEP_2)
	v_cndmask_b32_e32 v9, 0, v9, vcc_lo
	v_cmp_nlt_f32_e32 vcc_lo, 0x42b17218, v8
	v_cndmask_b32_e32 v9, 0x7f800000, v9, vcc_lo
	v_cmp_ngt_f32_e32 vcc_lo, 0xc2ce8ed0, v0
	v_fmac_f32_e32 v13, 0x32a5705f, v0
	s_delay_alu instid0(VALU_DEP_1) | instskip(NEXT) | instid1(VALU_DEP_1)
	v_add_f32_e32 v10, v10, v13
	v_exp_f32_e32 v10, v10
	s_waitcnt_depctr 0xfff
	v_ldexp_f32 v10, v10, v11
	s_delay_alu instid0(VALU_DEP_1)
	v_dual_mov_b32 v11, v6 :: v_dual_cndmask_b32 v10, 0, v10
	v_cmp_le_f32_e32 vcc_lo, 0xc1a00000, v8
	s_waitcnt vmcnt(1)
	v_dual_cndmask_b32 v8, 0, v9 :: v_dual_mov_b32 v9, v5
	v_cmp_nlt_f32_e32 vcc_lo, 0x42b17218, v0
	v_cndmask_b32_e32 v5, 0x7f800000, v10, vcc_lo
	s_delay_alu instid0(VALU_DEP_3) | instskip(SKIP_2) | instid1(VALU_DEP_3)
	v_mul_f32_e32 v10, s11, v8
	v_cmp_le_f32_e32 vcc_lo, 0xc1a00000, v0
	v_mov_b32_e32 v0, v7
	v_mov_b32_e32 v6, v10
	s_waitcnt vmcnt(0)
	v_dual_cndmask_b32 v12, 0, v5 :: v_dual_mul_f32 v5, v4, v8
	s_delay_alu instid0(VALU_DEP_1) | instskip(NEXT) | instid1(VALU_DEP_2)
	v_dual_fmac_f32 v6, v11, v12 :: v_dual_add_nc_u32 v3, 0xffffffb0, v3
	v_fmac_f32_e32 v5, v9, v12
	s_cbranch_scc0 .LBB50_3
	s_branch .LBB50_5
.LBB50_4:
	s_waitcnt lgkmcnt(0)
	v_mov_b32_e32 v6, s10
.LBB50_5:
	s_waitcnt vmcnt(0)
	s_delay_alu instid0(VALU_DEP_1) | instskip(NEXT) | instid1(VALU_DEP_1)
	v_div_scale_f32 v0, null, v6, v6, v5
	v_rcp_f32_e32 v3, v0
	s_waitcnt_depctr 0xfff
	v_fma_f32 v4, -v0, v3, 1.0
	s_delay_alu instid0(VALU_DEP_1) | instskip(SKIP_1) | instid1(VALU_DEP_1)
	v_fmac_f32_e32 v3, v4, v3
	v_div_scale_f32 v4, vcc_lo, v5, v6, v5
	v_mul_f32_e32 v7, v4, v3
	s_delay_alu instid0(VALU_DEP_1) | instskip(NEXT) | instid1(VALU_DEP_1)
	v_fma_f32 v8, -v0, v7, v4
	v_fmac_f32_e32 v7, v8, v3
	s_delay_alu instid0(VALU_DEP_1) | instskip(NEXT) | instid1(VALU_DEP_1)
	v_fma_f32 v0, -v0, v7, v4
	v_div_fmas_f32 v0, v0, v3, v7
	s_delay_alu instid0(VALU_DEP_1)
	v_div_fixup_f32 v0, v0, v6, v5
	global_store_b32 v[1:2], v0, off
.LBB50_6:
	s_nop 0
	s_sendmsg sendmsg(MSG_DEALLOC_VGPRS)
	s_endpgm
	.section	.rodata,"a",@progbits
	.p2align	6, 0x0
	.amdhsa_kernel _ZL33flash_attn_stream_k_fixup_uniformILi40ELi1ELi2EEvPfPK15HIP_vector_typeIfLj2EEiiiiiiS1_IjLj3EES5_S5_
		.amdhsa_group_segment_fixed_size 0
		.amdhsa_private_segment_fixed_size 0
		.amdhsa_kernarg_size 76
		.amdhsa_user_sgpr_count 13
		.amdhsa_user_sgpr_dispatch_ptr 0
		.amdhsa_user_sgpr_queue_ptr 0
		.amdhsa_user_sgpr_kernarg_segment_ptr 1
		.amdhsa_user_sgpr_dispatch_id 0
		.amdhsa_user_sgpr_private_segment_size 0
		.amdhsa_wavefront_size32 1
		.amdhsa_uses_dynamic_stack 0
		.amdhsa_enable_private_segment 0
		.amdhsa_system_sgpr_workgroup_id_x 1
		.amdhsa_system_sgpr_workgroup_id_y 1
		.amdhsa_system_sgpr_workgroup_id_z 1
		.amdhsa_system_sgpr_workgroup_info 0
		.amdhsa_system_vgpr_workitem_id 0
		.amdhsa_next_free_vgpr 15
		.amdhsa_next_free_sgpr 20
		.amdhsa_reserve_vcc 1
		.amdhsa_float_round_mode_32 0
		.amdhsa_float_round_mode_16_64 0
		.amdhsa_float_denorm_mode_32 3
		.amdhsa_float_denorm_mode_16_64 3
		.amdhsa_dx10_clamp 1
		.amdhsa_ieee_mode 1
		.amdhsa_fp16_overflow 0
		.amdhsa_workgroup_processor_mode 1
		.amdhsa_memory_ordered 1
		.amdhsa_forward_progress 0
		.amdhsa_shared_vgpr_count 0
		.amdhsa_exception_fp_ieee_invalid_op 0
		.amdhsa_exception_fp_denorm_src 0
		.amdhsa_exception_fp_ieee_div_zero 0
		.amdhsa_exception_fp_ieee_overflow 0
		.amdhsa_exception_fp_ieee_underflow 0
		.amdhsa_exception_fp_ieee_inexact 0
		.amdhsa_exception_int_div_zero 0
	.end_amdhsa_kernel
	.section	.text._ZL33flash_attn_stream_k_fixup_uniformILi40ELi1ELi2EEvPfPK15HIP_vector_typeIfLj2EEiiiiiiS1_IjLj3EES5_S5_,"axG",@progbits,_ZL33flash_attn_stream_k_fixup_uniformILi40ELi1ELi2EEvPfPK15HIP_vector_typeIfLj2EEiiiiiiS1_IjLj3EES5_S5_,comdat
.Lfunc_end50:
	.size	_ZL33flash_attn_stream_k_fixup_uniformILi40ELi1ELi2EEvPfPK15HIP_vector_typeIfLj2EEiiiiiiS1_IjLj3EES5_S5_, .Lfunc_end50-_ZL33flash_attn_stream_k_fixup_uniformILi40ELi1ELi2EEvPfPK15HIP_vector_typeIfLj2EEiiiiiiS1_IjLj3EES5_S5_
                                        ; -- End function
	.section	.AMDGPU.csdata,"",@progbits
; Kernel info:
; codeLenInByte = 968
; NumSgprs: 22
; NumVgprs: 15
; ScratchSize: 0
; MemoryBound: 0
; FloatMode: 240
; IeeeMode: 1
; LDSByteSize: 0 bytes/workgroup (compile time only)
; SGPRBlocks: 2
; VGPRBlocks: 1
; NumSGPRsForWavesPerEU: 22
; NumVGPRsForWavesPerEU: 15
; Occupancy: 16
; WaveLimiterHint : 0
; COMPUTE_PGM_RSRC2:SCRATCH_EN: 0
; COMPUTE_PGM_RSRC2:USER_SGPR: 13
; COMPUTE_PGM_RSRC2:TRAP_HANDLER: 0
; COMPUTE_PGM_RSRC2:TGID_X_EN: 1
; COMPUTE_PGM_RSRC2:TGID_Y_EN: 1
; COMPUTE_PGM_RSRC2:TGID_Z_EN: 1
; COMPUTE_PGM_RSRC2:TIDIG_COMP_CNT: 0
	.section	.text._ZL33flash_attn_stream_k_fixup_generalILi40ELi1ELi2EEvPfPK15HIP_vector_typeIfLj2EEiiiiS1_IjLj3EES5_S5_S5_,"axG",@progbits,_ZL33flash_attn_stream_k_fixup_generalILi40ELi1ELi2EEvPfPK15HIP_vector_typeIfLj2EEiiiiS1_IjLj3EES5_S5_S5_,comdat
	.globl	_ZL33flash_attn_stream_k_fixup_generalILi40ELi1ELi2EEvPfPK15HIP_vector_typeIfLj2EEiiiiS1_IjLj3EES5_S5_S5_ ; -- Begin function _ZL33flash_attn_stream_k_fixup_generalILi40ELi1ELi2EEvPfPK15HIP_vector_typeIfLj2EEiiiiS1_IjLj3EES5_S5_S5_
	.p2align	8
	.type	_ZL33flash_attn_stream_k_fixup_generalILi40ELi1ELi2EEvPfPK15HIP_vector_typeIfLj2EEiiiiS1_IjLj3EES5_S5_S5_,@function
_ZL33flash_attn_stream_k_fixup_generalILi40ELi1ELi2EEvPfPK15HIP_vector_typeIfLj2EEiiiiS1_IjLj3EES5_S5_S5_: ; @_ZL33flash_attn_stream_k_fixup_generalILi40ELi1ELi2EEvPfPK15HIP_vector_typeIfLj2EEiiiiS1_IjLj3EES5_S5_S5_
; %bb.0:
	s_clause 0x1
	s_load_b128 s[4:7], s[0:1], 0x10
	s_load_b32 s20, s[0:1], 0x50
	s_mov_b32 s2, 0
	s_waitcnt lgkmcnt(0)
	s_mul_hi_i32 s3, s7, s13
	s_mul_i32 s12, s7, s13
	s_cmp_lg_u64 s[2:3], 0
	s_cbranch_scc0 .LBB51_21
; %bb.1:
	v_cvt_f32_ubyte0_e32 v1, 0
	v_cvt_f32_u32_e32 v2, s20
	s_sub_u32 s10, 0, s20
	s_subb_u32 s11, 0, 0
	s_delay_alu instid0(VALU_DEP_1) | instskip(NEXT) | instid1(VALU_DEP_1)
	v_fmamk_f32 v1, v1, 0x4f800000, v2
	v_rcp_f32_e32 v1, v1
	s_waitcnt_depctr 0xfff
	v_mul_f32_e32 v1, 0x5f7ffffc, v1
	s_delay_alu instid0(VALU_DEP_1) | instskip(NEXT) | instid1(VALU_DEP_1)
	v_mul_f32_e32 v2, 0x2f800000, v1
	v_trunc_f32_e32 v2, v2
	s_delay_alu instid0(VALU_DEP_1) | instskip(SKIP_1) | instid1(VALU_DEP_2)
	v_fmamk_f32 v1, v2, 0xcf800000, v1
	v_cvt_u32_f32_e32 v2, v2
	v_cvt_u32_f32_e32 v1, v1
	s_delay_alu instid0(VALU_DEP_2) | instskip(NEXT) | instid1(VALU_DEP_2)
	v_readfirstlane_b32 s8, v2
	v_readfirstlane_b32 s9, v1
	s_delay_alu instid0(VALU_DEP_2) | instskip(NEXT) | instid1(VALU_DEP_1)
	s_mul_i32 s16, s10, s8
	s_mul_hi_u32 s18, s10, s9
	s_mul_i32 s17, s11, s9
	s_add_i32 s16, s18, s16
	s_mul_i32 s19, s10, s9
	s_add_i32 s16, s16, s17
	s_mul_hi_u32 s18, s9, s19
	s_mul_hi_u32 s21, s8, s19
	s_mul_i32 s17, s8, s19
	s_mul_hi_u32 s19, s9, s16
	s_mul_i32 s9, s9, s16
	s_mul_hi_u32 s22, s8, s16
	s_add_u32 s9, s18, s9
	s_addc_u32 s18, 0, s19
	s_add_u32 s9, s9, s17
	s_mul_i32 s16, s8, s16
	s_addc_u32 s9, s18, s21
	s_addc_u32 s17, s22, 0
	s_add_u32 s9, s9, s16
	s_addc_u32 s16, 0, s17
	v_add_co_u32 v1, s9, v1, s9
	s_delay_alu instid0(VALU_DEP_1) | instskip(SKIP_1) | instid1(VALU_DEP_1)
	s_cmp_lg_u32 s9, 0
	s_addc_u32 s8, s8, s16
	v_readfirstlane_b32 s9, v1
	s_mul_i32 s16, s10, s8
	s_delay_alu instid0(VALU_DEP_1)
	s_mul_hi_u32 s17, s10, s9
	s_mul_i32 s11, s11, s9
	s_add_i32 s16, s17, s16
	s_mul_i32 s10, s10, s9
	s_add_i32 s16, s16, s11
	s_mul_hi_u32 s17, s8, s10
	s_mul_i32 s18, s8, s10
	s_mul_hi_u32 s10, s9, s10
	s_mul_hi_u32 s19, s9, s16
	s_mul_i32 s9, s9, s16
	s_mul_hi_u32 s11, s8, s16
	s_add_u32 s9, s10, s9
	s_addc_u32 s10, 0, s19
	s_add_u32 s9, s9, s18
	s_mul_i32 s16, s8, s16
	s_addc_u32 s9, s10, s17
	s_addc_u32 s10, s11, 0
	s_add_u32 s9, s9, s16
	s_addc_u32 s10, 0, s10
	v_add_co_u32 v1, s9, v1, s9
	s_delay_alu instid0(VALU_DEP_1) | instskip(SKIP_2) | instid1(SALU_CYCLE_1)
	s_cmp_lg_u32 s9, 0
	s_addc_u32 s16, s8, s10
	s_ashr_i32 s8, s3, 31
	s_add_u32 s10, s12, s8
	s_addc_u32 s11, s3, s8
	v_readfirstlane_b32 s3, v1
	s_mov_b32 s9, s8
	s_delay_alu instid0(SALU_CYCLE_1) | instskip(NEXT) | instid1(SALU_CYCLE_1)
	s_xor_b64 s[10:11], s[10:11], s[8:9]
	s_mul_i32 s18, s10, s16
	s_delay_alu instid0(VALU_DEP_1)
	s_mul_hi_u32 s19, s10, s3
	s_mul_hi_u32 s17, s10, s16
	s_mul_hi_u32 s22, s11, s3
	s_mul_i32 s3, s11, s3
	s_add_u32 s18, s19, s18
	s_addc_u32 s17, 0, s17
	s_mul_hi_u32 s21, s11, s16
	s_add_u32 s3, s18, s3
	s_mul_i32 s16, s11, s16
	s_addc_u32 s3, s17, s22
	s_addc_u32 s17, s21, 0
	s_add_u32 s3, s3, s16
	s_addc_u32 s16, 0, s17
	s_mul_i32 s18, s20, s3
	s_add_u32 s17, s3, 1
	v_sub_co_u32 v1, s10, s10, s18
	s_mul_hi_u32 s18, s20, s3
	s_addc_u32 s19, s16, 0
	s_mul_i32 s21, s20, s16
	s_delay_alu instid0(VALU_DEP_1)
	v_sub_co_u32 v2, s22, v1, s20
	s_add_u32 s23, s3, 2
	s_addc_u32 s24, s16, 0
	s_add_i32 s18, s18, s21
	s_cmp_lg_u32 s10, 0
	v_readfirstlane_b32 s10, v2
	s_subb_u32 s11, s11, s18
	s_cmp_lg_u32 s22, 0
	s_subb_u32 s18, s11, 0
	s_delay_alu instid0(VALU_DEP_1) | instskip(SKIP_4) | instid1(SALU_CYCLE_1)
	s_cmp_ge_u32 s10, s20
	s_cselect_b32 s10, -1, 0
	s_cmp_eq_u32 s18, 0
	v_readfirstlane_b32 s18, v1
	s_cselect_b32 s10, s10, -1
	s_cmp_lg_u32 s10, 0
	s_cselect_b32 s10, s23, s17
	s_cselect_b32 s17, s24, s19
	s_cmp_ge_u32 s18, s20
	s_cselect_b32 s18, -1, 0
	s_cmp_eq_u32 s11, 0
	s_cselect_b32 s11, s18, -1
	s_delay_alu instid0(SALU_CYCLE_1) | instskip(SKIP_2) | instid1(SALU_CYCLE_1)
	s_cmp_lg_u32 s11, 0
	s_cselect_b32 s11, s17, s16
	s_cselect_b32 s10, s10, s3
	s_xor_b64 s[10:11], s[10:11], s[8:9]
	s_delay_alu instid0(SALU_CYCLE_1)
	s_sub_u32 s16, s10, s8
	s_load_b128 s[8:11], s[0:1], 0x44
	s_and_not1_b32 vcc_lo, exec_lo, s2
	s_cbranch_vccnz .LBB51_3
.LBB51_2:
	v_cvt_f32_u32_e32 v1, s20
	s_sub_i32 s3, 0, s20
	s_delay_alu instid0(VALU_DEP_1) | instskip(SKIP_2) | instid1(VALU_DEP_1)
	v_rcp_iflag_f32_e32 v1, v1
	s_waitcnt_depctr 0xfff
	v_mul_f32_e32 v1, 0x4f7ffffe, v1
	v_cvt_u32_f32_e32 v1, v1
	s_delay_alu instid0(VALU_DEP_1) | instskip(NEXT) | instid1(VALU_DEP_1)
	v_readfirstlane_b32 s2, v1
	s_mul_i32 s3, s3, s2
	s_delay_alu instid0(SALU_CYCLE_1) | instskip(NEXT) | instid1(SALU_CYCLE_1)
	s_mul_hi_u32 s3, s2, s3
	s_add_i32 s2, s2, s3
	s_delay_alu instid0(SALU_CYCLE_1) | instskip(NEXT) | instid1(SALU_CYCLE_1)
	s_mul_hi_u32 s2, s12, s2
	s_mul_i32 s3, s2, s20
	s_waitcnt lgkmcnt(0)
	s_add_i32 s11, s2, 1
	s_sub_i32 s3, s12, s3
	s_delay_alu instid0(SALU_CYCLE_1)
	s_sub_i32 s12, s3, s20
	s_cmp_ge_u32 s3, s20
	s_cselect_b32 s2, s11, s2
	s_cselect_b32 s3, s12, s3
	s_add_i32 s11, s2, 1
	s_cmp_ge_u32 s3, s20
	s_cselect_b32 s16, s11, s2
.LBB51_3:
	s_waitcnt lgkmcnt(0)
	s_add_i32 s11, s13, 1
	s_mov_b32 s2, 0
	s_mul_hi_i32 s3, s7, s11
	s_mul_i32 s11, s7, s11
	s_cmp_lg_u64 s[2:3], 0
	s_cbranch_scc0 .LBB51_22
; %bb.4:
	v_cvt_f32_ubyte0_e32 v1, 0
	v_cvt_f32_u32_e32 v2, s20
	s_sub_u32 s18, 0, s20
	s_subb_u32 s19, 0, 0
	s_delay_alu instid0(VALU_DEP_1) | instskip(NEXT) | instid1(VALU_DEP_1)
	v_fmamk_f32 v1, v1, 0x4f800000, v2
	v_rcp_f32_e32 v1, v1
	s_waitcnt_depctr 0xfff
	v_mul_f32_e32 v1, 0x5f7ffffc, v1
	s_delay_alu instid0(VALU_DEP_1) | instskip(NEXT) | instid1(VALU_DEP_1)
	v_mul_f32_e32 v2, 0x2f800000, v1
	v_trunc_f32_e32 v2, v2
	s_delay_alu instid0(VALU_DEP_1) | instskip(SKIP_1) | instid1(VALU_DEP_2)
	v_fmamk_f32 v1, v2, 0xcf800000, v1
	v_cvt_u32_f32_e32 v2, v2
	v_cvt_u32_f32_e32 v1, v1
	s_delay_alu instid0(VALU_DEP_2) | instskip(NEXT) | instid1(VALU_DEP_2)
	v_readfirstlane_b32 s12, v2
	v_readfirstlane_b32 s17, v1
	s_delay_alu instid0(VALU_DEP_2) | instskip(NEXT) | instid1(VALU_DEP_1)
	s_mul_i32 s21, s18, s12
	s_mul_hi_u32 s23, s18, s17
	s_mul_i32 s22, s19, s17
	s_add_i32 s21, s23, s21
	s_mul_i32 s24, s18, s17
	s_add_i32 s21, s21, s22
	s_mul_hi_u32 s23, s17, s24
	s_mul_hi_u32 s25, s12, s24
	s_mul_i32 s22, s12, s24
	s_mul_hi_u32 s24, s17, s21
	s_mul_i32 s17, s17, s21
	s_mul_hi_u32 s26, s12, s21
	s_add_u32 s17, s23, s17
	s_addc_u32 s23, 0, s24
	s_add_u32 s17, s17, s22
	s_mul_i32 s21, s12, s21
	s_addc_u32 s17, s23, s25
	s_addc_u32 s22, s26, 0
	s_add_u32 s17, s17, s21
	s_addc_u32 s21, 0, s22
	v_add_co_u32 v1, s17, v1, s17
	s_delay_alu instid0(VALU_DEP_1) | instskip(SKIP_1) | instid1(VALU_DEP_1)
	s_cmp_lg_u32 s17, 0
	s_addc_u32 s12, s12, s21
	v_readfirstlane_b32 s17, v1
	s_mul_i32 s21, s18, s12
	s_delay_alu instid0(VALU_DEP_1)
	s_mul_hi_u32 s22, s18, s17
	s_mul_i32 s19, s19, s17
	s_add_i32 s21, s22, s21
	s_mul_i32 s18, s18, s17
	s_add_i32 s21, s21, s19
	s_mul_hi_u32 s22, s12, s18
	s_mul_i32 s23, s12, s18
	s_mul_hi_u32 s18, s17, s18
	s_mul_hi_u32 s24, s17, s21
	s_mul_i32 s17, s17, s21
	s_mul_hi_u32 s19, s12, s21
	s_add_u32 s17, s18, s17
	s_addc_u32 s18, 0, s24
	s_add_u32 s17, s17, s23
	s_mul_i32 s21, s12, s21
	s_addc_u32 s17, s18, s22
	s_addc_u32 s18, s19, 0
	s_add_u32 s17, s17, s21
	s_addc_u32 s18, 0, s18
	v_add_co_u32 v1, s17, v1, s17
	s_delay_alu instid0(VALU_DEP_1) | instskip(SKIP_2) | instid1(SALU_CYCLE_1)
	s_cmp_lg_u32 s17, 0
	s_addc_u32 s12, s12, s18
	s_ashr_i32 s18, s3, 31
	s_add_u32 s22, s11, s18
	s_addc_u32 s23, s3, s18
	v_readfirstlane_b32 s3, v1
	s_mov_b32 s19, s18
	s_delay_alu instid0(SALU_CYCLE_1) | instskip(NEXT) | instid1(SALU_CYCLE_1)
	s_xor_b64 s[22:23], s[22:23], s[18:19]
	s_mul_i32 s21, s22, s12
	s_delay_alu instid0(VALU_DEP_1)
	s_mul_hi_u32 s24, s22, s3
	s_mul_hi_u32 s17, s22, s12
	;; [unrolled: 1-line block ×3, first 2 shown]
	s_mul_i32 s3, s23, s3
	s_add_u32 s21, s24, s21
	s_addc_u32 s17, 0, s17
	s_mul_hi_u32 s25, s23, s12
	s_add_u32 s3, s21, s3
	s_mul_i32 s12, s23, s12
	s_addc_u32 s3, s17, s26
	s_addc_u32 s17, s25, 0
	s_add_u32 s3, s3, s12
	s_addc_u32 s12, 0, s17
	s_mul_i32 s21, s20, s3
	s_add_u32 s17, s3, 1
	v_sub_co_u32 v1, s21, s22, s21
	s_mul_hi_u32 s22, s20, s3
	s_addc_u32 s24, s12, 0
	s_mul_i32 s25, s20, s12
	s_delay_alu instid0(VALU_DEP_1)
	v_sub_co_u32 v2, s26, v1, s20
	s_add_u32 s27, s3, 2
	s_addc_u32 s28, s12, 0
	s_add_i32 s22, s22, s25
	s_cmp_lg_u32 s21, 0
	v_readfirstlane_b32 s21, v2
	s_subb_u32 s22, s23, s22
	s_cmp_lg_u32 s26, 0
	s_subb_u32 s23, s22, 0
	s_delay_alu instid0(VALU_DEP_1) | instskip(SKIP_4) | instid1(SALU_CYCLE_1)
	s_cmp_ge_u32 s21, s20
	s_cselect_b32 s21, -1, 0
	s_cmp_eq_u32 s23, 0
	v_readfirstlane_b32 s23, v1
	s_cselect_b32 s21, s21, -1
	s_cmp_lg_u32 s21, 0
	s_cselect_b32 s17, s27, s17
	s_cselect_b32 s21, s28, s24
	s_cmp_ge_u32 s23, s20
	s_cselect_b32 s23, -1, 0
	s_cmp_eq_u32 s22, 0
	s_cselect_b32 s22, s23, -1
	s_delay_alu instid0(SALU_CYCLE_1) | instskip(SKIP_2) | instid1(SALU_CYCLE_1)
	s_cmp_lg_u32 s22, 0
	s_cselect_b32 s23, s21, s12
	s_cselect_b32 s22, s17, s3
	s_xor_b64 s[22:23], s[22:23], s[18:19]
	s_delay_alu instid0(SALU_CYCLE_1)
	s_sub_u32 s18, s22, s18
	s_and_not1_b32 vcc_lo, exec_lo, s2
	s_cbranch_vccnz .LBB51_6
.LBB51_5:
	v_cvt_f32_u32_e32 v1, s20
	s_sub_i32 s3, 0, s20
	s_delay_alu instid0(VALU_DEP_1) | instskip(SKIP_2) | instid1(VALU_DEP_1)
	v_rcp_iflag_f32_e32 v1, v1
	s_waitcnt_depctr 0xfff
	v_mul_f32_e32 v1, 0x4f7ffffe, v1
	v_cvt_u32_f32_e32 v1, v1
	s_delay_alu instid0(VALU_DEP_1) | instskip(NEXT) | instid1(VALU_DEP_1)
	v_readfirstlane_b32 s2, v1
	s_mul_i32 s3, s3, s2
	s_delay_alu instid0(SALU_CYCLE_1) | instskip(NEXT) | instid1(SALU_CYCLE_1)
	s_mul_hi_u32 s3, s2, s3
	s_add_i32 s2, s2, s3
	s_delay_alu instid0(SALU_CYCLE_1) | instskip(NEXT) | instid1(SALU_CYCLE_1)
	s_mul_hi_u32 s2, s11, s2
	s_mul_i32 s3, s2, s20
	s_delay_alu instid0(SALU_CYCLE_1)
	s_sub_i32 s3, s11, s3
	s_add_i32 s11, s2, 1
	s_sub_i32 s12, s3, s20
	s_cmp_ge_u32 s3, s20
	s_cselect_b32 s2, s11, s2
	s_cselect_b32 s3, s12, s3
	s_add_i32 s11, s2, 1
	s_cmp_ge_u32 s3, s20
	s_cselect_b32 s18, s11, s2
.LBB51_6:
	s_delay_alu instid0(SALU_CYCLE_1) | instskip(SKIP_3) | instid1(SALU_CYCLE_1)
	s_cmp_eq_u32 s16, s18
	s_mul_hi_u32 s2, s16, s8
	s_cselect_b32 s3, -1, 0
	s_add_i32 s2, s2, s16
	s_lshr_b32 s11, s2, s9
	s_delay_alu instid0(SALU_CYCLE_1) | instskip(NEXT) | instid1(SALU_CYCLE_1)
	s_mul_i32 s2, s11, s10
	s_cmp_eq_u32 s2, s16
	s_mul_hi_u32 s2, s18, s8
	s_cselect_b32 s12, -1, 0
	s_add_i32 s2, s2, s18
	s_delay_alu instid0(SALU_CYCLE_1) | instskip(NEXT) | instid1(SALU_CYCLE_1)
	s_lshr_b32 s2, s2, s9
	s_cmp_eq_u32 s11, s2
	s_mul_i32 s2, s2, s10
	s_cselect_b32 s17, -1, 0
	s_cmp_lg_u32 s2, s18
	s_cselect_b32 s2, -1, 0
	s_or_b32 s3, s3, s12
	s_and_b32 s2, s17, s2
	s_delay_alu instid0(SALU_CYCLE_1) | instskip(NEXT) | instid1(SALU_CYCLE_1)
	s_or_b32 s2, s3, s2
	s_and_b32 vcc_lo, exec_lo, s2
	s_cbranch_vccnz .LBB51_24
; %bb.7:
	s_load_b256 s[24:31], s[0:1], 0x20
	s_waitcnt lgkmcnt(0)
	s_mul_hi_u32 s2, s16, s24
	s_delay_alu instid0(SALU_CYCLE_1) | instskip(NEXT) | instid1(SALU_CYCLE_1)
	s_add_i32 s2, s2, s16
	s_lshr_b32 s17, s2, s25
	s_load_b32 s2, s[0:1], 0x40
	s_mul_i32 s3, s17, s26
	s_delay_alu instid0(SALU_CYCLE_1) | instskip(NEXT) | instid1(SALU_CYCLE_1)
	s_sub_i32 s3, s16, s3
	s_mul_hi_u32 s12, s3, s27
	s_delay_alu instid0(SALU_CYCLE_1) | instskip(NEXT) | instid1(SALU_CYCLE_1)
	s_add_i32 s12, s3, s12
	s_lshr_b32 s18, s12, s28
	s_delay_alu instid0(SALU_CYCLE_1) | instskip(NEXT) | instid1(SALU_CYCLE_1)
	s_mul_i32 s12, s18, s29
	s_sub_i32 s3, s3, s12
	s_delay_alu instid0(SALU_CYCLE_1) | instskip(NEXT) | instid1(SALU_CYCLE_1)
	s_mul_hi_u32 s12, s3, s30
	s_add_i32 s12, s3, s12
	s_delay_alu instid0(SALU_CYCLE_1)
	s_lshr_b32 s12, s12, s31
	s_waitcnt lgkmcnt(0)
	s_mul_i32 s2, s12, s2
	s_lshl_b32 s21, s12, 1
	s_sub_i32 s2, s3, s2
	s_mov_b32 s12, 0
	s_mul_hi_u32 s3, s2, s8
	s_delay_alu instid0(SALU_CYCLE_1) | instskip(NEXT) | instid1(SALU_CYCLE_1)
	s_add_i32 s2, s2, s3
	s_lshr_b32 s19, s2, s9
	s_delay_alu instid0(SALU_CYCLE_1) | instskip(NEXT) | instid1(SALU_CYCLE_1)
	s_add_i32 s19, s19, s14
	s_cmp_lt_i32 s19, s4
	s_cselect_b32 s2, -1, 0
	s_add_i32 s21, s21, s15
	s_delay_alu instid0(SALU_CYCLE_1) | instskip(SKIP_1) | instid1(SALU_CYCLE_1)
	s_cmp_lt_i32 s21, s6
	s_cselect_b32 s3, -1, 0
	s_and_b32 s2, s2, s3
	s_delay_alu instid0(SALU_CYCLE_1)
	s_and_not1_b32 vcc_lo, exec_lo, s2
	s_cbranch_vccnz .LBB51_24
; %bb.8:
	s_load_b128 s[0:3], s[0:1], 0x0
	s_lshl_b32 s22, s20, 3
	s_mov_b32 s23, s12
	s_lshl_b32 s24, s14, 1
	s_lshl_b64 s[22:23], s[22:23], 2
	s_mul_i32 s4, s17, s4
	s_add_i32 s24, s24, s15
	s_mul_i32 s18, s18, s6
	v_cvt_f32_ubyte0_e32 v3, 0
	v_cvt_f32_u32_e32 v4, s20
	s_waitcnt lgkmcnt(0)
	s_add_u32 s6, s2, s22
	s_addc_u32 s17, s3, s23
	s_add_i32 s4, s19, s4
	s_add_i32 s18, s21, s18
	s_mul_i32 s4, s4, s5
	s_delay_alu instid0(SALU_CYCLE_1) | instskip(NEXT) | instid1(SALU_CYCLE_1)
	s_add_i32 s18, s18, s4
	v_mad_u64_u32 v[1:2], null, s18, 40, v[0:1]
	s_delay_alu instid0(VALU_DEP_1) | instskip(NEXT) | instid1(VALU_DEP_1)
	v_ashrrev_i32_e32 v2, 31, v1
	v_lshlrev_b64 v[1:2], 2, v[1:2]
	s_delay_alu instid0(VALU_DEP_1) | instskip(NEXT) | instid1(VALU_DEP_2)
	v_add_co_u32 v1, vcc_lo, s0, v1
	v_add_co_ci_u32_e32 v2, vcc_lo, s1, v2, vcc_lo
	s_add_i32 s0, s14, s13
	s_delay_alu instid0(SALU_CYCLE_1) | instskip(SKIP_2) | instid1(SALU_CYCLE_1)
	s_lshl_b32 s0, s0, 1
	global_load_b32 v5, v[1:2], off
	s_add_i32 s0, s0, s15
	s_ashr_i32 s1, s0, 31
	s_delay_alu instid0(SALU_CYCLE_1) | instskip(NEXT) | instid1(SALU_CYCLE_1)
	s_lshl_b64 s[0:1], s[0:1], 3
	s_add_u32 s0, s2, s0
	s_addc_u32 s1, s3, s1
	s_add_i32 s19, s13, -1
	s_load_b64 s[0:1], s[0:1], 0x0
	v_fmamk_f32 v3, v3, 0x4f800000, v4
	v_cvt_f32_u32_e32 v4, s20
	s_add_i32 s14, s20, s14
	s_sub_i32 s18, 0, s20
	s_delay_alu instid0(VALU_DEP_1)
	v_rcp_iflag_f32_e32 v7, v4
	s_waitcnt_depctr 0xfff
	v_mul_f32_e32 v10, 0x4f7ffffe, v7
	s_waitcnt lgkmcnt(0)
	v_mov_b32_e32 v8, s0
	v_rcp_f32_e32 v3, v3
	v_mov_b32_e32 v7, s1
	s_waitcnt_depctr 0xfff
	v_mul_f32_e32 v3, 0x5f7ffffc, v3
	s_delay_alu instid0(VALU_DEP_1) | instskip(NEXT) | instid1(VALU_DEP_1)
	v_mul_f32_e32 v6, 0x2f800000, v3
	v_trunc_f32_e32 v6, v6
	s_delay_alu instid0(VALU_DEP_1) | instskip(SKIP_3) | instid1(VALU_DEP_4)
	v_fmamk_f32 v9, v6, 0xcf800000, v3
	v_mad_u64_u32 v[3:4], null, s24, 40, v[0:1]
	v_cvt_u32_f32_e32 v4, v6
	v_cvt_u32_f32_e32 v6, v10
	;; [unrolled: 1-line block ×3, first 2 shown]
.LBB51_9:                               ; =>This Inner Loop Header: Depth=1
	s_mul_hi_i32 s13, s19, s7
	s_mul_i32 s4, s19, s7
	s_cmp_lg_u64 s[12:13], 0
	s_mov_b32 s5, -1
                                        ; implicit-def: $sgpr0_sgpr1
	s_cbranch_scc0 .LBB51_11
; %bb.10:                               ;   in Loop: Header=BB51_9 Depth=1
	v_readfirstlane_b32 s0, v0
	v_readfirstlane_b32 s1, v4
	s_sub_u32 s5, 0, s20
	s_subb_u32 s21, 0, 0
	s_delay_alu instid0(VALU_DEP_2) | instskip(NEXT) | instid1(VALU_DEP_1)
	s_mul_hi_u32 s22, s5, s0
	s_mul_i32 s23, s5, s1
	s_mul_i32 s24, s21, s0
	s_add_i32 s22, s22, s23
	s_mul_i32 s23, s5, s0
	s_add_i32 s22, s22, s24
	s_mul_hi_u32 s24, s0, s23
	s_mul_i32 s25, s0, s22
	s_mul_hi_u32 s0, s0, s22
	s_add_u32 s24, s24, s25
	s_mul_i32 s26, s1, s23
	s_addc_u32 s0, 0, s0
	s_mul_hi_u32 s23, s1, s23
	s_mul_hi_u32 s25, s1, s22
	s_add_u32 s24, s24, s26
	s_addc_u32 s0, s0, s23
	s_mul_i32 s22, s1, s22
	s_addc_u32 s23, s25, 0
	s_add_u32 s0, s0, s22
	s_addc_u32 s22, 0, s23
	v_add_co_u32 v9, s0, v0, s0
	s_delay_alu instid0(VALU_DEP_1) | instskip(SKIP_1) | instid1(VALU_DEP_1)
	s_cmp_lg_u32 s0, 0
	s_addc_u32 s1, s1, s22
	v_readfirstlane_b32 s0, v9
	s_mul_i32 s22, s5, s1
	s_delay_alu instid0(VALU_DEP_1)
	s_mul_hi_u32 s23, s5, s0
	s_mul_i32 s21, s21, s0
	s_add_i32 s22, s23, s22
	s_mul_i32 s5, s5, s0
	s_add_i32 s22, s22, s21
	s_mul_hi_u32 s21, s1, s5
	s_mul_i32 s24, s1, s5
	s_mul_i32 s25, s0, s22
	s_mul_hi_u32 s5, s0, s5
	s_mul_hi_u32 s0, s0, s22
	s_add_u32 s5, s5, s25
	s_addc_u32 s0, 0, s0
	s_mul_hi_u32 s23, s1, s22
	s_add_u32 s5, s5, s24
	s_addc_u32 s0, s0, s21
	s_mul_i32 s5, s1, s22
	s_addc_u32 s21, s23, 0
	s_add_u32 s0, s0, s5
	s_addc_u32 s5, 0, s21
	v_add_co_u32 v9, s0, v9, s0
	s_delay_alu instid0(VALU_DEP_1) | instskip(SKIP_2) | instid1(SALU_CYCLE_1)
	s_cmp_lg_u32 s0, 0
	s_addc_u32 s5, s1, s5
	s_ashr_i32 s0, s13, 31
	s_add_u32 s22, s4, s0
	s_addc_u32 s23, s13, s0
	v_readfirstlane_b32 s13, v9
	s_mov_b32 s1, s0
	s_delay_alu instid0(SALU_CYCLE_1) | instskip(NEXT) | instid1(SALU_CYCLE_1)
	s_xor_b64 s[22:23], s[22:23], s[0:1]
	s_mul_i32 s21, s22, s5
	s_delay_alu instid0(VALU_DEP_1)
	s_mul_hi_u32 s24, s22, s13
	s_mul_hi_u32 s25, s22, s5
	s_add_u32 s21, s24, s21
	s_mul_i32 s26, s23, s13
	s_addc_u32 s24, 0, s25
	s_mul_hi_u32 s13, s23, s13
	s_mul_hi_u32 s25, s23, s5
	s_add_u32 s21, s21, s26
	s_addc_u32 s13, s24, s13
	s_mul_i32 s5, s23, s5
	s_addc_u32 s21, s25, 0
	s_add_u32 s5, s13, s5
	s_addc_u32 s13, 0, s21
	s_mul_i32 s24, s20, s5
	s_add_u32 s21, s5, 1
	v_sub_co_u32 v9, s22, s22, s24
	s_addc_u32 s24, s13, 0
	s_mul_i32 s26, s20, s13
	s_mul_hi_u32 s28, s20, s5
	s_delay_alu instid0(VALU_DEP_1)
	v_sub_co_u32 v10, s27, v9, s20
	s_add_u32 s25, s5, 2
	s_addc_u32 s29, s13, 0
	s_add_i32 s28, s28, s26
	s_cmp_lg_u32 s22, 0
	v_readfirstlane_b32 s22, v10
	s_subb_u32 s23, s23, s28
	s_cmp_lg_u32 s27, 0
	s_subb_u32 s26, s23, 0
	s_delay_alu instid0(VALU_DEP_1) | instskip(SKIP_4) | instid1(SALU_CYCLE_1)
	s_cmp_ge_u32 s22, s20
	s_cselect_b32 s22, -1, 0
	s_cmp_eq_u32 s26, 0
	v_readfirstlane_b32 s26, v9
	s_cselect_b32 s22, s22, -1
	s_cmp_lg_u32 s22, 0
	s_cselect_b32 s21, s25, s21
	s_cselect_b32 s22, s29, s24
	s_cmp_ge_u32 s26, s20
	s_cselect_b32 s24, -1, 0
	s_cmp_eq_u32 s23, 0
	s_cselect_b32 s23, s24, -1
	s_delay_alu instid0(SALU_CYCLE_1) | instskip(SKIP_4) | instid1(SALU_CYCLE_1)
	s_cmp_lg_u32 s23, 0
	s_cselect_b32 s23, s22, s13
	s_cselect_b32 s22, s21, s5
	s_mov_b32 s5, 0
	s_xor_b64 s[22:23], s[22:23], s[0:1]
	s_sub_u32 s0, s22, s0
.LBB51_11:                              ;   in Loop: Header=BB51_9 Depth=1
	s_and_not1_b32 vcc_lo, exec_lo, s5
	s_cbranch_vccnz .LBB51_13
; %bb.12:                               ;   in Loop: Header=BB51_9 Depth=1
	v_readfirstlane_b32 s0, v6
	s_delay_alu instid0(VALU_DEP_1) | instskip(NEXT) | instid1(SALU_CYCLE_1)
	s_mul_i32 s1, s18, s0
	s_mul_hi_u32 s1, s0, s1
	s_delay_alu instid0(SALU_CYCLE_1) | instskip(NEXT) | instid1(SALU_CYCLE_1)
	s_add_i32 s0, s0, s1
	s_mul_hi_u32 s0, s4, s0
	s_delay_alu instid0(SALU_CYCLE_1) | instskip(NEXT) | instid1(SALU_CYCLE_1)
	s_mul_i32 s1, s0, s20
	s_sub_i32 s1, s4, s1
	s_add_i32 s4, s0, 1
	s_sub_i32 s5, s1, s20
	s_cmp_ge_u32 s1, s20
	s_cselect_b32 s0, s4, s0
	s_cselect_b32 s1, s5, s1
	s_add_i32 s4, s0, 1
	s_cmp_ge_u32 s1, s20
	s_cselect_b32 s0, s4, s0
.LBB51_13:                              ;   in Loop: Header=BB51_9 Depth=1
	s_delay_alu instid0(SALU_CYCLE_1)
	s_cmp_lg_u32 s16, s0
	s_cbranch_scc0 .LBB51_17
; %bb.14:                               ;   in Loop: Header=BB51_9 Depth=1
	s_add_i32 s1, s14, s19
	s_mov_b32 s5, s12
	s_lshl_b32 s1, s1, 1
	s_mov_b32 s21, s16
	s_add_i32 s4, s1, s15
	s_mul_hi_u32 s1, s0, s8
	s_lshl_b64 s[4:5], s[4:5], 3
	s_delay_alu instid0(SALU_CYCLE_1) | instskip(SKIP_2) | instid1(SALU_CYCLE_1)
	s_add_u32 s4, s2, s4
	s_addc_u32 s5, s3, s5
	s_add_i32 s1, s1, s0
	s_lshr_b32 s1, s1, s9
	s_delay_alu instid0(SALU_CYCLE_1) | instskip(NEXT) | instid1(SALU_CYCLE_1)
	s_mul_i32 s13, s1, s10
	s_cmp_eq_u32 s13, s0
	s_cselect_b32 s13, -1, 0
	s_cmp_lt_u32 s1, s11
	s_cselect_b32 s1, -1, 0
	s_delay_alu instid0(SALU_CYCLE_1)
	s_or_b32 s1, s1, s13
	s_mov_b32 s13, -1
	s_and_b32 vcc_lo, exec_lo, s1
	s_mov_b32 s1, s19
	s_cbranch_vccnz .LBB51_16
; %bb.15:                               ;   in Loop: Header=BB51_9 Depth=1
	s_add_i32 s1, s19, -1
	s_mov_b32 s13, 0
	s_mov_b32 s21, s0
.LBB51_16:                              ;   in Loop: Header=BB51_9 Depth=1
	v_mad_u64_u32 v[9:10], null, 0x50, s19, v[3:4]
	s_load_b64 s[4:5], s[4:5], 0x0
	s_delay_alu instid0(VALU_DEP_1) | instskip(NEXT) | instid1(VALU_DEP_1)
	v_ashrrev_i32_e32 v10, 31, v9
	v_lshlrev_b64 v[9:10], 2, v[9:10]
	s_delay_alu instid0(VALU_DEP_1) | instskip(NEXT) | instid1(VALU_DEP_2)
	v_add_co_u32 v9, vcc_lo, s6, v9
	v_add_co_ci_u32_e32 v10, vcc_lo, s17, v10, vcc_lo
	s_waitcnt lgkmcnt(0)
	v_max_f32_e64 v11, s4, s4
	global_load_b32 v10, v[9:10], off
	v_max_f32_e32 v9, v8, v8
	s_delay_alu instid0(VALU_DEP_1) | instskip(NEXT) | instid1(VALU_DEP_1)
	v_max_f32_e32 v9, v9, v11
	v_sub_f32_e32 v12, v8, v9
	s_delay_alu instid0(VALU_DEP_1) | instskip(NEXT) | instid1(VALU_DEP_1)
	v_dual_mul_f32 v14, 0x3fb8aa3b, v12 :: v_dual_sub_f32 v11, s4, v9
	v_rndne_f32_e32 v18, v14
	s_delay_alu instid0(VALU_DEP_2) | instskip(SKIP_2) | instid1(VALU_DEP_4)
	v_mul_f32_e32 v13, 0x3fb8aa3b, v11
	v_fma_f32 v17, 0x3fb8aa3b, v12, -v14
	v_cmp_ngt_f32_e32 vcc_lo, 0xc2ce8ed0, v11
	v_sub_f32_e32 v14, v14, v18
	s_delay_alu instid0(VALU_DEP_4) | instskip(SKIP_2) | instid1(VALU_DEP_3)
	v_fma_f32 v15, 0x3fb8aa3b, v11, -v13
	v_rndne_f32_e32 v16, v13
	v_fmac_f32_e32 v17, 0x32a5705f, v12
	v_fmac_f32_e32 v15, 0x32a5705f, v11
	s_delay_alu instid0(VALU_DEP_2) | instskip(NEXT) | instid1(VALU_DEP_1)
	v_dual_sub_f32 v13, v13, v16 :: v_dual_add_f32 v14, v14, v17
	v_add_f32_e32 v13, v13, v15
	s_delay_alu instid0(VALU_DEP_2) | instskip(SKIP_2) | instid1(VALU_DEP_3)
	v_exp_f32_e32 v14, v14
	v_cvt_i32_f32_e32 v15, v16
	v_cvt_i32_f32_e32 v16, v18
	v_exp_f32_e32 v13, v13
	s_waitcnt_depctr 0xfff
	v_ldexp_f32 v14, v14, v16
	v_ldexp_f32 v13, v13, v15
	s_delay_alu instid0(VALU_DEP_1) | instskip(SKIP_1) | instid1(VALU_DEP_4)
	v_cndmask_b32_e32 v13, 0, v13, vcc_lo
	v_cmp_ngt_f32_e32 vcc_lo, 0xc2ce8ed0, v12
	v_cndmask_b32_e32 v14, 0, v14, vcc_lo
	v_cmp_nlt_f32_e32 vcc_lo, 0x42b17218, v11
	s_delay_alu instid0(VALU_DEP_4) | instskip(SKIP_1) | instid1(VALU_DEP_4)
	v_cndmask_b32_e32 v13, 0x7f800000, v13, vcc_lo
	v_cmp_nlt_f32_e32 vcc_lo, 0x42b17218, v12
	v_cndmask_b32_e32 v14, 0x7f800000, v14, vcc_lo
	v_cmp_le_f32_e32 vcc_lo, 0xc1a00000, v11
	s_delay_alu instid0(VALU_DEP_4) | instskip(SKIP_1) | instid1(VALU_DEP_4)
	v_cndmask_b32_e32 v11, 0, v13, vcc_lo
	v_cmp_le_f32_e32 vcc_lo, 0xc1a00000, v12
	v_cndmask_b32_e32 v12, 0, v14, vcc_lo
	s_waitcnt vmcnt(0)
	s_delay_alu instid0(VALU_DEP_3) | instskip(NEXT) | instid1(VALU_DEP_1)
	v_mul_f32_e32 v10, v10, v11
	v_dual_mul_f32 v11, s5, v11 :: v_dual_fmac_f32 v10, v5, v12
	s_delay_alu instid0(VALU_DEP_1)
	v_fmac_f32_e32 v11, v7, v12
	s_cbranch_execz .LBB51_18
	s_branch .LBB51_19
.LBB51_17:                              ;   in Loop: Header=BB51_9 Depth=1
                                        ; implicit-def: $sgpr13
                                        ; implicit-def: $vgpr10
                                        ; implicit-def: $vgpr9
                                        ; implicit-def: $vgpr11
                                        ; implicit-def: $sgpr1
                                        ; implicit-def: $sgpr21
.LBB51_18:                              ;   in Loop: Header=BB51_9 Depth=1
	s_waitcnt vmcnt(0)
	v_dual_mov_b32 v11, v7 :: v_dual_mov_b32 v10, v5
	v_mov_b32_e32 v9, v8
	s_add_i32 s1, s19, -1
	s_mov_b32 s13, 0
	s_mov_b32 s21, s16
.LBB51_19:                              ;   in Loop: Header=BB51_9 Depth=1
	s_and_not1_b32 vcc_lo, exec_lo, s13
	s_cbranch_vccz .LBB51_23
; %bb.20:                               ;   in Loop: Header=BB51_9 Depth=1
	v_dual_mov_b32 v7, v11 :: v_dual_mov_b32 v8, v9
	s_waitcnt vmcnt(0)
	v_mov_b32_e32 v5, v10
	s_mov_b32 s16, s21
	s_mov_b32 s19, s1
	s_branch .LBB51_9
.LBB51_21:
                                        ; implicit-def: $sgpr16_sgpr17
	s_load_b128 s[8:11], s[0:1], 0x44
	s_branch .LBB51_2
.LBB51_22:
                                        ; implicit-def: $sgpr18_sgpr19
	s_branch .LBB51_5
.LBB51_23:
	v_div_scale_f32 v0, null, v11, v11, v10
	s_delay_alu instid0(VALU_DEP_1) | instskip(SKIP_2) | instid1(VALU_DEP_1)
	v_rcp_f32_e32 v3, v0
	s_waitcnt_depctr 0xfff
	v_fma_f32 v4, -v0, v3, 1.0
	v_fmac_f32_e32 v3, v4, v3
	v_div_scale_f32 v4, vcc_lo, v10, v11, v10
	s_waitcnt vmcnt(0)
	s_delay_alu instid0(VALU_DEP_1) | instskip(NEXT) | instid1(VALU_DEP_1)
	v_mul_f32_e32 v5, v4, v3
	v_fma_f32 v6, -v0, v5, v4
	s_delay_alu instid0(VALU_DEP_1) | instskip(NEXT) | instid1(VALU_DEP_1)
	v_fmac_f32_e32 v5, v6, v3
	v_fma_f32 v0, -v0, v5, v4
	s_delay_alu instid0(VALU_DEP_1) | instskip(NEXT) | instid1(VALU_DEP_1)
	v_div_fmas_f32 v0, v0, v3, v5
	v_div_fixup_f32 v0, v0, v11, v10
	global_store_b32 v[1:2], v0, off
.LBB51_24:
	s_nop 0
	s_sendmsg sendmsg(MSG_DEALLOC_VGPRS)
	s_endpgm
	.section	.rodata,"a",@progbits
	.p2align	6, 0x0
	.amdhsa_kernel _ZL33flash_attn_stream_k_fixup_generalILi40ELi1ELi2EEvPfPK15HIP_vector_typeIfLj2EEiiiiS1_IjLj3EES5_S5_S5_
		.amdhsa_group_segment_fixed_size 0
		.amdhsa_private_segment_fixed_size 0
		.amdhsa_kernarg_size 336
		.amdhsa_user_sgpr_count 13
		.amdhsa_user_sgpr_dispatch_ptr 0
		.amdhsa_user_sgpr_queue_ptr 0
		.amdhsa_user_sgpr_kernarg_segment_ptr 1
		.amdhsa_user_sgpr_dispatch_id 0
		.amdhsa_user_sgpr_private_segment_size 0
		.amdhsa_wavefront_size32 1
		.amdhsa_uses_dynamic_stack 0
		.amdhsa_enable_private_segment 0
		.amdhsa_system_sgpr_workgroup_id_x 1
		.amdhsa_system_sgpr_workgroup_id_y 1
		.amdhsa_system_sgpr_workgroup_id_z 1
		.amdhsa_system_sgpr_workgroup_info 0
		.amdhsa_system_vgpr_workitem_id 0
		.amdhsa_next_free_vgpr 19
		.amdhsa_next_free_sgpr 32
		.amdhsa_reserve_vcc 1
		.amdhsa_float_round_mode_32 0
		.amdhsa_float_round_mode_16_64 0
		.amdhsa_float_denorm_mode_32 3
		.amdhsa_float_denorm_mode_16_64 3
		.amdhsa_dx10_clamp 1
		.amdhsa_ieee_mode 1
		.amdhsa_fp16_overflow 0
		.amdhsa_workgroup_processor_mode 1
		.amdhsa_memory_ordered 1
		.amdhsa_forward_progress 0
		.amdhsa_shared_vgpr_count 0
		.amdhsa_exception_fp_ieee_invalid_op 0
		.amdhsa_exception_fp_denorm_src 0
		.amdhsa_exception_fp_ieee_div_zero 0
		.amdhsa_exception_fp_ieee_overflow 0
		.amdhsa_exception_fp_ieee_underflow 0
		.amdhsa_exception_fp_ieee_inexact 0
		.amdhsa_exception_int_div_zero 0
	.end_amdhsa_kernel
	.section	.text._ZL33flash_attn_stream_k_fixup_generalILi40ELi1ELi2EEvPfPK15HIP_vector_typeIfLj2EEiiiiS1_IjLj3EES5_S5_S5_,"axG",@progbits,_ZL33flash_attn_stream_k_fixup_generalILi40ELi1ELi2EEvPfPK15HIP_vector_typeIfLj2EEiiiiS1_IjLj3EES5_S5_S5_,comdat
.Lfunc_end51:
	.size	_ZL33flash_attn_stream_k_fixup_generalILi40ELi1ELi2EEvPfPK15HIP_vector_typeIfLj2EEiiiiS1_IjLj3EES5_S5_S5_, .Lfunc_end51-_ZL33flash_attn_stream_k_fixup_generalILi40ELi1ELi2EEvPfPK15HIP_vector_typeIfLj2EEiiiiS1_IjLj3EES5_S5_S5_
                                        ; -- End function
	.section	.AMDGPU.csdata,"",@progbits
; Kernel info:
; codeLenInByte = 3212
; NumSgprs: 34
; NumVgprs: 19
; ScratchSize: 0
; MemoryBound: 0
; FloatMode: 240
; IeeeMode: 1
; LDSByteSize: 0 bytes/workgroup (compile time only)
; SGPRBlocks: 4
; VGPRBlocks: 2
; NumSGPRsForWavesPerEU: 34
; NumVGPRsForWavesPerEU: 19
; Occupancy: 16
; WaveLimiterHint : 0
; COMPUTE_PGM_RSRC2:SCRATCH_EN: 0
; COMPUTE_PGM_RSRC2:USER_SGPR: 13
; COMPUTE_PGM_RSRC2:TRAP_HANDLER: 0
; COMPUTE_PGM_RSRC2:TGID_X_EN: 1
; COMPUTE_PGM_RSRC2:TGID_Y_EN: 1
; COMPUTE_PGM_RSRC2:TGID_Z_EN: 1
; COMPUTE_PGM_RSRC2:TIDIG_COMP_CNT: 0
	.section	.text._ZL15flash_attn_tileILi40ELi40ELi64ELi1ELb0EEvPKcS1_S1_S1_S1_PKiPfP15HIP_vector_typeIfLj2EEffffjfiS5_IjLj3EEiiiiiiiiiiiliiliiiiil,"axG",@progbits,_ZL15flash_attn_tileILi40ELi40ELi64ELi1ELb0EEvPKcS1_S1_S1_S1_PKiPfP15HIP_vector_typeIfLj2EEffffjfiS5_IjLj3EEiiiiiiiiiiiliiliiiiil,comdat
	.globl	_ZL15flash_attn_tileILi40ELi40ELi64ELi1ELb0EEvPKcS1_S1_S1_S1_PKiPfP15HIP_vector_typeIfLj2EEffffjfiS5_IjLj3EEiiiiiiiiiiiliiliiiiil ; -- Begin function _ZL15flash_attn_tileILi40ELi40ELi64ELi1ELb0EEvPKcS1_S1_S1_S1_PKiPfP15HIP_vector_typeIfLj2EEffffjfiS5_IjLj3EEiiiiiiiiiiiliiliiiiil
	.p2align	8
	.type	_ZL15flash_attn_tileILi40ELi40ELi64ELi1ELb0EEvPKcS1_S1_S1_S1_PKiPfP15HIP_vector_typeIfLj2EEffffjfiS5_IjLj3EEiiiiiiiiiiiliiliiiiil,@function
_ZL15flash_attn_tileILi40ELi40ELi64ELi1ELb0EEvPKcS1_S1_S1_S1_PKiPfP15HIP_vector_typeIfLj2EEffffjfiS5_IjLj3EEiiiiiiiiiiiliiliiiiil: ; @_ZL15flash_attn_tileILi40ELi40ELi64ELi1ELb0EEvPKcS1_S1_S1_S1_PKiPfP15HIP_vector_typeIfLj2EEffffjfiS5_IjLj3EEiiiiiiiiiiiliiliiiiil
; %bb.0:
	s_clause 0x1
	s_load_b128 s[36:39], s[0:1], 0x5c
	s_load_b64 s[44:45], s[0:1], 0x80
	s_mov_b64 s[34:35], 0
	s_waitcnt lgkmcnt(0)
	v_cvt_f32_u32_e32 v1, s39
	s_sub_i32 s3, 0, s39
	s_delay_alu instid0(VALU_DEP_1) | instskip(SKIP_2) | instid1(VALU_DEP_1)
	v_rcp_iflag_f32_e32 v1, v1
	s_waitcnt_depctr 0xfff
	v_mul_f32_e32 v1, 0x4f7ffffe, v1
	v_cvt_u32_f32_e32 v1, v1
	s_delay_alu instid0(VALU_DEP_1) | instskip(NEXT) | instid1(VALU_DEP_1)
	v_readfirstlane_b32 s2, v1
	s_mul_i32 s3, s3, s2
	s_delay_alu instid0(SALU_CYCLE_1) | instskip(NEXT) | instid1(SALU_CYCLE_1)
	s_mul_hi_u32 s3, s2, s3
	s_add_i32 s2, s2, s3
	s_delay_alu instid0(SALU_CYCLE_1) | instskip(NEXT) | instid1(SALU_CYCLE_1)
	s_mul_hi_u32 s2, s15, s2
	s_mul_i32 s3, s2, s39
	s_add_i32 s4, s2, 1
	s_sub_i32 s3, s15, s3
	s_delay_alu instid0(SALU_CYCLE_1)
	s_sub_i32 s5, s3, s39
	s_cmp_ge_u32 s3, s39
	s_cselect_b32 s2, s4, s2
	s_cselect_b32 s3, s5, s3
	s_add_i32 s4, s2, 1
	s_cmp_ge_u32 s3, s39
	s_cselect_b32 s46, s4, s2
	s_abs_i32 s2, s45
	s_abs_i32 s5, s39
	v_cvt_f32_u32_e32 v1, s2
	s_sub_i32 s4, 0, s2
	s_delay_alu instid0(VALU_DEP_1) | instskip(SKIP_2) | instid1(VALU_DEP_1)
	v_rcp_iflag_f32_e32 v1, v1
	s_waitcnt_depctr 0xfff
	v_mul_f32_e32 v1, 0x4f7ffffe, v1
	v_cvt_u32_f32_e32 v1, v1
	s_delay_alu instid0(VALU_DEP_1) | instskip(NEXT) | instid1(VALU_DEP_1)
	v_readfirstlane_b32 s3, v1
	s_mul_i32 s4, s4, s3
	s_delay_alu instid0(SALU_CYCLE_1) | instskip(NEXT) | instid1(SALU_CYCLE_1)
	s_mul_hi_u32 s4, s3, s4
	s_add_i32 s3, s3, s4
	s_xor_b32 s4, s39, s45
	s_mul_hi_u32 s3, s5, s3
	s_ashr_i32 s4, s4, 31
	s_mul_i32 s6, s3, s2
	s_delay_alu instid0(SALU_CYCLE_1)
	s_sub_i32 s5, s5, s6
	s_add_i32 s6, s3, 1
	s_sub_i32 s7, s5, s2
	s_cmp_ge_u32 s5, s2
	s_cselect_b32 s3, s6, s3
	s_cselect_b32 s5, s7, s5
	s_add_i32 s6, s3, 1
	s_cmp_ge_u32 s5, s2
	s_cselect_b32 s2, s6, s3
	s_delay_alu instid0(SALU_CYCLE_1) | instskip(NEXT) | instid1(SALU_CYCLE_1)
	s_xor_b32 s2, s2, s4
	s_sub_i32 s40, s2, s4
	s_clause 0x1
	s_load_b512 s[16:31], s[0:1], 0x0
	s_load_b64 s[4:5], s[0:1], 0xb8
	s_abs_i32 s12, s40
	s_mul_i32 s2, s46, s39
	v_cvt_f32_u32_e32 v1, s12
	s_delay_alu instid0(VALU_DEP_1) | instskip(SKIP_4) | instid1(VALU_DEP_1)
	v_rcp_iflag_f32_e32 v1, v1
	s_waitcnt_depctr 0xfff
	v_mul_f32_e32 v1, 0x4f7ffffe, v1
	s_waitcnt lgkmcnt(0)
	s_cmp_eq_u64 s[22:23], 0
	v_cvt_u32_f32_e32 v1, v1
	s_delay_alu instid0(VALU_DEP_1)
	v_readfirstlane_b32 s41, v1
	s_cbranch_scc1 .LBB52_2
; %bb.1:
	s_abs_i32 s3, s4
	s_abs_i32 s8, s46
	v_cvt_f32_u32_e32 v1, s3
	s_sub_i32 s6, 0, s3
	s_delay_alu instid0(VALU_DEP_1) | instskip(SKIP_2) | instid1(VALU_DEP_1)
	v_rcp_iflag_f32_e32 v1, v1
	s_waitcnt_depctr 0xfff
	v_mul_f32_e32 v1, 0x4f7ffffe, v1
	v_cvt_u32_f32_e32 v1, v1
	s_delay_alu instid0(VALU_DEP_1) | instskip(NEXT) | instid1(VALU_DEP_1)
	v_readfirstlane_b32 s4, v1
	s_mul_i32 s6, s6, s4
	s_delay_alu instid0(SALU_CYCLE_1) | instskip(NEXT) | instid1(SALU_CYCLE_1)
	s_mul_hi_u32 s6, s4, s6
	s_add_i32 s4, s4, s6
	s_load_b64 s[6:7], s[0:1], 0xc8
	s_mul_hi_u32 s4, s8, s4
	s_delay_alu instid0(SALU_CYCLE_1) | instskip(NEXT) | instid1(SALU_CYCLE_1)
	s_mul_i32 s4, s4, s3
	s_sub_i32 s4, s8, s4
	s_ashr_i32 s8, s46, 31
	s_sub_i32 s9, s4, s3
	s_cmp_ge_u32 s4, s3
	s_cselect_b32 s4, s9, s4
	s_delay_alu instid0(SALU_CYCLE_1) | instskip(SKIP_2) | instid1(SALU_CYCLE_1)
	s_sub_i32 s9, s4, s3
	s_cmp_ge_u32 s4, s3
	s_cselect_b32 s3, s9, s4
	s_xor_b32 s3, s3, s8
	s_delay_alu instid0(SALU_CYCLE_1)
	s_sub_i32 s3, s3, s8
	s_waitcnt lgkmcnt(0)
	s_mul_i32 s4, s3, s7
	s_mul_hi_u32 s7, s3, s6
	s_ashr_i32 s8, s3, 31
	s_add_i32 s4, s7, s4
	s_mul_i32 s8, s8, s6
	s_mul_i32 s3, s3, s6
	s_add_i32 s4, s4, s8
	s_add_u32 s34, s22, s3
	s_addc_u32 s35, s23, s4
.LBB52_2:
	s_clause 0x1
	s_load_b128 s[8:11], s[0:1], 0x40
	s_load_b32 s3, s[0:1], 0x50
	v_mov_b32_e32 v21, 1.0
	s_sub_i32 s22, s15, s2
	s_waitcnt lgkmcnt(0)
	v_cmp_le_f32_e64 s4, s9, 0
	s_delay_alu instid0(VALU_DEP_1)
	s_and_b32 vcc_lo, exec_lo, s4
	s_cbranch_vccnz .LBB52_4
; %bb.3:
	s_sub_i32 s2, s22, s3
	s_add_i32 s4, s22, 1
	s_lshl_b32 s2, s2, 1
	v_mov_b32_e32 v1, s10
	s_or_b32 s2, s2, 1
	s_cmp_lt_u32 s22, s3
	s_cselect_b32 vcc_lo, -1, 0
	s_delay_alu instid0(VALU_DEP_1)
	v_cndmask_b32_e32 v3, s11, v1, vcc_lo
	s_and_b32 s3, vcc_lo, exec_lo
	s_cselect_b32 s2, s4, s2
	s_mov_b32 s3, 0x3e76c4e1
	v_cvt_f32_i32_e32 v1, s2
	v_cmp_neq_f32_e32 vcc_lo, 1.0, v3
	s_delay_alu instid0(VALU_DEP_2) | instskip(NEXT) | instid1(VALU_DEP_1)
	v_cndmask_b32_e32 v4, 1.0, v1, vcc_lo
	v_cmp_eq_f32_e32 vcc_lo, 0, v4
	v_cndmask_b32_e64 v5, |v3|, 1.0, vcc_lo
	s_delay_alu instid0(VALU_DEP_1) | instskip(NEXT) | instid1(VALU_DEP_1)
	v_frexp_mant_f32_e32 v1, v5
	v_cmp_gt_f32_e64 s2, 0x3f2aaaab, v1
	s_delay_alu instid0(VALU_DEP_1) | instskip(NEXT) | instid1(VALU_DEP_1)
	v_cndmask_b32_e64 v2, 1.0, 2.0, s2
	v_mul_f32_e32 v1, v1, v2
	s_delay_alu instid0(VALU_DEP_1) | instskip(SKIP_1) | instid1(VALU_DEP_2)
	v_add_f32_e32 v2, 1.0, v1
	v_add_f32_e32 v7, -1.0, v1
	v_rcp_f32_e32 v6, v2
	s_waitcnt_depctr 0xfff
	v_mul_f32_e32 v8, v7, v6
	s_delay_alu instid0(VALU_DEP_1) | instskip(NEXT) | instid1(VALU_DEP_1)
	v_dual_add_f32 v9, -1.0, v2 :: v_dual_mul_f32 v10, v2, v8
	v_sub_f32_e32 v1, v1, v9
	v_cndmask_b32_e64 v3, v3, 1.0, vcc_lo
	s_delay_alu instid0(VALU_DEP_3) | instskip(NEXT) | instid1(VALU_DEP_2)
	v_fma_f32 v2, v8, v2, -v10
	v_cmp_eq_f32_e64 s4, 0, v3
	s_delay_alu instid0(VALU_DEP_2) | instskip(NEXT) | instid1(VALU_DEP_1)
	v_fmac_f32_e32 v2, v8, v1
	v_add_f32_e32 v1, v10, v2
	s_delay_alu instid0(VALU_DEP_1) | instskip(NEXT) | instid1(VALU_DEP_1)
	v_dual_sub_f32 v10, v1, v10 :: v_dual_sub_f32 v9, v7, v1
	v_dual_sub_f32 v2, v10, v2 :: v_dual_sub_f32 v7, v7, v9
	s_delay_alu instid0(VALU_DEP_1) | instskip(NEXT) | instid1(VALU_DEP_1)
	v_sub_f32_e32 v1, v7, v1
	v_add_f32_e32 v1, v2, v1
	s_delay_alu instid0(VALU_DEP_1) | instskip(NEXT) | instid1(VALU_DEP_1)
	v_add_f32_e32 v1, v9, v1
	v_mul_f32_e32 v1, v6, v1
	s_delay_alu instid0(VALU_DEP_1) | instskip(NEXT) | instid1(VALU_DEP_1)
	v_add_f32_e32 v6, v8, v1
	v_sub_f32_e32 v2, v6, v8
	v_mul_f32_e32 v7, v6, v6
	s_delay_alu instid0(VALU_DEP_2) | instskip(NEXT) | instid1(VALU_DEP_2)
	v_sub_f32_e32 v8, v1, v2
	v_fma_f32 v9, v6, v6, -v7
	s_delay_alu instid0(VALU_DEP_2) | instskip(NEXT) | instid1(VALU_DEP_1)
	v_add_f32_e32 v1, v8, v8
	v_fmac_f32_e32 v9, v6, v1
	v_cvt_f64_f32_e32 v[1:2], v5
	s_delay_alu instid0(VALU_DEP_2) | instskip(NEXT) | instid1(VALU_DEP_1)
	v_add_f32_e32 v10, v7, v9
	v_fmaak_f32 v11, s3, v10, 0x3e91f4c4
	v_sub_f32_e32 v7, v10, v7
	v_mul_f32_e32 v14, v6, v10
	s_delay_alu instid0(VALU_DEP_3) | instskip(NEXT) | instid1(VALU_DEP_3)
	v_fmaak_f32 v11, v10, v11, 0x3ecccdef
	v_sub_f32_e32 v7, v9, v7
	s_delay_alu instid0(VALU_DEP_2) | instskip(NEXT) | instid1(VALU_DEP_1)
	v_mul_f32_e32 v12, v10, v11
	v_fma_f32 v9, v10, v11, -v12
	s_delay_alu instid0(VALU_DEP_1) | instskip(NEXT) | instid1(VALU_DEP_1)
	v_fmac_f32_e32 v9, v7, v11
	v_add_f32_e32 v11, v12, v9
	v_frexp_exp_i32_f64_e32 v1, v[1:2]
	s_delay_alu instid0(VALU_DEP_2) | instskip(NEXT) | instid1(VALU_DEP_1)
	v_sub_f32_e32 v12, v11, v12
	v_sub_f32_e32 v2, v9, v12
	v_fma_f32 v12, v10, v6, -v14
	s_delay_alu instid0(VALU_DEP_2) | instskip(NEXT) | instid1(VALU_DEP_2)
	v_add_f32_e32 v2, 0x31739010, v2
	v_dual_add_f32 v13, 0x3f2aaaaa, v11 :: v_dual_fmac_f32 v12, v10, v8
	v_ldexp_f32 v8, v8, 1
	s_delay_alu instid0(VALU_DEP_2) | instskip(NEXT) | instid1(VALU_DEP_1)
	v_dual_add_f32 v9, 0xbf2aaaaa, v13 :: v_dual_fmac_f32 v12, v7, v6
	v_sub_f32_e32 v9, v11, v9
	s_delay_alu instid0(VALU_DEP_1) | instskip(NEXT) | instid1(VALU_DEP_3)
	v_add_f32_e32 v2, v2, v9
	v_add_f32_e32 v9, v14, v12
	s_delay_alu instid0(VALU_DEP_2) | instskip(NEXT) | instid1(VALU_DEP_1)
	v_add_f32_e32 v7, v13, v2
	v_sub_f32_e32 v10, v13, v7
	s_delay_alu instid0(VALU_DEP_3) | instskip(SKIP_2) | instid1(VALU_DEP_4)
	v_mul_f32_e32 v11, v9, v7
	v_sub_f32_e32 v13, v9, v14
	v_subrev_co_ci_u32_e64 v1, s2, 0, v1, s2
	v_add_f32_e32 v2, v2, v10
	s_delay_alu instid0(VALU_DEP_4) | instskip(NEXT) | instid1(VALU_DEP_4)
	v_fma_f32 v10, v9, v7, -v11
	v_sub_f32_e32 v12, v12, v13
	s_delay_alu instid0(VALU_DEP_4) | instskip(NEXT) | instid1(VALU_DEP_3)
	v_cvt_f32_i32_e32 v1, v1
	v_fmac_f32_e32 v10, v9, v2
	v_ldexp_f32 v2, v6, 1
	s_delay_alu instid0(VALU_DEP_2) | instskip(NEXT) | instid1(VALU_DEP_1)
	v_fmac_f32_e32 v10, v12, v7
	v_add_f32_e32 v6, v11, v10
	s_delay_alu instid0(VALU_DEP_1) | instskip(NEXT) | instid1(VALU_DEP_1)
	v_add_f32_e32 v7, v2, v6
	v_dual_sub_f32 v2, v7, v2 :: v_dual_sub_f32 v9, v6, v11
	s_delay_alu instid0(VALU_DEP_1) | instskip(NEXT) | instid1(VALU_DEP_2)
	v_sub_f32_e32 v2, v6, v2
	v_sub_f32_e32 v9, v10, v9
	s_delay_alu instid0(VALU_DEP_1) | instskip(NEXT) | instid1(VALU_DEP_1)
	v_add_f32_e32 v6, v8, v9
	v_dual_mul_f32 v11, 0x3f317218, v1 :: v_dual_add_f32 v2, v6, v2
	s_delay_alu instid0(VALU_DEP_1) | instskip(NEXT) | instid1(VALU_DEP_2)
	v_fma_f32 v10, 0x3f317218, v1, -v11
	v_add_f32_e32 v8, v7, v2
	s_delay_alu instid0(VALU_DEP_1) | instskip(NEXT) | instid1(VALU_DEP_1)
	v_sub_f32_e32 v7, v8, v7
	v_dual_fmamk_f32 v1, v1, 0xb102e308, v10 :: v_dual_sub_f32 v2, v2, v7
	s_delay_alu instid0(VALU_DEP_1) | instskip(NEXT) | instid1(VALU_DEP_1)
	v_add_f32_e32 v6, v11, v1
	v_add_f32_e32 v9, v6, v8
	s_delay_alu instid0(VALU_DEP_1) | instskip(NEXT) | instid1(VALU_DEP_1)
	v_dual_sub_f32 v11, v6, v11 :: v_dual_sub_f32 v10, v9, v6
	v_sub_f32_e32 v12, v9, v10
	s_delay_alu instid0(VALU_DEP_2) | instskip(NEXT) | instid1(VALU_DEP_2)
	v_sub_f32_e32 v1, v1, v11
	v_dual_sub_f32 v7, v8, v10 :: v_dual_sub_f32 v6, v6, v12
	s_delay_alu instid0(VALU_DEP_2) | instskip(NEXT) | instid1(VALU_DEP_2)
	v_add_f32_e32 v8, v1, v2
	v_add_f32_e32 v6, v7, v6
	s_delay_alu instid0(VALU_DEP_1) | instskip(NEXT) | instid1(VALU_DEP_1)
	v_add_f32_e32 v6, v8, v6
	v_dual_sub_f32 v7, v8, v1 :: v_dual_add_f32 v10, v9, v6
	s_delay_alu instid0(VALU_DEP_1) | instskip(SKIP_1) | instid1(VALU_DEP_3)
	v_sub_f32_e32 v8, v8, v7
	v_sub_f32_e32 v2, v2, v7
	;; [unrolled: 1-line block ×3, first 2 shown]
	s_delay_alu instid0(VALU_DEP_3) | instskip(NEXT) | instid1(VALU_DEP_1)
	v_sub_f32_e32 v1, v1, v8
	v_add_f32_e32 v1, v2, v1
	s_delay_alu instid0(VALU_DEP_3) | instskip(NEXT) | instid1(VALU_DEP_1)
	v_sub_f32_e32 v2, v6, v7
	v_add_f32_e32 v1, v1, v2
	s_delay_alu instid0(VALU_DEP_1) | instskip(NEXT) | instid1(VALU_DEP_1)
	v_add_f32_e32 v2, v10, v1
	v_mul_f32_e32 v7, v4, v2
	v_sub_f32_e32 v6, v2, v10
	s_delay_alu instid0(VALU_DEP_2) | instskip(NEXT) | instid1(VALU_DEP_2)
	v_fma_f32 v2, v4, v2, -v7
	v_sub_f32_e32 v1, v1, v6
	v_cmp_class_f32_e64 s2, v7, 0x204
	s_delay_alu instid0(VALU_DEP_2) | instskip(NEXT) | instid1(VALU_DEP_1)
	v_fmac_f32_e32 v2, v4, v1
	v_add_f32_e32 v1, v7, v2
	s_delay_alu instid0(VALU_DEP_1) | instskip(NEXT) | instid1(VALU_DEP_1)
	v_cndmask_b32_e64 v6, v1, v7, s2
	v_cmp_eq_f32_e64 s2, 0x42b17218, v6
	s_delay_alu instid0(VALU_DEP_1) | instskip(SKIP_1) | instid1(VALU_DEP_2)
	v_cndmask_b32_e64 v8, 0, 0x37000000, s2
	v_cmp_neq_f32_e64 s2, 0x7f800000, |v6|
	v_sub_f32_e32 v9, v6, v8
	v_trunc_f32_e32 v6, v4
	s_delay_alu instid0(VALU_DEP_2) | instskip(NEXT) | instid1(VALU_DEP_1)
	v_mul_f32_e32 v10, 0x3fb8aa3b, v9
	v_fma_f32 v11, 0x3fb8aa3b, v9, -v10
	v_rndne_f32_e32 v12, v10
	s_delay_alu instid0(VALU_DEP_1) | instskip(NEXT) | instid1(VALU_DEP_1)
	v_dual_fmamk_f32 v11, v9, 0x32a5705f, v11 :: v_dual_sub_f32 v10, v10, v12
	v_add_f32_e32 v10, v10, v11
	v_sub_f32_e32 v1, v1, v7
	v_cvt_i32_f32_e32 v7, v12
	s_delay_alu instid0(VALU_DEP_3) | instskip(NEXT) | instid1(VALU_DEP_2)
	v_exp_f32_e32 v10, v10
	v_sub_f32_e32 v1, v2, v1
	s_delay_alu instid0(VALU_DEP_1)
	v_cndmask_b32_e64 v1, 0, v1, s2
	v_cmp_ngt_f32_e64 s2, 0xc2ce8ed0, v9
	s_waitcnt_depctr 0xfff
	v_ldexp_f32 v2, v10, v7
	v_mul_f32_e32 v7, 0.5, v4
	v_add_f32_e32 v1, v8, v1
	s_delay_alu instid0(VALU_DEP_3) | instskip(NEXT) | instid1(VALU_DEP_3)
	v_cndmask_b32_e64 v2, 0, v2, s2
	v_trunc_f32_e32 v10, v7
	v_cmp_nlt_f32_e64 s2, 0x42b17218, v9
	s_delay_alu instid0(VALU_DEP_2) | instskip(NEXT) | instid1(VALU_DEP_2)
	v_cmp_neq_f32_e64 s3, v10, v7
	v_cndmask_b32_e64 v2, 0x7f800000, v2, s2
	v_cmp_eq_f32_e64 s2, v6, v4
	s_delay_alu instid0(VALU_DEP_2) | instskip(NEXT) | instid1(VALU_DEP_2)
	v_fma_f32 v1, v2, v1, v2
	s_and_b32 vcc_lo, s2, s3
	v_cmp_class_f32_e64 s3, v2, 0x204
	v_cndmask_b32_e32 v6, 1.0, v3, vcc_lo
	s_delay_alu instid0(VALU_DEP_2) | instskip(SKIP_1) | instid1(VALU_DEP_2)
	v_cndmask_b32_e64 v1, v1, v2, s3
	v_cmp_gt_f32_e64 s3, 0, v4
	v_bfi_b32 v1, 0x7fffffff, v1, v6
	v_cndmask_b32_e32 v6, 0, v3, vcc_lo
	s_delay_alu instid0(VALU_DEP_3)
	s_xor_b32 s3, s3, s4
	v_cmp_eq_f32_e32 vcc_lo, 0x7f800000, v5
	v_cndmask_b32_e64 v2, 0x7f800000, 0, s3
	v_cndmask_b32_e64 v4, 0x7fc00000, v1, s2
	v_cmp_gt_f32_e64 s2, 0, v3
	s_or_b32 vcc_lo, vcc_lo, s4
	s_delay_alu instid0(VALU_DEP_3) | instskip(NEXT) | instid1(VALU_DEP_2)
	v_bfi_b32 v2, 0x7fffffff, v2, v6
	v_cndmask_b32_e64 v1, v1, v4, s2
	s_delay_alu instid0(VALU_DEP_1) | instskip(SKIP_1) | instid1(VALU_DEP_2)
	v_cndmask_b32_e32 v1, v1, v2, vcc_lo
	v_cmp_o_f32_e32 vcc_lo, v3, v3
	v_cndmask_b32_e32 v21, 0x7fc00000, v1, vcc_lo
.LBB52_4:
	s_load_b128 s[48:51], s[0:1], 0x70
	v_and_b32_e32 v34, 0x3ff, v0
	v_bfe_u32 v8, v0, 10, 10
	s_lshl_b32 s33, s13, 6
	s_delay_alu instid0(VALU_DEP_2) | instskip(NEXT) | instid1(VALU_DEP_2)
	v_lshlrev_b32_e32 v0, 3, v34
	v_lshlrev_b32_e32 v25, 3, v8
	v_cmp_gt_u32_e64 s2, 20, v34
	s_delay_alu instid0(VALU_DEP_2)
	v_add_nc_u32_e32 v26, s33, v25
	s_waitcnt lgkmcnt(0)
	s_mul_i32 s3, s46, s50
	s_mul_i32 s4, s22, s49
	s_ashr_i32 s6, s3, 31
	s_add_u32 s3, s16, s3
	s_addc_u32 s6, s17, s6
	s_ashr_i32 s7, s4, 31
	s_add_u32 s3, s3, s4
	s_addc_u32 s4, s6, s7
	v_add_co_u32 v0, s3, s3, v0
	s_delay_alu instid0(VALU_DEP_1) | instskip(SKIP_1) | instid1(SALU_CYCLE_1)
	v_add_co_ci_u32_e64 v1, null, s4, 0, s3
	s_ashr_i32 s49, s48, 31
	s_lshr_b64 s[6:7], s[48:49], 2
	s_and_saveexec_b32 s3, s2
	s_cbranch_execz .LBB52_6
; %bb.5:
	v_mul_hi_u32 v2, v26, s36
	s_delay_alu instid0(VALU_DEP_1) | instskip(NEXT) | instid1(VALU_DEP_1)
	v_add_nc_u32_e32 v2, v26, v2
	v_lshrrev_b32_e32 v2, s37, v2
	s_delay_alu instid0(VALU_DEP_1) | instskip(NEXT) | instid1(VALU_DEP_1)
	v_mul_lo_u32 v2, v2, s38
	v_sub_nc_u32_e32 v6, v26, v2
	s_delay_alu instid0(VALU_DEP_1) | instskip(NEXT) | instid1(VALU_DEP_1)
	v_mad_u64_u32 v[2:3], null, s6, v6, 0
	v_mad_u64_u32 v[4:5], null, s7, v6, v[3:4]
	s_delay_alu instid0(VALU_DEP_1) | instskip(SKIP_1) | instid1(VALU_DEP_2)
	v_mov_b32_e32 v3, v4
	v_mul_u32_u24_e32 v4, 0xa0, v8
	v_lshlrev_b64 v[2:3], 2, v[2:3]
	s_delay_alu instid0(VALU_DEP_2) | instskip(NEXT) | instid1(VALU_DEP_2)
	v_or_b32_e32 v4, v4, v34
	v_add_co_u32 v2, vcc_lo, v0, v2
	s_delay_alu instid0(VALU_DEP_3) | instskip(SKIP_3) | instid1(VALU_DEP_1)
	v_add_co_ci_u32_e32 v3, vcc_lo, v1, v3, vcc_lo
	global_load_b64 v[2:3], v[2:3], off
	s_waitcnt vmcnt(0)
	v_fma_mixlo_f16 v2, v2, s8, 0
	v_fma_mixhi_f16 v2, v3, s8, 0
	v_lshlrev_b32_e32 v3, 2, v4
	ds_store_b32 v3, v2
.LBB52_6:
	s_or_b32 exec_lo, exec_lo, s3
	v_or_b32_e32 v33, 1, v25
	s_delay_alu instid0(VALU_DEP_1)
	v_add_nc_u32_e32 v35, s33, v33
	s_and_saveexec_b32 s3, s2
	s_cbranch_execz .LBB52_8
; %bb.7:
	s_delay_alu instid0(VALU_DEP_1) | instskip(NEXT) | instid1(VALU_DEP_1)
	v_mul_hi_u32 v2, v35, s36
	v_add_nc_u32_e32 v2, v35, v2
	s_delay_alu instid0(VALU_DEP_1) | instskip(NEXT) | instid1(VALU_DEP_1)
	v_lshrrev_b32_e32 v2, s37, v2
	v_mul_lo_u32 v2, v2, s38
	s_delay_alu instid0(VALU_DEP_1) | instskip(NEXT) | instid1(VALU_DEP_1)
	v_sub_nc_u32_e32 v6, v35, v2
	v_mad_u64_u32 v[2:3], null, s6, v6, 0
	s_delay_alu instid0(VALU_DEP_1) | instskip(NEXT) | instid1(VALU_DEP_1)
	v_mad_u64_u32 v[4:5], null, s7, v6, v[3:4]
	v_mov_b32_e32 v3, v4
	v_mul_u32_u24_e32 v4, 20, v33
	s_delay_alu instid0(VALU_DEP_2) | instskip(NEXT) | instid1(VALU_DEP_1)
	v_lshlrev_b64 v[2:3], 2, v[2:3]
	v_add_co_u32 v2, vcc_lo, v0, v2
	s_delay_alu instid0(VALU_DEP_2) | instskip(SKIP_3) | instid1(VALU_DEP_1)
	v_add_co_ci_u32_e32 v3, vcc_lo, v1, v3, vcc_lo
	global_load_b64 v[2:3], v[2:3], off
	s_waitcnt vmcnt(0)
	v_fma_mixlo_f16 v2, v2, s8, 0
	v_fma_mixhi_f16 v2, v3, s8, 0
	v_add_lshl_u32 v3, v4, v34, 2
	ds_store_b32 v3, v2
.LBB52_8:
	s_or_b32 exec_lo, exec_lo, s3
	v_or_b32_e32 v32, 2, v25
	s_and_saveexec_b32 s3, s2
	s_cbranch_execz .LBB52_10
; %bb.9:
	s_delay_alu instid0(VALU_DEP_1) | instskip(NEXT) | instid1(VALU_DEP_1)
	v_add_nc_u32_e32 v2, s33, v32
	v_mul_hi_u32 v3, v2, s36
	s_delay_alu instid0(VALU_DEP_1) | instskip(NEXT) | instid1(VALU_DEP_1)
	v_add_nc_u32_e32 v3, v2, v3
	v_lshrrev_b32_e32 v3, s37, v3
	s_delay_alu instid0(VALU_DEP_1) | instskip(NEXT) | instid1(VALU_DEP_1)
	v_mul_lo_u32 v3, v3, s38
	v_sub_nc_u32_e32 v6, v2, v3
	s_delay_alu instid0(VALU_DEP_1) | instskip(NEXT) | instid1(VALU_DEP_1)
	v_mad_u64_u32 v[2:3], null, s6, v6, 0
	v_mad_u64_u32 v[4:5], null, s7, v6, v[3:4]
	s_delay_alu instid0(VALU_DEP_1) | instskip(SKIP_1) | instid1(VALU_DEP_2)
	v_mov_b32_e32 v3, v4
	v_mul_u32_u24_e32 v4, 20, v32
	v_lshlrev_b64 v[2:3], 2, v[2:3]
	s_delay_alu instid0(VALU_DEP_1) | instskip(NEXT) | instid1(VALU_DEP_2)
	v_add_co_u32 v2, vcc_lo, v0, v2
	v_add_co_ci_u32_e32 v3, vcc_lo, v1, v3, vcc_lo
	global_load_b64 v[2:3], v[2:3], off
	s_waitcnt vmcnt(0)
	v_fma_mixlo_f16 v2, v2, s8, 0
	s_delay_alu instid0(VALU_DEP_1)
	v_fma_mixhi_f16 v2, v3, s8, 0
	v_add_lshl_u32 v3, v4, v34, 2
	ds_store_b32 v3, v2
.LBB52_10:
	s_or_b32 exec_lo, exec_lo, s3
	v_or_b32_e32 v31, 3, v25
	s_sub_i32 s3, 0, s12
	s_and_saveexec_b32 s4, s2
	s_cbranch_execz .LBB52_12
; %bb.11:
	s_delay_alu instid0(VALU_DEP_1) | instskip(NEXT) | instid1(VALU_DEP_1)
	v_add_nc_u32_e32 v2, s33, v31
	v_mul_hi_u32 v3, v2, s36
	s_delay_alu instid0(VALU_DEP_1) | instskip(NEXT) | instid1(VALU_DEP_1)
	v_add_nc_u32_e32 v3, v2, v3
	v_lshrrev_b32_e32 v3, s37, v3
	s_delay_alu instid0(VALU_DEP_1) | instskip(NEXT) | instid1(VALU_DEP_1)
	v_mul_lo_u32 v3, v3, s38
	v_sub_nc_u32_e32 v6, v2, v3
	s_delay_alu instid0(VALU_DEP_1) | instskip(NEXT) | instid1(VALU_DEP_1)
	v_mad_u64_u32 v[2:3], null, s6, v6, 0
	v_mad_u64_u32 v[4:5], null, s7, v6, v[3:4]
	s_delay_alu instid0(VALU_DEP_1) | instskip(SKIP_1) | instid1(VALU_DEP_2)
	v_mov_b32_e32 v3, v4
	v_mul_u32_u24_e32 v4, 20, v31
	v_lshlrev_b64 v[2:3], 2, v[2:3]
	s_delay_alu instid0(VALU_DEP_1) | instskip(NEXT) | instid1(VALU_DEP_2)
	v_add_co_u32 v2, vcc_lo, v0, v2
	v_add_co_ci_u32_e32 v3, vcc_lo, v1, v3, vcc_lo
	global_load_b64 v[2:3], v[2:3], off
	s_waitcnt vmcnt(0)
	v_fma_mixlo_f16 v2, v2, s8, 0
	s_delay_alu instid0(VALU_DEP_1)
	v_fma_mixhi_f16 v2, v3, s8, 0
	v_add_lshl_u32 v3, v4, v34, 2
	ds_store_b32 v3, v2
.LBB52_12:
	s_or_b32 exec_lo, exec_lo, s4
	v_or_b32_e32 v30, 4, v25
	s_mul_i32 s3, s3, s41
	s_and_saveexec_b32 s4, s2
	s_cbranch_execz .LBB52_14
; %bb.13:
	s_delay_alu instid0(VALU_DEP_1) | instskip(NEXT) | instid1(VALU_DEP_1)
	v_add_nc_u32_e32 v2, s33, v30
	v_mul_hi_u32 v3, v2, s36
	s_delay_alu instid0(VALU_DEP_1) | instskip(NEXT) | instid1(VALU_DEP_1)
	v_add_nc_u32_e32 v3, v2, v3
	v_lshrrev_b32_e32 v3, s37, v3
	s_delay_alu instid0(VALU_DEP_1) | instskip(NEXT) | instid1(VALU_DEP_1)
	v_mul_lo_u32 v3, v3, s38
	v_sub_nc_u32_e32 v6, v2, v3
	s_delay_alu instid0(VALU_DEP_1) | instskip(NEXT) | instid1(VALU_DEP_1)
	v_mad_u64_u32 v[2:3], null, s6, v6, 0
	v_mad_u64_u32 v[4:5], null, s7, v6, v[3:4]
	s_delay_alu instid0(VALU_DEP_1) | instskip(SKIP_1) | instid1(VALU_DEP_2)
	v_mov_b32_e32 v3, v4
	v_mul_u32_u24_e32 v4, 20, v30
	v_lshlrev_b64 v[2:3], 2, v[2:3]
	s_delay_alu instid0(VALU_DEP_1) | instskip(NEXT) | instid1(VALU_DEP_2)
	v_add_co_u32 v2, vcc_lo, v0, v2
	v_add_co_ci_u32_e32 v3, vcc_lo, v1, v3, vcc_lo
	global_load_b64 v[2:3], v[2:3], off
	s_waitcnt vmcnt(0)
	v_fma_mixlo_f16 v2, v2, s8, 0
	s_delay_alu instid0(VALU_DEP_1)
	v_fma_mixhi_f16 v2, v3, s8, 0
	v_add_lshl_u32 v3, v4, v34, 2
	ds_store_b32 v3, v2
.LBB52_14:
	s_or_b32 exec_lo, exec_lo, s4
	v_or_b32_e32 v29, 5, v25
	s_mul_hi_u32 s4, s41, s3
	s_and_saveexec_b32 s3, s2
	s_cbranch_execz .LBB52_16
; %bb.15:
	s_delay_alu instid0(VALU_DEP_1) | instskip(NEXT) | instid1(VALU_DEP_1)
	v_add_nc_u32_e32 v2, s33, v29
	v_mul_hi_u32 v3, v2, s36
	s_delay_alu instid0(VALU_DEP_1) | instskip(NEXT) | instid1(VALU_DEP_1)
	v_add_nc_u32_e32 v3, v2, v3
	v_lshrrev_b32_e32 v3, s37, v3
	s_delay_alu instid0(VALU_DEP_1) | instskip(NEXT) | instid1(VALU_DEP_1)
	v_mul_lo_u32 v3, v3, s38
	v_sub_nc_u32_e32 v6, v2, v3
	s_delay_alu instid0(VALU_DEP_1) | instskip(NEXT) | instid1(VALU_DEP_1)
	v_mad_u64_u32 v[2:3], null, s6, v6, 0
	v_mad_u64_u32 v[4:5], null, s7, v6, v[3:4]
	s_delay_alu instid0(VALU_DEP_1) | instskip(SKIP_1) | instid1(VALU_DEP_2)
	v_mov_b32_e32 v3, v4
	v_mul_u32_u24_e32 v4, 20, v29
	v_lshlrev_b64 v[2:3], 2, v[2:3]
	s_delay_alu instid0(VALU_DEP_1) | instskip(NEXT) | instid1(VALU_DEP_2)
	v_add_co_u32 v2, vcc_lo, v0, v2
	v_add_co_ci_u32_e32 v3, vcc_lo, v1, v3, vcc_lo
	global_load_b64 v[2:3], v[2:3], off
	s_waitcnt vmcnt(0)
	v_fma_mixlo_f16 v2, v2, s8, 0
	s_delay_alu instid0(VALU_DEP_1)
	v_fma_mixhi_f16 v2, v3, s8, 0
	v_add_lshl_u32 v3, v4, v34, 2
	ds_store_b32 v3, v2
.LBB52_16:
	s_or_b32 exec_lo, exec_lo, s3
	v_or_b32_e32 v28, 6, v25
	s_abs_i32 s3, s22
	s_add_i32 s41, s41, s4
	s_and_saveexec_b32 s4, s2
	s_cbranch_execz .LBB52_18
; %bb.17:
	v_add_nc_u32_e32 v2, s33, v28
	s_delay_alu instid0(VALU_DEP_1) | instskip(NEXT) | instid1(VALU_DEP_1)
	v_mul_hi_u32 v3, v2, s36
	v_add_nc_u32_e32 v3, v2, v3
	s_delay_alu instid0(VALU_DEP_1) | instskip(NEXT) | instid1(VALU_DEP_1)
	v_lshrrev_b32_e32 v3, s37, v3
	v_mul_lo_u32 v3, v3, s38
	s_delay_alu instid0(VALU_DEP_1) | instskip(NEXT) | instid1(VALU_DEP_1)
	v_sub_nc_u32_e32 v6, v2, v3
	v_mad_u64_u32 v[2:3], null, s6, v6, 0
	s_delay_alu instid0(VALU_DEP_1) | instskip(NEXT) | instid1(VALU_DEP_1)
	v_mad_u64_u32 v[4:5], null, s7, v6, v[3:4]
	v_mov_b32_e32 v3, v4
	v_mul_u32_u24_e32 v4, 20, v28
	s_delay_alu instid0(VALU_DEP_2) | instskip(NEXT) | instid1(VALU_DEP_1)
	v_lshlrev_b64 v[2:3], 2, v[2:3]
	v_add_co_u32 v2, vcc_lo, v0, v2
	s_delay_alu instid0(VALU_DEP_2) | instskip(SKIP_3) | instid1(VALU_DEP_1)
	v_add_co_ci_u32_e32 v3, vcc_lo, v1, v3, vcc_lo
	global_load_b64 v[2:3], v[2:3], off
	s_waitcnt vmcnt(0)
	v_fma_mixlo_f16 v2, v2, s8, 0
	v_fma_mixhi_f16 v2, v3, s8, 0
	v_add_lshl_u32 v3, v4, v34, 2
	ds_store_b32 v3, v2
.LBB52_18:
	s_or_b32 exec_lo, exec_lo, s4
	v_or_b32_e32 v27, 7, v25
	s_mul_hi_u32 s10, s3, s41
	s_and_saveexec_b32 s4, s2
	s_cbranch_execz .LBB52_20
; %bb.19:
	s_delay_alu instid0(VALU_DEP_1) | instskip(NEXT) | instid1(VALU_DEP_1)
	v_add_nc_u32_e32 v2, s33, v27
	v_mul_hi_u32 v3, v2, s36
	s_delay_alu instid0(VALU_DEP_1) | instskip(NEXT) | instid1(VALU_DEP_1)
	v_add_nc_u32_e32 v3, v2, v3
	v_lshrrev_b32_e32 v3, s37, v3
	s_delay_alu instid0(VALU_DEP_1) | instskip(NEXT) | instid1(VALU_DEP_1)
	v_mul_lo_u32 v3, v3, s38
	v_sub_nc_u32_e32 v6, v2, v3
	s_delay_alu instid0(VALU_DEP_1) | instskip(NEXT) | instid1(VALU_DEP_1)
	v_mad_u64_u32 v[2:3], null, s6, v6, 0
	v_mad_u64_u32 v[4:5], null, s7, v6, v[3:4]
	s_delay_alu instid0(VALU_DEP_1) | instskip(NEXT) | instid1(VALU_DEP_1)
	v_mov_b32_e32 v3, v4
	v_lshlrev_b64 v[2:3], 2, v[2:3]
	s_delay_alu instid0(VALU_DEP_1) | instskip(NEXT) | instid1(VALU_DEP_2)
	v_add_co_u32 v0, vcc_lo, v0, v2
	v_add_co_ci_u32_e32 v1, vcc_lo, v1, v3, vcc_lo
	v_mul_u32_u24_e32 v2, 20, v27
	global_load_b64 v[0:1], v[0:1], off
	s_waitcnt vmcnt(0)
	v_fma_mixlo_f16 v0, v0, s8, 0
	s_delay_alu instid0(VALU_DEP_1)
	v_fma_mixhi_f16 v0, v1, s8, 0
	v_add_lshl_u32 v1, v2, v34, 2
	ds_store_b32 v1, v0
.LBB52_20:
	s_or_b32 exec_lo, exec_lo, s4
	s_ashr_i32 s23, s22, 31
	s_ashr_i32 s9, s40, 31
	s_cmp_eq_u64 s[26:27], 0
	s_waitcnt lgkmcnt(0)
	s_barrier
	buffer_gl0_inv
	s_cbranch_scc1 .LBB52_22
; %bb.21:
	s_load_b32 s4, s[0:1], 0xd0
	s_mov_b32 s7, 0
	s_waitcnt lgkmcnt(0)
	s_mul_i32 s4, s4, s46
	s_delay_alu instid0(SALU_CYCLE_1) | instskip(NEXT) | instid1(SALU_CYCLE_1)
	s_add_i32 s6, s4, s13
	s_lshl_b64 s[6:7], s[6:7], 2
	s_delay_alu instid0(SALU_CYCLE_1)
	s_add_u32 s6, s26, s6
	s_addc_u32 s7, s27, s7
	s_load_b32 s44, s[6:7], 0x0
.LBB52_22:
	s_clause 0x2
	s_load_b64 s[16:17], s[0:1], 0x8c
	s_load_b128 s[40:43], s[0:1], 0x98
	s_load_b64 s[26:27], s[0:1], 0xa8
	s_ashr_i32 s11, s46, 31
	s_ashr_i32 s48, s5, 1
	s_mul_i32 s13, s10, s12
	v_dual_mov_b32 v44, 0 :: v_dual_mov_b32 v43, 0
	v_lshl_add_u32 v22, v8, 5, v34
	v_lshrrev_b32_e32 v16, 2, v34
	v_mul_u32_u24_e32 v17, 0x60, v34
	v_mul_u32_u24_e32 v23, 0x280, v8
	v_lshlrev_b32_e32 v20, 2, v34
	v_lshl_add_u32 v19, v8, 9, 0x1400
	v_mbcnt_lo_u32_b32 v18, -1, 0
	s_mov_b32 s4, 0xfeffffff
	s_waitcnt lgkmcnt(0)
	s_ashr_i32 s49, s16, 2
	s_mul_i32 s15, s46, s41
	s_mul_hi_u32 s16, s46, s40
	s_mul_i32 s41, s11, s40
	s_add_i32 s15, s16, s15
	s_mul_i32 s16, s46, s40
	s_ashr_i32 s42, s42, 2
	s_add_i32 s15, s15, s41
	s_add_u32 s16, s18, s16
	s_addc_u32 s15, s19, s15
	s_sub_i32 s3, s3, s13
	s_xor_b32 s18, s23, s9
	s_add_i32 s13, s10, 1
	s_sub_i32 s19, s3, s12
	s_cmp_ge_u32 s3, s12
	s_mul_i32 s11, s11, s26
	s_cselect_b32 s13, s13, s10
	s_cselect_b32 s3, s19, s3
	s_add_i32 s19, s13, 1
	s_cmp_ge_u32 s3, s12
	s_mul_i32 s12, s46, s27
	s_cselect_b32 s3, s19, s13
	s_mul_hi_u32 s13, s46, s26
	s_xor_b32 s3, s3, s18
	s_delay_alu instid0(SALU_CYCLE_1)
	s_sub_i32 s3, s3, s18
	s_mul_i32 s18, s46, s26
	s_mul_i32 s17, s3, s17
	;; [unrolled: 1-line block ×3, first 2 shown]
	s_ashr_i32 s19, s17, 31
	s_add_u32 s50, s16, s17
	s_addc_u32 s51, s15, s19
	s_add_i32 s12, s13, s12
	s_delay_alu instid0(SALU_CYCLE_1)
	s_add_i32 s12, s12, s11
	s_add_u32 s11, s20, s18
	s_addc_u32 s12, s21, s12
	s_ashr_i32 s13, s3, 31
	s_add_u32 s43, s11, s3
	s_addc_u32 s45, s12, s13
	s_lshl_b32 s47, s14, 5
	s_sub_i32 s52, s44, 32
	s_delay_alu instid0(SALU_CYCLE_1)
	s_cmp_ge_i32 s47, s52
	s_cbranch_scc1 .LBB52_50
; %bb.23:
	v_mul_hi_u32 v1, s36, v26
	v_or_b32_e32 v6, 2, v26
	v_or_b32_e32 v4, 1, v26
	v_dual_mov_b32 v36, 0 :: v_dual_add_nc_u32 v5, v25, v16
	v_dual_mov_b32 v76, 0xfeffffff :: v_dual_and_b32 v37, 12, v20
	v_or_b32_e32 v7, 3, v26
	v_add_nc_u32_e32 v1, v26, v1
	v_or_b32_e32 v9, 5, v26
	v_mul_hi_u32 v12, s36, v6
	v_mul_hi_u32 v3, s36, v4
	v_mul_u32_u24_e32 v11, 0x60, v5
	v_lshrrev_b32_e32 v1, s37, v1
	v_lshlrev_b32_e32 v13, 2, v37
	v_mul_hi_u32 v14, s36, v7
	v_mul_hi_u32 v39, s36, v9
	v_or_b32_e32 v8, 4, v26
	v_mul_lo_u32 v10, v1, s38
	v_add3_u32 v52, v11, v13, 0x2400
	v_dual_mov_b32 v82, 0xfeffffff :: v_dual_add_nc_u32 v11, v6, v12
	v_dual_mov_b32 v42, 0 :: v_dual_add_nc_u32 v15, v4, v3
	;; [unrolled: 1-line block ×3, first 2 shown]
	v_sub_nc_u32_e32 v10, v26, v10
	s_delay_alu instid0(VALU_DEP_4) | instskip(NEXT) | instid1(VALU_DEP_4)
	v_lshrrev_b32_e32 v11, s37, v11
	v_lshrrev_b32_e32 v12, s37, v15
	v_mul_hi_u32 v15, s36, v8
	v_lshrrev_b32_e32 v39, s37, v39
	v_mul_lo_u32 v53, v10, s48
	v_add_nc_u32_e32 v10, v7, v14
	v_or_b32_e32 v14, 6, v26
	v_mul_lo_u32 v11, v11, s38
	v_or_b32_e32 v38, 7, v26
	v_mul_lo_u32 v12, v12, s38
	v_dual_mov_b32 v80, 0xfeffffff :: v_dual_add_nc_u32 v15, v8, v15
	v_mul_hi_u32 v40, s36, v14
	v_mul_lo_u32 v39, v39, s38
	v_mul_hi_u32 v41, s36, v38
	v_sub_nc_u32_e32 v6, v6, v11
	v_dual_mov_b32 v70, 0 :: v_dual_lshlrev_b32 v65, 2, v37
	v_mov_b32_e32 v37, 0
	v_lshrrev_b32_e32 v10, s37, v10
	v_add_nc_u32_e32 v40, v14, v40
	v_lshrrev_b32_e32 v15, s37, v15
	v_sub_nc_u32_e32 v4, v4, v12
	v_mul_lo_u32 v55, v6, s48
	v_mul_lo_u32 v10, v10, s38
	v_sub_nc_u32_e32 v6, v9, v39
	v_mov_b32_e32 v39, 0
	v_lshrrev_b32_e32 v12, s37, v40
	v_mul_lo_u32 v15, v15, s38
	v_dual_mov_b32 v72, 0 :: v_dual_add_nc_u32 v41, v38, v41
	v_mul_lo_u32 v54, v4, s48
	s_delay_alu instid0(VALU_DEP_4) | instskip(SKIP_1) | instid1(VALU_DEP_4)
	v_mul_lo_u32 v11, v12, s38
	v_sub_nc_u32_e32 v7, v7, v10
	v_lshrrev_b32_e32 v40, s37, v41
	v_mul_lo_u32 v0, s49, v22
	v_sub_nc_u32_e32 v4, v8, v15
	v_mul_lo_u32 v2, s49, v5
	v_mul_lo_u32 v56, v7, s48
	;; [unrolled: 1-line block ×3, first 2 shown]
	v_sub_nc_u32_e32 v7, v14, v11
	v_mul_lo_u32 v57, v4, s48
	v_mul_lo_u32 v58, v6, s48
	;; [unrolled: 1-line block ×5, first 2 shown]
	v_mul_u32_u24_e32 v7, 0x50, v5
	s_movk_i32 s4, 0x2440
	v_sub_nc_u32_e32 v8, v38, v10
	v_mad_u32_u24 v24, 0x60, v22, s4
	v_cmp_gt_u32_e64 s4, 32, v5
	v_ashrrev_i32_e32 v1, 31, v0
	v_ashrrev_i32_e32 v3, 31, v2
	v_dual_mov_b32 v41, 0 :: v_dual_lshlrev_b32 v12, 4, v34
	v_ashrrev_i32_e32 v5, 31, v4
	v_mov_b32_e32 v40, 0
	v_add3_u32 v62, v7, v13, 0x2400
	v_ashrrev_i32_e32 v7, 31, v6
	v_mul_lo_u32 v60, v8, s48
	s_movk_i32 s5, 0x50
	v_lshlrev_b64 v[8:9], 2, v[0:1]
	v_lshlrev_b64 v[10:11], 2, v[2:3]
	v_dual_mov_b32 v43, 0 :: v_dual_add_nc_u32 v64, v19, v12
	v_lshlrev_b64 v[12:13], 2, v[4:5]
	v_lshlrev_b64 v[14:15], 2, v[6:7]
	v_cmp_gt_u32_e64 s3, 32, v22
	s_cmp_lg_u64 s[34:35], 0
	v_mad_u32_u24 v61, v22, s5, 0x2440
	v_dual_mov_b32 v74, 0 :: v_dual_add_nc_u32 v63, 0x2400, v20
	v_mbcnt_lo_u32_b32 v66, -1, 0
	v_dual_mov_b32 v38, 0 :: v_dual_mov_b32 v81, 0xfeffffff
	v_dual_mov_b32 v68, 0 :: v_dual_mov_b32 v77, 0xfeffffff
	v_mov_b32_e32 v79, 0xfeffffff
	v_mov_b32_e32 v75, 0xfeffffff
	;; [unrolled: 1-line block ×6, first 2 shown]
	s_cselect_b32 s53, -1, 0
	s_add_u32 s26, s0, 0xd0
	s_addc_u32 s27, s1, 0
.LBB52_24:                              ; =>This Inner Loop Header: Depth=1
	s_mul_hi_i32 s7, s47, s49
	s_mul_i32 s6, s47, s49
	s_delay_alu instid0(SALU_CYCLE_1) | instskip(NEXT) | instid1(SALU_CYCLE_1)
	s_lshl_b64 s[6:7], s[6:7], 2
	s_add_u32 s5, s50, s6
	s_addc_u32 s6, s51, s7
	s_and_saveexec_b32 s7, s3
	s_cbranch_execz .LBB52_26
; %bb.25:                               ;   in Loop: Header=BB52_24 Depth=1
	v_add_co_u32 v0, vcc_lo, s5, v8
	v_add_co_ci_u32_e32 v1, vcc_lo, s6, v9, vcc_lo
	global_load_b128 v[0:3], v[0:1], off offset:64
	s_waitcnt vmcnt(0)
	ds_store_b128 v24, v[0:3]
.LBB52_26:                              ;   in Loop: Header=BB52_24 Depth=1
	s_or_b32 exec_lo, exec_lo, s7
	s_and_saveexec_b32 s7, s4
	s_cbranch_execz .LBB52_28
; %bb.27:                               ;   in Loop: Header=BB52_24 Depth=1
	v_add_co_u32 v0, vcc_lo, s5, v10
	v_add_co_ci_u32_e32 v1, vcc_lo, s6, v11, vcc_lo
	s_delay_alu instid0(VALU_DEP_2) | instskip(NEXT) | instid1(VALU_DEP_2)
	v_add_co_u32 v0, vcc_lo, v0, v65
	v_add_co_ci_u32_e32 v1, vcc_lo, 0, v1, vcc_lo
	global_load_b128 v[0:3], v[0:1], off
	s_waitcnt vmcnt(0)
	ds_store_b128 v52, v[0:3]
.LBB52_28:                              ;   in Loop: Header=BB52_24 Depth=1
	s_or_b32 exec_lo, exec_lo, s7
	s_waitcnt lgkmcnt(0)
	s_barrier
	buffer_gl0_inv
	ds_load_b128 v[44:47], v17 offset:9216
	ds_load_b128 v[48:51], v23
	ds_load_b128 v[83:86], v23 offset:80
	ds_load_b128 v[87:90], v23 offset:160
	;; [unrolled: 1-line block ×7, first 2 shown]
	v_dual_mov_b32 v7, 0 :: v_dual_mov_b32 v6, 0
	v_dual_mov_b32 v5, 0 :: v_dual_mov_b32 v4, 0
	;; [unrolled: 1-line block ×4, first 2 shown]
	s_and_not1_b32 vcc_lo, exec_lo, s53
	s_waitcnt lgkmcnt(7)
	;;#ASMSTART
	v_dot2_f32_f16 v7, v44, v48, v7
	;;#ASMEND
	;;#ASMSTART
	v_dot2_f32_f16 v7, v45, v49, v7
	;;#ASMEND
	;;#ASMSTART
	v_dot2_f32_f16 v7, v46, v50, v7
	;;#ASMEND
	;;#ASMSTART
	v_dot2_f32_f16 v7, v47, v51, v7
	;;#ASMEND
	s_waitcnt lgkmcnt(6)
	;;#ASMSTART
	v_dot2_f32_f16 v6, v44, v83, v6
	;;#ASMEND
	;;#ASMSTART
	v_dot2_f32_f16 v6, v45, v84, v6
	;;#ASMEND
	;;#ASMSTART
	v_dot2_f32_f16 v6, v46, v85, v6
	;;#ASMEND
	;;#ASMSTART
	v_dot2_f32_f16 v6, v47, v86, v6
	;;#ASMEND
	;; [unrolled: 13-line block ×8, first 2 shown]
	ds_load_b128 v[44:47], v17 offset:9232
	ds_load_b128 v[48:51], v23 offset:16
	;; [unrolled: 1-line block ×9, first 2 shown]
	s_waitcnt lgkmcnt(7)
	;;#ASMSTART
	v_dot2_f32_f16 v7, v44, v48, v7
	;;#ASMEND
	;;#ASMSTART
	v_dot2_f32_f16 v7, v45, v49, v7
	;;#ASMEND
	;;#ASMSTART
	v_dot2_f32_f16 v7, v46, v50, v7
	;;#ASMEND
	;;#ASMSTART
	v_dot2_f32_f16 v7, v47, v51, v7
	;;#ASMEND
	s_waitcnt lgkmcnt(6)
	;;#ASMSTART
	v_dot2_f32_f16 v6, v44, v83, v6
	;;#ASMEND
	;;#ASMSTART
	v_dot2_f32_f16 v6, v45, v84, v6
	;;#ASMEND
	;;#ASMSTART
	v_dot2_f32_f16 v6, v46, v85, v6
	;;#ASMEND
	;;#ASMSTART
	v_dot2_f32_f16 v6, v47, v86, v6
	;;#ASMEND
	;; [unrolled: 13-line block ×8, first 2 shown]
	ds_load_b128 v[44:47], v17 offset:9248
	ds_load_b128 v[48:51], v23 offset:32
	;; [unrolled: 1-line block ×9, first 2 shown]
	s_waitcnt lgkmcnt(7)
	;;#ASMSTART
	v_dot2_f32_f16 v7, v44, v48, v7
	;;#ASMEND
	;;#ASMSTART
	v_dot2_f32_f16 v7, v45, v49, v7
	;;#ASMEND
	;;#ASMSTART
	v_dot2_f32_f16 v7, v46, v50, v7
	;;#ASMEND
	;;#ASMSTART
	v_dot2_f32_f16 v7, v47, v51, v7
	;;#ASMEND
	s_waitcnt lgkmcnt(6)
	;;#ASMSTART
	v_dot2_f32_f16 v6, v44, v83, v6
	;;#ASMEND
	;;#ASMSTART
	v_dot2_f32_f16 v6, v45, v84, v6
	;;#ASMEND
	;;#ASMSTART
	v_dot2_f32_f16 v6, v46, v85, v6
	;;#ASMEND
	;;#ASMSTART
	v_dot2_f32_f16 v6, v47, v86, v6
	;;#ASMEND
	;; [unrolled: 13-line block ×8, first 2 shown]
	ds_load_b128 v[44:47], v17 offset:9264
	ds_load_b128 v[48:51], v23 offset:48
	;; [unrolled: 1-line block ×9, first 2 shown]
	s_waitcnt lgkmcnt(7)
	;;#ASMSTART
	v_dot2_f32_f16 v7, v44, v48, v7
	;;#ASMEND
	;;#ASMSTART
	v_dot2_f32_f16 v7, v45, v49, v7
	;;#ASMEND
	;;#ASMSTART
	v_dot2_f32_f16 v7, v46, v50, v7
	;;#ASMEND
	;;#ASMSTART
	v_dot2_f32_f16 v7, v47, v51, v7
	;;#ASMEND
	s_waitcnt lgkmcnt(6)
	;;#ASMSTART
	v_dot2_f32_f16 v6, v44, v83, v6
	;;#ASMEND
	;;#ASMSTART
	v_dot2_f32_f16 v6, v45, v84, v6
	;;#ASMEND
	;;#ASMSTART
	v_dot2_f32_f16 v6, v46, v85, v6
	;;#ASMEND
	;;#ASMSTART
	v_dot2_f32_f16 v6, v47, v86, v6
	;;#ASMEND
	s_waitcnt lgkmcnt(5)
	;;#ASMSTART
	v_dot2_f32_f16 v5, v44, v87, v5
	;;#ASMEND
	;;#ASMSTART
	v_dot2_f32_f16 v5, v45, v88, v5
	;;#ASMEND
	;;#ASMSTART
	v_dot2_f32_f16 v5, v46, v89, v5
	;;#ASMEND
	;;#ASMSTART
	v_dot2_f32_f16 v5, v47, v90, v5
	;;#ASMEND
	s_waitcnt lgkmcnt(4)
	;;#ASMSTART
	v_dot2_f32_f16 v4, v44, v91, v4
	;;#ASMEND
	;;#ASMSTART
	v_dot2_f32_f16 v4, v45, v92, v4
	;;#ASMEND
	;;#ASMSTART
	v_dot2_f32_f16 v4, v46, v93, v4
	;;#ASMEND
	;;#ASMSTART
	v_dot2_f32_f16 v4, v47, v94, v4
	;;#ASMEND
	s_waitcnt lgkmcnt(3)
	;;#ASMSTART
	v_dot2_f32_f16 v3, v44, v95, v3
	;;#ASMEND
	;;#ASMSTART
	v_dot2_f32_f16 v3, v45, v96, v3
	;;#ASMEND
	;;#ASMSTART
	v_dot2_f32_f16 v3, v46, v97, v3
	;;#ASMEND
	;;#ASMSTART
	v_dot2_f32_f16 v3, v47, v98, v3
	;;#ASMEND
	s_waitcnt lgkmcnt(2)
	;;#ASMSTART
	v_dot2_f32_f16 v2, v44, v99, v2
	;;#ASMEND
	;;#ASMSTART
	v_dot2_f32_f16 v2, v45, v100, v2
	;;#ASMEND
	;;#ASMSTART
	v_dot2_f32_f16 v2, v46, v101, v2
	;;#ASMEND
	;;#ASMSTART
	v_dot2_f32_f16 v2, v47, v102, v2
	;;#ASMEND
	s_waitcnt lgkmcnt(1)
	;;#ASMSTART
	v_dot2_f32_f16 v1, v44, v103, v1
	;;#ASMEND
	;;#ASMSTART
	v_dot2_f32_f16 v1, v45, v104, v1
	;;#ASMEND
	;;#ASMSTART
	v_dot2_f32_f16 v1, v46, v105, v1
	;;#ASMEND
	;;#ASMSTART
	v_dot2_f32_f16 v1, v47, v106, v1
	;;#ASMEND
	s_waitcnt lgkmcnt(0)
	;;#ASMSTART
	v_dot2_f32_f16 v0, v44, v107, v0
	;;#ASMEND
	;;#ASMSTART
	v_dot2_f32_f16 v0, v45, v108, v0
	;;#ASMEND
	;;#ASMSTART
	v_dot2_f32_f16 v0, v46, v109, v0
	;;#ASMEND
	;;#ASMSTART
	v_dot2_f32_f16 v0, v47, v110, v0
	;;#ASMEND
	ds_load_b128 v[83:86], v17 offset:9280
	ds_load_b128 v[87:90], v23 offset:64
	;; [unrolled: 1-line block ×9, first 2 shown]
	s_waitcnt lgkmcnt(7)
	;;#ASMSTART
	v_dot2_f32_f16 v7, v83, v87, v7
	;;#ASMEND
	;;#ASMSTART
	v_dot2_f32_f16 v7, v84, v88, v7
	;;#ASMEND
	;;#ASMSTART
	v_dot2_f32_f16 v7, v85, v89, v7
	;;#ASMEND
	;;#ASMSTART
	v_dot2_f32_f16 v7, v86, v90, v7
	;;#ASMEND
	s_waitcnt lgkmcnt(6)
	;;#ASMSTART
	v_dot2_f32_f16 v6, v83, v91, v6
	;;#ASMEND
	;;#ASMSTART
	v_dot2_f32_f16 v6, v84, v92, v6
	;;#ASMEND
	;;#ASMSTART
	v_dot2_f32_f16 v6, v85, v93, v6
	;;#ASMEND
	;;#ASMSTART
	v_dot2_f32_f16 v6, v86, v94, v6
	;;#ASMEND
	;; [unrolled: 13-line block ×6, first 2 shown]
	s_waitcnt lgkmcnt(1)
	;;#ASMSTART
	v_dot2_f32_f16 v1, v83, v111, v1
	;;#ASMEND
	v_dual_mov_b32 v47, 0 :: v_dual_add_nc_u32 v50, s47, v34
	v_mov_b32_e32 v44, 0
	;;#ASMSTART
	v_dot2_f32_f16 v1, v84, v112, v1
	;;#ASMEND
	;;#ASMSTART
	v_dot2_f32_f16 v1, v85, v113, v1
	;;#ASMEND
	;; [unrolled: 3-line block ×3, first 2 shown]
	s_waitcnt lgkmcnt(0)
	;;#ASMSTART
	v_dot2_f32_f16 v0, v83, v115, v0
	;;#ASMEND
	;;#ASMSTART
	v_dot2_f32_f16 v0, v84, v116, v0
	;;#ASMEND
	;;#ASMSTART
	v_dot2_f32_f16 v0, v85, v117, v0
	;;#ASMEND
	;;#ASMSTART
	v_dot2_f32_f16 v0, v86, v118, v0
	;;#ASMEND
	s_cbranch_vccnz .LBB52_30
; %bb.29:                               ;   in Loop: Header=BB52_24 Depth=1
	v_add_nc_u32_e32 v44, v50, v53
	s_delay_alu instid0(VALU_DEP_1) | instskip(NEXT) | instid1(VALU_DEP_1)
	v_ashrrev_i32_e32 v45, 31, v44
	v_lshlrev_b64 v[44:45], 1, v[44:45]
	s_delay_alu instid0(VALU_DEP_1) | instskip(NEXT) | instid1(VALU_DEP_2)
	v_add_co_u32 v44, vcc_lo, s34, v44
	v_add_co_ci_u32_e32 v45, vcc_lo, s35, v45, vcc_lo
	flat_load_u16 v44, v[44:45]
	s_waitcnt vmcnt(0) lgkmcnt(0)
	v_cvt_f32_f16_e32 v44, v44
	s_delay_alu instid0(VALU_DEP_1)
	v_mul_f32_e32 v44, v21, v44
.LBB52_30:                              ;   in Loop: Header=BB52_24 Depth=1
	v_xor_b32_e32 v46, 16, v66
	v_xor_b32_e32 v48, 2, v66
	s_delay_alu instid0(VALU_DEP_2) | instskip(NEXT) | instid1(VALU_DEP_4)
	v_cmp_gt_i32_e32 vcc_lo, 32, v46
	v_add_f32_e32 v45, v7, v44
	v_dual_max_f32 v7, v76, v76 :: v_dual_cndmask_b32 v44, v66, v46
	s_delay_alu instid0(VALU_DEP_2) | instskip(NEXT) | instid1(VALU_DEP_1)
	v_add_f32_e32 v46, 0x40051340, v45
	v_max_f32_e32 v7, v7, v46
	v_xor_b32_e32 v46, 8, v66
	s_delay_alu instid0(VALU_DEP_1)
	v_cmp_gt_i32_e32 vcc_lo, 32, v46
	v_dual_cndmask_b32 v46, v66, v46 :: v_dual_lshlrev_b32 v85, 2, v44
	ds_bpermute_b32 v44, v85, v7
	s_waitcnt lgkmcnt(0)
	v_max_f32_e32 v44, v44, v44
	v_lshlrev_b32_e32 v84, 2, v46
	v_xor_b32_e32 v46, 4, v66
	s_delay_alu instid0(VALU_DEP_3) | instskip(NEXT) | instid1(VALU_DEP_2)
	v_max_f32_e32 v7, v7, v44
	v_cmp_gt_i32_e32 vcc_lo, 32, v46
	ds_bpermute_b32 v44, v84, v7
	s_waitcnt lgkmcnt(0)
	v_max_f32_e32 v44, v44, v44
	v_cndmask_b32_e32 v46, v66, v46, vcc_lo
	v_cmp_gt_i32_e32 vcc_lo, 32, v48
	s_delay_alu instid0(VALU_DEP_2)
	v_dual_max_f32 v7, v7, v44 :: v_dual_lshlrev_b32 v46, 2, v46
	v_cndmask_b32_e32 v48, v66, v48, vcc_lo
	ds_bpermute_b32 v44, v46, v7
	s_waitcnt lgkmcnt(0)
	v_max_f32_e32 v49, v44, v44
	v_lshlrev_b32_e32 v44, 2, v48
	s_delay_alu instid0(VALU_DEP_2)
	v_max_f32_e32 v48, v7, v49
	v_xor_b32_e32 v49, 1, v66
	ds_bpermute_b32 v7, v44, v48
	v_cmp_gt_i32_e32 vcc_lo, 32, v49
	v_cndmask_b32_e32 v49, v66, v49, vcc_lo
	s_and_not1_b32 vcc_lo, exec_lo, s53
	s_waitcnt lgkmcnt(0)
	v_max_f32_e32 v51, v7, v7
	s_delay_alu instid0(VALU_DEP_1)
	v_dual_max_f32 v86, v48, v51 :: v_dual_lshlrev_b32 v7, 2, v49
	ds_bpermute_b32 v87, v7, v86
	s_cbranch_vccnz .LBB52_32
; %bb.31:                               ;   in Loop: Header=BB52_24 Depth=1
	v_add_nc_u32_e32 v47, v50, v54
	s_delay_alu instid0(VALU_DEP_1) | instskip(NEXT) | instid1(VALU_DEP_1)
	v_ashrrev_i32_e32 v48, 31, v47
	v_lshlrev_b64 v[47:48], 1, v[47:48]
	s_delay_alu instid0(VALU_DEP_1) | instskip(NEXT) | instid1(VALU_DEP_2)
	v_add_co_u32 v47, vcc_lo, s34, v47
	v_add_co_ci_u32_e32 v48, vcc_lo, s35, v48, vcc_lo
	flat_load_u16 v47, v[47:48]
	s_waitcnt vmcnt(0) lgkmcnt(0)
	v_cvt_f32_f16_e32 v47, v47
	s_delay_alu instid0(VALU_DEP_1)
	v_mul_f32_e32 v47, v21, v47
.LBB52_32:                              ;   in Loop: Header=BB52_24 Depth=1
	v_max_f32_e32 v48, v82, v82
	s_delay_alu instid0(VALU_DEP_2) | instskip(SKIP_1) | instid1(VALU_DEP_1)
	v_add_f32_e32 v47, v6, v47
	s_and_not1_b32 vcc_lo, exec_lo, s53
	v_dual_mov_b32 v49, 0 :: v_dual_add_f32 v6, 0x40051340, v47
	s_delay_alu instid0(VALU_DEP_1) | instskip(SKIP_3) | instid1(VALU_DEP_1)
	v_max_f32_e32 v6, v48, v6
	ds_bpermute_b32 v48, v85, v6
	s_waitcnt lgkmcnt(0)
	v_max_f32_e32 v48, v48, v48
	v_max_f32_e32 v6, v6, v48
	ds_bpermute_b32 v48, v84, v6
	s_waitcnt lgkmcnt(0)
	v_max_f32_e32 v48, v48, v48
	s_delay_alu instid0(VALU_DEP_1) | instskip(SKIP_3) | instid1(VALU_DEP_1)
	v_max_f32_e32 v6, v6, v48
	ds_bpermute_b32 v48, v46, v6
	s_waitcnt lgkmcnt(0)
	v_max_f32_e32 v48, v48, v48
	v_max_f32_e32 v6, v6, v48
	ds_bpermute_b32 v48, v44, v6
	s_waitcnt lgkmcnt(0)
	v_max_f32_e32 v48, v48, v48
	s_delay_alu instid0(VALU_DEP_1)
	v_max_f32_e32 v6, v6, v48
	v_mov_b32_e32 v48, 0
	ds_bpermute_b32 v89, v7, v6
	s_cbranch_vccnz .LBB52_34
; %bb.33:                               ;   in Loop: Header=BB52_24 Depth=1
	v_add_nc_u32_e32 v90, v50, v55
	s_delay_alu instid0(VALU_DEP_1) | instskip(NEXT) | instid1(VALU_DEP_1)
	v_ashrrev_i32_e32 v91, 31, v90
	v_lshlrev_b64 v[90:91], 1, v[90:91]
	s_delay_alu instid0(VALU_DEP_1) | instskip(NEXT) | instid1(VALU_DEP_2)
	v_add_co_u32 v90, vcc_lo, s34, v90
	v_add_co_ci_u32_e32 v91, vcc_lo, s35, v91, vcc_lo
	flat_load_u16 v48, v[90:91]
	s_waitcnt vmcnt(0) lgkmcnt(0)
	v_cvt_f32_f16_e32 v48, v48
	s_delay_alu instid0(VALU_DEP_1)
	v_mul_f32_e32 v48, v21, v48
.LBB52_34:                              ;   in Loop: Header=BB52_24 Depth=1
	v_max_f32_e32 v51, v80, v80
	s_delay_alu instid0(VALU_DEP_2) | instskip(SKIP_1) | instid1(VALU_DEP_1)
	v_add_f32_e32 v48, v5, v48
	s_and_not1_b32 vcc_lo, exec_lo, s53
	v_add_f32_e32 v5, 0x40051340, v48
	s_delay_alu instid0(VALU_DEP_1) | instskip(SKIP_3) | instid1(VALU_DEP_1)
	v_max_f32_e32 v5, v51, v5
	ds_bpermute_b32 v51, v85, v5
	s_waitcnt lgkmcnt(0)
	v_max_f32_e32 v51, v51, v51
	v_max_f32_e32 v5, v5, v51
	ds_bpermute_b32 v51, v84, v5
	s_waitcnt lgkmcnt(0)
	v_max_f32_e32 v51, v51, v51
	s_delay_alu instid0(VALU_DEP_1) | instskip(SKIP_3) | instid1(VALU_DEP_1)
	v_max_f32_e32 v5, v5, v51
	ds_bpermute_b32 v51, v46, v5
	s_waitcnt lgkmcnt(0)
	v_max_f32_e32 v51, v51, v51
	v_max_f32_e32 v5, v5, v51
	ds_bpermute_b32 v51, v44, v5
	s_waitcnt lgkmcnt(0)
	v_max_f32_e32 v51, v51, v51
	s_delay_alu instid0(VALU_DEP_1)
	v_max_f32_e32 v5, v5, v51
	ds_bpermute_b32 v90, v7, v5
	s_cbranch_vccnz .LBB52_36
; %bb.35:                               ;   in Loop: Header=BB52_24 Depth=1
	v_add_nc_u32_e32 v91, v50, v56
	s_delay_alu instid0(VALU_DEP_1) | instskip(NEXT) | instid1(VALU_DEP_1)
	v_ashrrev_i32_e32 v92, 31, v91
	v_lshlrev_b64 v[91:92], 1, v[91:92]
	s_delay_alu instid0(VALU_DEP_1) | instskip(NEXT) | instid1(VALU_DEP_2)
	v_add_co_u32 v91, vcc_lo, s34, v91
	v_add_co_ci_u32_e32 v92, vcc_lo, s35, v92, vcc_lo
	flat_load_u16 v49, v[91:92]
	s_waitcnt vmcnt(0) lgkmcnt(0)
	v_cvt_f32_f16_e32 v49, v49
	s_delay_alu instid0(VALU_DEP_1)
	v_mul_f32_e32 v49, v21, v49
.LBB52_36:                              ;   in Loop: Header=BB52_24 Depth=1
	v_max_f32_e32 v51, v81, v81
	s_delay_alu instid0(VALU_DEP_2) | instskip(SKIP_1) | instid1(VALU_DEP_1)
	v_add_f32_e32 v49, v4, v49
	s_and_not1_b32 vcc_lo, exec_lo, s53
	v_dual_mov_b32 v83, 0 :: v_dual_add_f32 v4, 0x40051340, v49
	s_delay_alu instid0(VALU_DEP_1) | instskip(SKIP_3) | instid1(VALU_DEP_1)
	v_max_f32_e32 v4, v51, v4
	ds_bpermute_b32 v51, v85, v4
	s_waitcnt lgkmcnt(0)
	v_max_f32_e32 v51, v51, v51
	v_max_f32_e32 v4, v4, v51
	ds_bpermute_b32 v51, v84, v4
	s_waitcnt lgkmcnt(0)
	v_max_f32_e32 v51, v51, v51
	s_delay_alu instid0(VALU_DEP_1) | instskip(SKIP_3) | instid1(VALU_DEP_1)
	v_max_f32_e32 v4, v4, v51
	ds_bpermute_b32 v51, v46, v4
	s_waitcnt lgkmcnt(0)
	v_max_f32_e32 v51, v51, v51
	v_max_f32_e32 v4, v4, v51
	ds_bpermute_b32 v51, v44, v4
	s_waitcnt lgkmcnt(0)
	v_max_f32_e32 v51, v51, v51
	s_delay_alu instid0(VALU_DEP_1)
	v_dual_max_f32 v4, v4, v51 :: v_dual_mov_b32 v51, 0
	ds_bpermute_b32 v91, v7, v4
	s_cbranch_vccnz .LBB52_38
; %bb.37:                               ;   in Loop: Header=BB52_24 Depth=1
	v_add_nc_u32_e32 v92, v50, v57
	s_delay_alu instid0(VALU_DEP_1) | instskip(NEXT) | instid1(VALU_DEP_1)
	v_ashrrev_i32_e32 v93, 31, v92
	v_lshlrev_b64 v[92:93], 1, v[92:93]
	s_delay_alu instid0(VALU_DEP_1) | instskip(NEXT) | instid1(VALU_DEP_2)
	v_add_co_u32 v92, vcc_lo, s34, v92
	v_add_co_ci_u32_e32 v93, vcc_lo, s35, v93, vcc_lo
	flat_load_u16 v51, v[92:93]
	s_waitcnt vmcnt(0) lgkmcnt(0)
	v_cvt_f32_f16_e32 v51, v51
	s_delay_alu instid0(VALU_DEP_1)
	v_mul_f32_e32 v51, v21, v51
.LBB52_38:                              ;   in Loop: Header=BB52_24 Depth=1
	s_delay_alu instid0(VALU_DEP_1) | instskip(SKIP_1) | instid1(VALU_DEP_1)
	v_dual_add_f32 v51, v3, v51 :: v_dual_max_f32 v88, v77, v77
	s_and_not1_b32 vcc_lo, exec_lo, s53
	v_add_f32_e32 v3, 0x40051340, v51
	s_delay_alu instid0(VALU_DEP_1) | instskip(SKIP_3) | instid1(VALU_DEP_1)
	v_max_f32_e32 v3, v88, v3
	ds_bpermute_b32 v88, v85, v3
	s_waitcnt lgkmcnt(0)
	v_max_f32_e32 v88, v88, v88
	v_max_f32_e32 v3, v3, v88
	ds_bpermute_b32 v88, v84, v3
	s_waitcnt lgkmcnt(0)
	v_max_f32_e32 v88, v88, v88
	s_delay_alu instid0(VALU_DEP_1) | instskip(SKIP_3) | instid1(VALU_DEP_1)
	v_max_f32_e32 v3, v3, v88
	ds_bpermute_b32 v88, v46, v3
	s_waitcnt lgkmcnt(0)
	v_max_f32_e32 v88, v88, v88
	v_max_f32_e32 v3, v3, v88
	ds_bpermute_b32 v88, v44, v3
	s_waitcnt lgkmcnt(0)
	v_max_f32_e32 v88, v88, v88
	s_delay_alu instid0(VALU_DEP_1)
	v_max_f32_e32 v3, v3, v88
	ds_bpermute_b32 v92, v7, v3
	s_cbranch_vccnz .LBB52_40
; %bb.39:                               ;   in Loop: Header=BB52_24 Depth=1
	v_add_nc_u32_e32 v93, v50, v58
	s_delay_alu instid0(VALU_DEP_1) | instskip(NEXT) | instid1(VALU_DEP_1)
	v_ashrrev_i32_e32 v94, 31, v93
	v_lshlrev_b64 v[93:94], 1, v[93:94]
	s_delay_alu instid0(VALU_DEP_1) | instskip(NEXT) | instid1(VALU_DEP_2)
	v_add_co_u32 v93, vcc_lo, s34, v93
	v_add_co_ci_u32_e32 v94, vcc_lo, s35, v94, vcc_lo
	flat_load_u16 v83, v[93:94]
	s_waitcnt vmcnt(0) lgkmcnt(0)
	v_cvt_f32_f16_e32 v83, v83
	s_delay_alu instid0(VALU_DEP_1)
	v_mul_f32_e32 v83, v21, v83
.LBB52_40:                              ;   in Loop: Header=BB52_24 Depth=1
	v_max_f32_e32 v88, v78, v78
	s_delay_alu instid0(VALU_DEP_2) | instskip(SKIP_1) | instid1(VALU_DEP_1)
	v_dual_add_f32 v83, v2, v83 :: v_dual_mov_b32 v94, 0
	s_and_not1_b32 vcc_lo, exec_lo, s53
	v_add_f32_e32 v2, 0x40051340, v83
	s_delay_alu instid0(VALU_DEP_1) | instskip(SKIP_3) | instid1(VALU_DEP_1)
	v_max_f32_e32 v2, v88, v2
	ds_bpermute_b32 v88, v85, v2
	s_waitcnt lgkmcnt(0)
	v_max_f32_e32 v88, v88, v88
	v_max_f32_e32 v2, v2, v88
	ds_bpermute_b32 v88, v84, v2
	s_waitcnt lgkmcnt(0)
	v_max_f32_e32 v88, v88, v88
	s_delay_alu instid0(VALU_DEP_1) | instskip(SKIP_3) | instid1(VALU_DEP_1)
	v_max_f32_e32 v2, v2, v88
	ds_bpermute_b32 v88, v46, v2
	s_waitcnt lgkmcnt(0)
	v_max_f32_e32 v88, v88, v88
	v_max_f32_e32 v2, v2, v88
	ds_bpermute_b32 v88, v44, v2
	s_waitcnt lgkmcnt(0)
	v_max_f32_e32 v88, v88, v88
	s_delay_alu instid0(VALU_DEP_1)
	v_max_f32_e32 v2, v2, v88
	v_mov_b32_e32 v88, 0
	ds_bpermute_b32 v93, v7, v2
	s_cbranch_vccnz .LBB52_42
; %bb.41:                               ;   in Loop: Header=BB52_24 Depth=1
	v_add_nc_u32_e32 v95, v50, v59
	s_delay_alu instid0(VALU_DEP_1) | instskip(NEXT) | instid1(VALU_DEP_1)
	v_ashrrev_i32_e32 v96, 31, v95
	v_lshlrev_b64 v[95:96], 1, v[95:96]
	s_delay_alu instid0(VALU_DEP_1) | instskip(NEXT) | instid1(VALU_DEP_2)
	v_add_co_u32 v95, vcc_lo, s34, v95
	v_add_co_ci_u32_e32 v96, vcc_lo, s35, v96, vcc_lo
	flat_load_u16 v88, v[95:96]
	s_waitcnt vmcnt(0) lgkmcnt(0)
	v_cvt_f32_f16_e32 v88, v88
	s_delay_alu instid0(VALU_DEP_1)
	v_mul_f32_e32 v88, v21, v88
.LBB52_42:                              ;   in Loop: Header=BB52_24 Depth=1
	s_delay_alu instid0(VALU_DEP_1) | instskip(SKIP_1) | instid1(VALU_DEP_1)
	v_dual_add_f32 v88, v1, v88 :: v_dual_max_f32 v95, v79, v79
	s_and_not1_b32 vcc_lo, exec_lo, s53
	v_add_f32_e32 v1, 0x40051340, v88
	s_delay_alu instid0(VALU_DEP_1) | instskip(SKIP_3) | instid1(VALU_DEP_1)
	v_max_f32_e32 v1, v95, v1
	ds_bpermute_b32 v95, v85, v1
	s_waitcnt lgkmcnt(0)
	v_max_f32_e32 v95, v95, v95
	v_max_f32_e32 v1, v1, v95
	ds_bpermute_b32 v95, v84, v1
	s_waitcnt lgkmcnt(0)
	v_max_f32_e32 v95, v95, v95
	s_delay_alu instid0(VALU_DEP_1) | instskip(SKIP_3) | instid1(VALU_DEP_1)
	v_max_f32_e32 v1, v1, v95
	ds_bpermute_b32 v95, v46, v1
	s_waitcnt lgkmcnt(0)
	v_max_f32_e32 v95, v95, v95
	v_max_f32_e32 v1, v1, v95
	ds_bpermute_b32 v95, v44, v1
	s_waitcnt lgkmcnt(0)
	v_max_f32_e32 v95, v95, v95
	s_delay_alu instid0(VALU_DEP_1)
	v_max_f32_e32 v1, v1, v95
	ds_bpermute_b32 v95, v7, v1
	s_cbranch_vccnz .LBB52_44
; %bb.43:                               ;   in Loop: Header=BB52_24 Depth=1
	v_add_nc_u32_e32 v96, v50, v60
	s_delay_alu instid0(VALU_DEP_1) | instskip(NEXT) | instid1(VALU_DEP_1)
	v_ashrrev_i32_e32 v97, 31, v96
	v_lshlrev_b64 v[96:97], 1, v[96:97]
	s_delay_alu instid0(VALU_DEP_1) | instskip(NEXT) | instid1(VALU_DEP_2)
	v_add_co_u32 v96, vcc_lo, s34, v96
	v_add_co_ci_u32_e32 v97, vcc_lo, s35, v97, vcc_lo
	flat_load_u16 v50, v[96:97]
	s_waitcnt vmcnt(0) lgkmcnt(0)
	v_cvt_f32_f16_e32 v50, v50
	s_delay_alu instid0(VALU_DEP_1)
	v_mul_f32_e32 v94, v21, v50
.LBB52_44:                              ;   in Loop: Header=BB52_24 Depth=1
	s_delay_alu instid0(VALU_DEP_1) | instskip(SKIP_3) | instid1(VALU_DEP_4)
	v_add_f32_e32 v50, v0, v94
	v_dual_max_f32 v0, v75, v75 :: v_dual_max_f32 v1, v1, v1
	v_max_f32_e32 v2, v2, v2
	v_dual_max_f32 v92, v92, v92 :: v_dual_max_f32 v89, v89, v89
	v_add_f32_e32 v94, 0x40051340, v50
	v_dual_max_f32 v90, v90, v90 :: v_dual_max_f32 v87, v87, v87
	s_mul_hi_i32 s41, s47, s42
	s_delay_alu instid0(VALU_DEP_2)
	v_dual_max_f32 v3, v3, v3 :: v_dual_max_f32 v0, v0, v94
	s_waitcnt lgkmcnt(0)
	v_dual_max_f32 v94, v95, v95 :: v_dual_max_f32 v95, v5, v5
	s_mul_i32 s40, s47, s42
	ds_bpermute_b32 v85, v85, v0
	s_lshl_b64 s[40:41], s[40:41], 2
	s_waitcnt lgkmcnt(0)
	s_barrier
	s_add_u32 s40, s43, s40
	s_addc_u32 s41, s45, s41
	buffer_gl0_inv
	v_max_f32_e32 v91, v91, v91
	v_max_f32_e32 v85, v85, v85
	s_delay_alu instid0(VALU_DEP_1)
	v_max_f32_e32 v85, v0, v85
	v_dual_max_f32 v0, v93, v93 :: v_dual_max_f32 v93, v4, v4
	v_max_f32_e32 v96, v6, v6
	v_max_f32_e32 v6, v1, v94
	ds_bpermute_b32 v84, v84, v85
	v_dual_max_f32 v5, v2, v0 :: v_dual_max_f32 v2, v95, v90
	v_dual_max_f32 v4, v3, v92 :: v_dual_max_f32 v3, v93, v91
	;; [unrolled: 1-line block ×3, first 2 shown]
	s_delay_alu instid0(VALU_DEP_2) | instskip(NEXT) | instid1(VALU_DEP_2)
	v_sub_f32_e32 v81, v81, v3
	v_dual_max_f32 v0, v86, v87 :: v_dual_sub_f32 v47, v47, v1
	v_sub_f32_e32 v87, v49, v3
	s_delay_alu instid0(VALU_DEP_3) | instskip(NEXT) | instid1(VALU_DEP_3)
	v_cmp_ngt_f32_e64 s7, 0xc2ce8ed0, v81
	v_dual_sub_f32 v45, v45, v0 :: v_dual_sub_f32 v48, v48, v2
	v_cmp_nlt_f32_e32 vcc_lo, 0x42b17218, v81
	s_waitcnt lgkmcnt(0)
	s_delay_alu instid0(VALU_DEP_2) | instskip(SKIP_3) | instid1(VALU_DEP_4)
	v_dual_mul_f32 v49, 0x3fb8aa3b, v45 :: v_dual_max_f32 v86, v84, v84
	v_sub_f32_e32 v84, v76, v0
	v_sub_f32_e32 v76, v79, v6
	;; [unrolled: 1-line block ×3, first 2 shown]
	v_rndne_f32_e32 v93, v49
	v_max_f32_e32 v86, v85, v86
	v_dual_sub_f32 v85, v80, v2 :: v_dual_sub_f32 v80, v77, v4
	v_sub_f32_e32 v77, v78, v5
	v_sub_f32_e32 v78, v83, v5
	ds_bpermute_b32 v46, v46, v86
	v_dual_mul_f32 v83, 0x3fb8aa3b, v48 :: v_dual_sub_f32 v82, v82, v1
	v_sub_f32_e32 v89, v51, v4
	v_mul_f32_e32 v51, 0x3fb8aa3b, v47
	v_mul_f32_e32 v88, 0x3fb8aa3b, v87
	s_delay_alu instid0(VALU_DEP_4)
	v_rndne_f32_e32 v97, v83
	v_fma_f32 v96, 0x3fb8aa3b, v48, -v83
	v_fma_f32 v92, 0x3fb8aa3b, v45, -v49
	v_sub_f32_e32 v49, v49, v93
	v_fma_f32 v94, 0x3fb8aa3b, v47, -v51
	v_rndne_f32_e32 v95, v51
	v_fma_f32 v98, 0x3fb8aa3b, v87, -v88
	v_rndne_f32_e32 v99, v88
	v_mul_f32_e32 v90, 0x3fb8aa3b, v89
	v_fmac_f32_e32 v94, 0x32a5705f, v47
	v_dual_sub_f32 v51, v51, v95 :: v_dual_fmac_f32 v92, 0x32a5705f, v45
	v_mul_f32_e32 v91, 0x3fb8aa3b, v79
	s_delay_alu instid0(VALU_DEP_4)
	v_fma_f32 v100, 0x3fb8aa3b, v89, -v90
	s_waitcnt lgkmcnt(0)
	v_max_f32_e32 v46, v46, v46
	v_add_f32_e32 v51, v51, v94
	v_add_f32_e32 v49, v49, v92
	v_sub_f32_e32 v83, v83, v97
	v_fma_f32 v104, 0x3fb8aa3b, v79, -v91
	v_max_f32_e32 v46, v86, v46
	v_rndne_f32_e32 v105, v91
	v_mul_f32_e32 v86, 0x3fb8aa3b, v78
	v_exp_f32_e32 v49, v49
	v_fmac_f32_e32 v104, 0x32a5705f, v79
	ds_bpermute_b32 v44, v44, v46
	v_sub_f32_e32 v91, v91, v105
	v_fma_f32 v102, 0x3fb8aa3b, v78, -v86
	v_rndne_f32_e32 v103, v86
	v_rndne_f32_e32 v101, v90
	v_cvt_i32_f32_e32 v93, v93
	v_exp_f32_e32 v51, v51
	v_fmac_f32_e32 v102, 0x32a5705f, v78
	v_sub_f32_e32 v86, v86, v103
	v_cvt_i32_f32_e32 v95, v95
	v_sub_f32_e32 v90, v90, v101
	v_ldexp_f32 v49, v49, v93
	v_cmp_ngt_f32_e64 s19, 0xc2ce8ed0, v45
	v_add_f32_e32 v86, v86, v102
	v_cvt_i32_f32_e32 v97, v97
	v_cvt_i32_f32_e32 v92, v105
	v_cmp_ngt_f32_e64 s15, 0xc2ce8ed0, v84
	v_cndmask_b32_e64 v49, 0, v49, s19
	v_exp_f32_e32 v86, v86
	v_cmp_ngt_f32_e64 s19, 0xc2ce8ed0, v47
	s_waitcnt lgkmcnt(0)
	v_max_f32_e32 v44, v44, v44
	v_cmp_nlt_f32_e64 s12, 0x42b17218, v84
	v_cmp_ngt_f32_e64 s17, 0xc2ce8ed0, v82
	v_add_f32_e32 v91, v91, v104
	v_cmp_nlt_f32_e64 s13, 0x42b17218, v82
	v_max_f32_e32 v44, v46, v44
	v_sub_f32_e32 v46, v88, v99
	v_cvt_i32_f32_e32 v88, v99
	v_exp_f32_e32 v91, v91
	v_cvt_i32_f32_e32 v99, v101
	ds_bpermute_b32 v7, v7, v44
	v_cvt_i32_f32_e32 v101, v103
	v_cmp_ngt_f32_e64 s18, 0xc2ce8ed0, v85
	v_cmp_nlt_f32_e64 s16, 0x42b17218, v85
	v_cmp_ngt_f32_e64 s9, 0xc2ce8ed0, v80
	v_cmp_nlt_f32_e64 s5, 0x42b17218, v80
	v_cmp_ngt_f32_e64 s11, 0xc2ce8ed0, v77
	v_cmp_nlt_f32_e64 s8, 0x42b17218, v77
	v_cmp_ngt_f32_e64 s10, 0xc2ce8ed0, v76
	v_cmp_nlt_f32_e64 s6, 0x42b17218, v76
	s_waitcnt lgkmcnt(0)
	v_dual_max_f32 v7, v7, v7 :: v_dual_fmac_f32 v96, 0x32a5705f, v48
	s_delay_alu instid0(VALU_DEP_1) | instskip(NEXT) | instid1(VALU_DEP_2)
	v_max_f32_e32 v7, v44, v7
	v_dual_fmac_f32 v98, 0x32a5705f, v87 :: v_dual_add_f32 v83, v83, v96
	v_ldexp_f32 v44, v51, v95
	s_delay_alu instid0(VALU_DEP_2) | instskip(NEXT) | instid1(VALU_DEP_3)
	v_dual_sub_f32 v75, v75, v7 :: v_dual_add_f32 v46, v46, v98
	v_exp_f32_e32 v83, v83
	s_delay_alu instid0(VALU_DEP_2) | instskip(SKIP_1) | instid1(VALU_DEP_3)
	v_cndmask_b32_e64 v44, 0, v44, s19
	v_cmp_ngt_f32_e64 s19, 0xc2ce8ed0, v48
	v_cmp_ngt_f32_e64 s20, 0xc2ce8ed0, v75
	v_exp_f32_e32 v46, v46
	s_waitcnt_depctr 0xfff
	v_ldexp_f32 v51, v83, v97
	v_ldexp_f32 v46, v46, v88
	v_sub_f32_e32 v88, v50, v7
	v_fmac_f32_e32 v100, 0x32a5705f, v89
	v_ldexp_f32 v50, v86, v101
	v_ldexp_f32 v86, v91, v92
	v_cndmask_b32_e64 v91, 0, v51, s19
	v_cmp_ngt_f32_e64 s19, 0xc2ce8ed0, v87
	v_add_f32_e32 v90, v90, v100
	s_delay_alu instid0(VALU_DEP_2) | instskip(NEXT) | instid1(VALU_DEP_2)
	v_cndmask_b32_e64 v46, 0, v46, s19
	v_exp_f32_e32 v90, v90
	v_cmp_ngt_f32_e64 s19, 0xc2ce8ed0, v89
	s_waitcnt_depctr 0xfff
	v_ldexp_f32 v83, v90, v99
	v_mul_f32_e32 v90, 0x3fb8aa3b, v88
	s_delay_alu instid0(VALU_DEP_2) | instskip(SKIP_1) | instid1(VALU_DEP_3)
	v_cndmask_b32_e64 v83, 0, v83, s19
	v_cmp_ngt_f32_e64 s19, 0xc2ce8ed0, v78
	v_fma_f32 v51, 0x3fb8aa3b, v88, -v90
	v_rndne_f32_e32 v92, v90
	s_delay_alu instid0(VALU_DEP_3) | instskip(NEXT) | instid1(VALU_DEP_3)
	v_cndmask_b32_e64 v93, 0, v50, s19
	v_fmac_f32_e32 v51, 0x32a5705f, v88
	v_cmp_ngt_f32_e64 s19, 0xc2ce8ed0, v79
	s_delay_alu instid0(VALU_DEP_4) | instskip(NEXT) | instid1(VALU_DEP_2)
	v_sub_f32_e32 v90, v90, v92
	v_cndmask_b32_e64 v86, 0, v86, s19
	v_cmp_nlt_f32_e64 s19, 0x42b17218, v45
	s_delay_alu instid0(VALU_DEP_3) | instskip(SKIP_1) | instid1(VALU_DEP_3)
	v_add_f32_e32 v90, v90, v51
	v_cvt_i32_f32_e32 v45, v92
	v_cndmask_b32_e64 v51, 0x7f800000, v49, s19
	v_cmp_nlt_f32_e64 s19, 0x42b17218, v47
	s_delay_alu instid0(VALU_DEP_1) | instskip(SKIP_2) | instid1(VALU_DEP_1)
	v_cndmask_b32_e64 v50, 0x7f800000, v44, s19
	v_cmp_nlt_f32_e64 s19, 0x42b17218, v48
	v_exp_f32_e32 v44, v90
	v_cndmask_b32_e64 v49, 0x7f800000, v91, s19
	v_cmp_nlt_f32_e64 s19, 0x42b17218, v87
	s_delay_alu instid0(VALU_DEP_1)
	v_cndmask_b32_e64 v48, 0x7f800000, v46, s19
	v_cmp_nlt_f32_e64 s19, 0x42b17218, v89
	s_waitcnt_depctr 0xfff
	v_ldexp_f32 v44, v44, v45
	v_cvt_f16_f32_e32 v89, v48
	v_cndmask_b32_e64 v47, 0x7f800000, v83, s19
	v_cmp_nlt_f32_e64 s19, 0x42b17218, v78
	v_cvt_f16_f32_e32 v78, v51
	v_cvt_f16_f32_e32 v83, v49
	s_delay_alu instid0(VALU_DEP_3) | instskip(SKIP_2) | instid1(VALU_DEP_3)
	v_cndmask_b32_e64 v46, 0x7f800000, v93, s19
	v_cmp_nlt_f32_e64 s19, 0x42b17218, v79
	v_cvt_f16_f32_e32 v79, v50
	v_cvt_f16_f32_e32 v87, v46
	s_delay_alu instid0(VALU_DEP_3) | instskip(SKIP_2) | instid1(VALU_DEP_3)
	v_cndmask_b32_e64 v45, 0x7f800000, v86, s19
	v_cmp_ngt_f32_e64 s19, 0xc2ce8ed0, v88
	v_cvt_f16_f32_e32 v86, v47
	v_cvt_f16_f32_e32 v90, v45
	s_delay_alu instid0(VALU_DEP_3) | instskip(SKIP_1) | instid1(VALU_DEP_4)
	v_cndmask_b32_e64 v44, 0, v44, s19
	v_cmp_nlt_f32_e64 s19, 0x42b17218, v88
	v_pack_b32_f16 v88, v86, v87
	v_pack_b32_f16 v87, v83, v89
	;; [unrolled: 1-line block ×3, first 2 shown]
	s_delay_alu instid0(VALU_DEP_4) | instskip(SKIP_1) | instid1(VALU_DEP_2)
	v_cndmask_b32_e64 v44, 0x7f800000, v44, s19
	v_cmp_nlt_f32_e64 s19, 0x42b17218, v75
	v_cvt_f16_f32_e32 v91, v44
	s_delay_alu instid0(VALU_DEP_1)
	v_pack_b32_f16 v89, v90, v91
	ds_store_b128 v64, v[86:89]
	s_and_saveexec_b32 s54, s3
	s_cbranch_execz .LBB52_46
; %bb.45:                               ;   in Loop: Header=BB52_24 Depth=1
	v_add_co_u32 v78, s21, s40, v12
	s_delay_alu instid0(VALU_DEP_1)
	v_add_co_ci_u32_e64 v79, s21, s41, v13, s21
	global_load_b128 v[86:89], v[78:79], off offset:64
	s_waitcnt vmcnt(0)
	ds_store_b128 v61, v[86:89]
.LBB52_46:                              ;   in Loop: Header=BB52_24 Depth=1
	s_or_b32 exec_lo, exec_lo, s54
	s_and_saveexec_b32 s54, s4
	s_cbranch_execz .LBB52_48
; %bb.47:                               ;   in Loop: Header=BB52_24 Depth=1
	v_add_co_u32 v78, s21, s40, v14
	s_delay_alu instid0(VALU_DEP_1) | instskip(NEXT) | instid1(VALU_DEP_2)
	v_add_co_ci_u32_e64 v79, s21, s41, v15, s21
	v_add_co_u32 v78, s21, v78, v65
	s_delay_alu instid0(VALU_DEP_1)
	v_add_co_ci_u32_e64 v79, s21, 0, v79, s21
	global_load_b128 v[86:89], v[78:79], off
	s_waitcnt vmcnt(0)
	ds_store_b128 v62, v[86:89]
.LBB52_48:                              ;   in Loop: Header=BB52_24 Depth=1
	s_or_b32 exec_lo, exec_lo, s54
	v_dual_mul_f32 v78, 0x3fb8aa3b, v84 :: v_dual_mul_f32 v79, 0x3fb8aa3b, v82
	s_waitcnt lgkmcnt(0)
	s_barrier
	buffer_gl0_inv
	v_fma_f32 v86, 0x3fb8aa3b, v84, -v78
	v_rndne_f32_e32 v87, v78
	v_mul_f32_e32 v83, 0x3fb8aa3b, v85
	v_fma_f32 v88, 0x3fb8aa3b, v82, -v79
	v_rndne_f32_e32 v89, v79
	v_fmac_f32_e32 v86, 0x32a5705f, v84
	v_sub_f32_e32 v78, v78, v87
	v_rndne_f32_e32 v91, v83
	v_fma_f32 v90, 0x3fb8aa3b, v85, -v83
	v_dual_sub_f32 v79, v79, v89 :: v_dual_fmac_f32 v88, 0x32a5705f, v82
	s_delay_alu instid0(VALU_DEP_4) | instskip(NEXT) | instid1(VALU_DEP_4)
	v_add_f32_e32 v78, v78, v86
	v_dual_sub_f32 v82, v83, v91 :: v_dual_mul_f32 v83, 0x3fb8aa3b, v81
	v_cvt_i32_f32_e32 v86, v89
	s_delay_alu instid0(VALU_DEP_3) | instskip(NEXT) | instid1(VALU_DEP_2)
	v_exp_f32_e32 v78, v78
	v_fma_f32 v89, 0x3fb8aa3b, v81, -v83
	s_delay_alu instid0(VALU_DEP_1) | instskip(SKIP_4) | instid1(VALU_DEP_4)
	v_fmac_f32_e32 v89, 0x32a5705f, v81
	v_dual_fmac_f32 v90, 0x32a5705f, v85 :: v_dual_add_f32 v79, v79, v88
	v_cvt_i32_f32_e32 v85, v87
	v_mul_f32_e32 v88, 0x3fb8aa3b, v77
	v_cvt_i32_f32_e32 v87, v91
	v_exp_f32_e32 v79, v79
	s_delay_alu instid0(TRANS32_DEP_2) | instid1(VALU_DEP_3)
	v_ldexp_f32 v78, v78, v85
	v_rndne_f32_e32 v85, v83
	s_delay_alu instid0(VALU_DEP_2) | instskip(SKIP_4) | instid1(VALU_DEP_3)
	v_cndmask_b32_e64 v78, 0, v78, s15
	s_waitcnt_depctr 0xfff
	v_ldexp_f32 v79, v79, v86
	v_cndmask_b32_e64 v78, 0x7f800000, v78, s12
	v_mul_f32_e32 v84, 0x3fb8aa3b, v80
	v_cndmask_b32_e64 v79, 0, v79, s17
	s_delay_alu instid0(VALU_DEP_3) | instskip(NEXT) | instid1(VALU_DEP_3)
	v_fmac_f32_e32 v51, v72, v78
	v_fma_f32 v86, 0x3fb8aa3b, v80, -v84
	s_delay_alu instid0(VALU_DEP_3) | instskip(NEXT) | instid1(VALU_DEP_2)
	v_cndmask_b32_e64 v79, 0x7f800000, v79, s13
	v_fmac_f32_e32 v86, 0x32a5705f, v80
	v_rndne_f32_e32 v80, v88
	v_add_f32_e32 v82, v82, v90
	s_delay_alu instid0(VALU_DEP_1) | instskip(SKIP_3) | instid1(VALU_DEP_2)
	v_exp_f32_e32 v82, v82
	s_waitcnt_depctr 0xfff
	v_ldexp_f32 v82, v82, v87
	v_rndne_f32_e32 v87, v84
	v_cndmask_b32_e64 v82, 0, v82, s18
	s_delay_alu instid0(VALU_DEP_1) | instskip(SKIP_3) | instid1(VALU_DEP_4)
	v_cndmask_b32_e64 v81, 0x7f800000, v82, s16
	v_sub_f32_e32 v82, v83, v85
	v_fmac_f32_e32 v50, v73, v79
	v_mul_f32_e32 v83, 0x3fb8aa3b, v75
	v_fmac_f32_e32 v49, v74, v81
	s_delay_alu instid0(VALU_DEP_4)
	v_add_f32_e32 v73, v82, v89
	v_fma_f32 v74, 0x3fb8aa3b, v77, -v88
	v_mul_f32_e32 v82, 0x3fb8aa3b, v76
	v_rndne_f32_e32 v89, v83
	v_sub_f32_e32 v72, v84, v87
	v_exp_f32_e32 v73, v73
	v_dual_fmac_f32 v74, 0x32a5705f, v77 :: v_dual_sub_f32 v77, v88, v80
	v_fma_f32 v88, 0x3fb8aa3b, v75, -v83
	v_fma_f32 v84, 0x3fb8aa3b, v76, -v82
	v_cvt_i32_f32_e32 v80, v80
	s_delay_alu instid0(VALU_DEP_4) | instskip(SKIP_4) | instid1(VALU_DEP_4)
	v_add_f32_e32 v74, v77, v74
	v_cvt_i32_f32_e32 v77, v85
	v_dual_fmac_f32 v88, 0x32a5705f, v75 :: v_dual_sub_f32 v75, v83, v89
	v_add_f32_e32 v72, v72, v86
	v_rndne_f32_e32 v86, v82
	v_ldexp_f32 v73, v73, v77
	v_fmac_f32_e32 v84, 0x32a5705f, v76
	v_add_f32_e32 v75, v75, v88
	v_exp_f32_e32 v72, v72
	v_sub_f32_e32 v76, v82, v86
	v_cndmask_b32_e64 v73, 0, v73, s7
	v_cvt_i32_f32_e32 v82, v87
	v_exp_f32_e32 v75, v75
	v_cvt_i32_f32_e32 v77, v86
	s_delay_alu instid0(VALU_DEP_3) | instskip(SKIP_1) | instid1(TRANS32_DEP_3)
	v_dual_add_f32 v76, v76, v84 :: v_dual_cndmask_b32 v73, 0x7f800000, v73
	v_exp_f32_e32 v74, v74
	v_ldexp_f32 v72, v72, v82
	s_delay_alu instid0(VALU_DEP_2) | instskip(NEXT) | instid1(VALU_DEP_2)
	v_exp_f32_e32 v76, v76
	v_fmac_f32_e32 v48, v69, v73
	s_delay_alu instid0(VALU_DEP_2) | instskip(SKIP_4) | instid1(VALU_DEP_3)
	v_cndmask_b32_e64 v72, 0, v72, s9
	s_waitcnt_depctr 0xfff
	v_ldexp_f32 v74, v74, v80
	v_cvt_i32_f32_e32 v80, v89
	v_ldexp_f32 v76, v76, v77
	v_cndmask_b32_e64 v74, 0, v74, s11
	s_delay_alu instid0(VALU_DEP_3) | instskip(SKIP_1) | instid1(VALU_DEP_4)
	v_ldexp_f32 v75, v75, v80
	v_cndmask_b32_e64 v80, 0x7f800000, v72, s5
	v_cndmask_b32_e64 v72, 0, v76, s10
	v_cvt_f16_f32_e32 v76, v81
	v_cndmask_b32_e64 v82, 0x7f800000, v74, s8
	v_cndmask_b32_e64 v74, 0, v75, s20
	v_fmac_f32_e32 v47, v70, v80
	v_cndmask_b32_e64 v83, 0x7f800000, v72, s6
	v_cvt_f16_f32_e32 v75, v79
	v_fmac_f32_e32 v46, v71, v82
	v_cndmask_b32_e64 v84, 0x7f800000, v74, s19
	v_cvt_f16_f32_e32 v74, v78
	ds_load_2addr_b32 v[77:78], v63 offset1:20
	ds_load_b128 v[69:72], v19
	v_fmac_f32_e32 v45, v67, v83
	v_pk_mul_f16 v81, v76, v41 op_sel_hi:[0,1]
	v_fmac_f32_e32 v44, v68, v84
	v_pk_mul_f16 v67, v74, v43 op_sel_hi:[0,1]
	v_pk_mul_f16 v68, v75, v42 op_sel_hi:[0,1]
	v_cvt_f16_f32_e32 v41, v73
	ds_load_b128 v[73:76], v19 offset:16
	v_cvt_f16_f32_e32 v42, v80
	v_cvt_f16_f32_e32 v43, v82
	;; [unrolled: 1-line block ×4, first 2 shown]
	v_pk_mul_f16 v82, v41, v40 op_sel_hi:[0,1]
	v_pk_mul_f16 v83, v42, v39 op_sel_hi:[0,1]
	;; [unrolled: 1-line block ×5, first 2 shown]
	ds_load_2addr_b32 v[79:80], v63 offset0:40 offset1:60
	ds_load_b128 v[36:39], v19 offset:32
	ds_load_b128 v[40:43], v19 offset:48
	s_waitcnt lgkmcnt(4)
	v_pk_fma_f16 v67, v77, v69, v67 op_sel_hi:[1,0,1]
	v_pk_fma_f16 v68, v77, v69, v68 op_sel:[0,1,0]
	v_pk_fma_f16 v69, v77, v70, v81 op_sel_hi:[1,0,1]
	v_pk_fma_f16 v70, v77, v70, v82 op_sel:[0,1,0]
	;; [unrolled: 2-line block ×4, first 2 shown]
	s_waitcnt lgkmcnt(3)
	v_pk_fma_f16 v77, v78, v73, v67 op_sel_hi:[1,0,1]
	v_pk_fma_f16 v73, v78, v73, v68 op_sel:[0,1,0]
	v_pk_fma_f16 v83, v78, v74, v69 op_sel_hi:[1,0,1]
	v_pk_fma_f16 v74, v78, v74, v70 op_sel:[0,1,0]
	v_pk_fma_f16 v81, v78, v75, v81 op_sel_hi:[1,0,1]
	v_pk_fma_f16 v75, v78, v75, v71 op_sel:[0,1,0]
	v_pk_fma_f16 v82, v78, v76, v82 op_sel_hi:[1,0,1]
	v_pk_fma_f16 v76, v78, v76, v72 op_sel:[0,1,0]
	ds_load_2addr_b32 v[71:72], v63 offset0:80 offset1:100
	ds_load_b128 v[67:70], v19 offset:64
	s_waitcnt lgkmcnt(3)
	v_pk_fma_f16 v77, v79, v36, v77 op_sel_hi:[1,0,1]
	v_pk_fma_f16 v73, v79, v36, v73 op_sel:[0,1,0]
	v_pk_fma_f16 v78, v79, v37, v83 op_sel_hi:[1,0,1]
	v_pk_fma_f16 v74, v79, v37, v74 op_sel:[0,1,0]
	v_pk_fma_f16 v81, v79, v38, v81 op_sel_hi:[1,0,1]
	v_pk_fma_f16 v75, v79, v38, v75 op_sel:[0,1,0]
	v_pk_fma_f16 v82, v79, v39, v82 op_sel_hi:[1,0,1]
	v_pk_fma_f16 v76, v79, v39, v76 op_sel:[0,1,0]
	ds_load_b128 v[36:39], v19 offset:80
	s_waitcnt lgkmcnt(3)
	v_pk_fma_f16 v77, v80, v40, v77 op_sel_hi:[1,0,1]
	v_pk_fma_f16 v73, v80, v40, v73 op_sel:[0,1,0]
	v_pk_fma_f16 v78, v80, v41, v78 op_sel_hi:[1,0,1]
	v_pk_fma_f16 v79, v80, v41, v74 op_sel:[0,1,0]
	v_pk_fma_f16 v81, v80, v42, v81 op_sel_hi:[1,0,1]
	v_pk_fma_f16 v83, v80, v42, v75 op_sel:[0,1,0]
	v_pk_fma_f16 v82, v80, v43, v82 op_sel_hi:[1,0,1]
	v_pk_fma_f16 v76, v80, v43, v76 op_sel:[0,1,0]
	ds_load_2addr_b32 v[74:75], v63 offset0:120 offset1:140
	ds_load_b128 v[40:43], v19 offset:96
	s_waitcnt lgkmcnt(3)
	v_pk_fma_f16 v77, v71, v67, v77 op_sel_hi:[1,0,1]
	v_pk_fma_f16 v73, v71, v67, v73 op_sel:[0,1,0]
	v_pk_fma_f16 v78, v71, v68, v78 op_sel_hi:[1,0,1]
	v_pk_fma_f16 v79, v71, v68, v79 op_sel:[0,1,0]
	v_pk_fma_f16 v80, v71, v69, v81 op_sel_hi:[1,0,1]
	v_pk_fma_f16 v81, v71, v69, v83 op_sel:[0,1,0]
	v_pk_fma_f16 v82, v71, v70, v82 op_sel_hi:[1,0,1]
	v_pk_fma_f16 v71, v71, v70, v76 op_sel:[0,1,0]
	ds_load_b128 v[67:70], v19 offset:112
	;; [unrolled: 21-line block ×3, first 2 shown]
	s_waitcnt lgkmcnt(3)
	v_pk_fma_f16 v84, v75, v67, v72 op_sel_hi:[1,0,1]
	v_pk_fma_f16 v67, v75, v67, v73 op_sel:[0,1,0]
	v_pk_fma_f16 v85, v75, v68, v78 op_sel_hi:[1,0,1]
	v_pk_fma_f16 v68, v75, v68, v79 op_sel:[0,1,0]
	ds_load_2addr_b32 v[78:79], v63 offset0:200 offset1:220
	ds_load_b128 v[71:74], v19 offset:160
	v_pk_fma_f16 v80, v75, v69, v80 op_sel_hi:[1,0,1]
	v_pk_fma_f16 v69, v75, v69, v81 op_sel:[0,1,0]
	v_pk_fma_f16 v81, v75, v70, v82 op_sel_hi:[1,0,1]
	v_pk_fma_f16 v70, v75, v70, v83 op_sel:[0,1,0]
	s_waitcnt lgkmcnt(3)
	v_pk_fma_f16 v75, v76, v36, v84 op_sel_hi:[1,0,1]
	v_pk_fma_f16 v67, v76, v36, v67 op_sel:[0,1,0]
	v_pk_fma_f16 v82, v76, v37, v85 op_sel_hi:[1,0,1]
	v_pk_fma_f16 v68, v76, v37, v68 op_sel:[0,1,0]
	;; [unrolled: 2-line block ×4, first 2 shown]
	ds_load_b128 v[36:39], v19 offset:176
	s_waitcnt lgkmcnt(3)
	v_pk_fma_f16 v75, v77, v40, v75 op_sel_hi:[1,0,1]
	v_pk_fma_f16 v67, v77, v40, v67 op_sel:[0,1,0]
	v_add_nc_u32_e32 v40, 0x200, v63
	v_pk_fma_f16 v82, v77, v41, v82 op_sel_hi:[1,0,1]
	v_pk_fma_f16 v68, v77, v41, v68 op_sel:[0,1,0]
	v_pk_fma_f16 v80, v77, v42, v80 op_sel_hi:[1,0,1]
	v_pk_fma_f16 v69, v77, v42, v69 op_sel:[0,1,0]
	;; [unrolled: 2-line block ×3, first 2 shown]
	s_waitcnt lgkmcnt(1)
	v_pk_fma_f16 v77, v78, v71, v75 op_sel_hi:[1,0,1]
	ds_load_2addr_b32 v[75:76], v40 offset0:112 offset1:132
	ds_load_b128 v[40:43], v19 offset:192
	v_pk_fma_f16 v71, v78, v71, v67 op_sel:[0,1,0]
	v_pk_fma_f16 v82, v78, v72, v82 op_sel_hi:[1,0,1]
	v_pk_fma_f16 v72, v78, v72, v68 op_sel:[0,1,0]
	v_pk_fma_f16 v80, v78, v73, v80 op_sel_hi:[1,0,1]
	;; [unrolled: 2-line block ×3, first 2 shown]
	v_pk_fma_f16 v74, v78, v74, v70 op_sel:[0,1,0]
	ds_load_b128 v[67:70], v19 offset:208
	v_add_nc_u32_e32 v84, 0x400, v63
	s_waitcnt lgkmcnt(3)
	v_pk_fma_f16 v77, v79, v36, v77 op_sel_hi:[1,0,1]
	v_pk_fma_f16 v78, v79, v36, v71 op_sel:[0,1,0]
	v_pk_fma_f16 v82, v79, v37, v82 op_sel_hi:[1,0,1]
	v_pk_fma_f16 v83, v79, v37, v72 op_sel:[0,1,0]
	v_pk_fma_f16 v80, v79, v38, v80 op_sel_hi:[1,0,1]
	v_pk_fma_f16 v73, v79, v38, v73 op_sel:[0,1,0]
	v_pk_fma_f16 v81, v79, v39, v81 op_sel_hi:[1,0,1]
	v_pk_fma_f16 v74, v79, v39, v74 op_sel:[0,1,0]
	ds_load_2addr_b32 v[71:72], v84 offset0:24 offset1:44
	ds_load_b128 v[36:39], v19 offset:224
	s_waitcnt lgkmcnt(3)
	v_pk_fma_f16 v77, v75, v40, v77 op_sel_hi:[1,0,1]
	v_pk_fma_f16 v78, v75, v40, v78 op_sel:[0,1,0]
	v_pk_fma_f16 v79, v75, v41, v82 op_sel_hi:[1,0,1]
	v_pk_fma_f16 v82, v75, v41, v83 op_sel:[0,1,0]
	v_pk_fma_f16 v80, v75, v42, v80 op_sel_hi:[1,0,1]
	v_pk_fma_f16 v73, v75, v42, v73 op_sel:[0,1,0]
	v_pk_fma_f16 v81, v75, v43, v81 op_sel_hi:[1,0,1]
	v_pk_fma_f16 v74, v75, v43, v74 op_sel:[0,1,0]
	ds_load_b128 v[40:43], v19 offset:240
	s_waitcnt lgkmcnt(3)
	v_pk_fma_f16 v75, v76, v67, v77 op_sel_hi:[1,0,1]
	v_pk_fma_f16 v77, v76, v67, v78 op_sel:[0,1,0]
	v_pk_fma_f16 v78, v76, v68, v79 op_sel_hi:[1,0,1]
	v_pk_fma_f16 v79, v76, v68, v82 op_sel:[0,1,0]
	v_pk_fma_f16 v80, v76, v69, v80 op_sel_hi:[1,0,1]
	v_pk_fma_f16 v82, v76, v69, v73 op_sel:[0,1,0]
	v_pk_fma_f16 v81, v76, v70, v81 op_sel_hi:[1,0,1]
	v_pk_fma_f16 v76, v76, v70, v74 op_sel:[0,1,0]
	ds_load_2addr_b32 v[73:74], v84 offset0:64 offset1:84
	ds_load_b128 v[67:70], v19 offset:256
	s_waitcnt lgkmcnt(3)
	v_pk_fma_f16 v75, v71, v36, v75 op_sel_hi:[1,0,1]
	v_pk_fma_f16 v77, v71, v36, v77 op_sel:[0,1,0]
	v_pk_fma_f16 v78, v71, v37, v78 op_sel_hi:[1,0,1]
	v_pk_fma_f16 v79, v71, v37, v79 op_sel:[0,1,0]
	v_pk_fma_f16 v80, v71, v38, v80 op_sel_hi:[1,0,1]
	v_pk_fma_f16 v82, v71, v38, v82 op_sel:[0,1,0]
	v_pk_fma_f16 v81, v71, v39, v81 op_sel_hi:[1,0,1]
	v_pk_fma_f16 v71, v71, v39, v76 op_sel:[0,1,0]
	ds_load_b128 v[36:39], v19 offset:272
	;; [unrolled: 21-line block ×4, first 2 shown]
	s_waitcnt lgkmcnt(3)
	v_pk_fma_f16 v83, v76, v67, v72 op_sel_hi:[1,0,1]
	v_pk_fma_f16 v67, v76, v67, v73 op_sel:[0,1,0]
	v_pk_fma_f16 v85, v76, v68, v74 op_sel_hi:[1,0,1]
	v_pk_fma_f16 v68, v76, v68, v79 op_sel:[0,1,0]
	v_pk_fma_f16 v86, v76, v69, v80 op_sel_hi:[1,0,1]
	ds_load_2addr_b32 v[79:80], v84 offset0:184 offset1:204
	ds_load_b128 v[71:74], v19 offset:352
	v_pk_fma_f16 v69, v76, v69, v82 op_sel:[0,1,0]
	v_pk_fma_f16 v81, v76, v70, v81 op_sel_hi:[1,0,1]
	v_pk_fma_f16 v75, v76, v70, v75 op_sel:[0,1,0]
	s_waitcnt lgkmcnt(3)
	v_pk_fma_f16 v76, v77, v36, v83 op_sel_hi:[1,0,1]
	v_pk_fma_f16 v36, v77, v36, v67 op_sel:[0,1,0]
	v_pk_fma_f16 v82, v77, v37, v85 op_sel_hi:[1,0,1]
	v_pk_fma_f16 v37, v77, v37, v68 op_sel:[0,1,0]
	;; [unrolled: 2-line block ×3, first 2 shown]
	v_pk_fma_f16 v81, v77, v39, v81 op_sel_hi:[1,0,1]
	ds_load_b128 v[67:70], v19 offset:368
	v_pk_fma_f16 v39, v77, v39, v75 op_sel:[0,1,0]
	s_waitcnt lgkmcnt(3)
	v_pk_fma_f16 v75, v78, v40, v76 op_sel_hi:[1,0,1]
	v_pk_fma_f16 v40, v78, v40, v36 op_sel:[0,1,0]
	v_pk_fma_f16 v77, v78, v41, v82 op_sel_hi:[1,0,1]
	v_pk_fma_f16 v41, v78, v41, v37 op_sel:[0,1,0]
	;; [unrolled: 2-line block ×4, first 2 shown]
	s_waitcnt lgkmcnt(1)
	v_pk_fma_f16 v78, v79, v71, v75 op_sel_hi:[1,0,1]
	ds_load_2addr_b32 v[75:76], v84 offset0:224 offset1:244
	ds_load_b128 v[36:39], v19 offset:384
	v_pk_fma_f16 v71, v79, v71, v40 op_sel:[0,1,0]
	v_pk_fma_f16 v77, v79, v72, v77 op_sel_hi:[1,0,1]
	v_pk_fma_f16 v72, v79, v72, v41 op_sel:[0,1,0]
	v_pk_fma_f16 v82, v79, v73, v82 op_sel_hi:[1,0,1]
	;; [unrolled: 2-line block ×3, first 2 shown]
	v_pk_fma_f16 v74, v79, v74, v43 op_sel:[0,1,0]
	ds_load_b128 v[40:43], v19 offset:400
	v_add_nc_u32_e32 v84, 0x800, v63
	s_waitcnt lgkmcnt(3)
	v_pk_fma_f16 v79, v80, v67, v78 op_sel_hi:[1,0,1]
	v_pk_fma_f16 v71, v80, v67, v71 op_sel:[0,1,0]
	v_pk_fma_f16 v83, v80, v68, v77 op_sel_hi:[1,0,1]
	v_pk_fma_f16 v72, v80, v68, v72 op_sel:[0,1,0]
	;; [unrolled: 2-line block ×4, first 2 shown]
	ds_load_2addr_b32 v[77:78], v84 offset0:8 offset1:28
	ds_load_b128 v[67:70], v19 offset:416
	s_waitcnt lgkmcnt(3)
	v_pk_fma_f16 v79, v75, v36, v79 op_sel_hi:[1,0,1]
	v_pk_fma_f16 v71, v75, v36, v71 op_sel:[0,1,0]
	v_pk_fma_f16 v80, v75, v37, v83 op_sel_hi:[1,0,1]
	v_pk_fma_f16 v72, v75, v37, v72 op_sel:[0,1,0]
	;; [unrolled: 2-line block ×4, first 2 shown]
	ds_load_b128 v[36:39], v19 offset:432
	s_waitcnt lgkmcnt(3)
	v_pk_fma_f16 v83, v76, v40, v79 op_sel_hi:[1,0,1]
	v_pk_fma_f16 v40, v76, v40, v71 op_sel:[0,1,0]
	v_pk_fma_f16 v85, v76, v41, v80 op_sel_hi:[1,0,1]
	v_pk_fma_f16 v41, v76, v41, v72 op_sel:[0,1,0]
	;; [unrolled: 2-line block ×3, first 2 shown]
	ds_load_2addr_b32 v[79:80], v84 offset0:48 offset1:68
	ds_load_b128 v[71:74], v19 offset:448
	v_pk_fma_f16 v81, v76, v43, v81 op_sel_hi:[1,0,1]
	v_pk_fma_f16 v75, v76, v43, v75 op_sel:[0,1,0]
	s_waitcnt lgkmcnt(3)
	v_pk_fma_f16 v76, v77, v67, v83 op_sel_hi:[1,0,1]
	v_pk_fma_f16 v67, v77, v67, v40 op_sel:[0,1,0]
	v_pk_fma_f16 v83, v77, v68, v85 op_sel_hi:[1,0,1]
	v_pk_fma_f16 v68, v77, v68, v41 op_sel:[0,1,0]
	;; [unrolled: 2-line block ×4, first 2 shown]
	ds_load_b128 v[40:43], v19 offset:464
	s_waitcnt lgkmcnt(3)
	v_pk_fma_f16 v75, v78, v36, v76 op_sel_hi:[1,0,1]
	v_pk_fma_f16 v36, v78, v36, v67 op_sel:[0,1,0]
	v_pk_fma_f16 v67, v78, v37, v83 op_sel_hi:[1,0,1]
	v_pk_fma_f16 v68, v78, v37, v68 op_sel:[0,1,0]
	;; [unrolled: 2-line block ×4, first 2 shown]
	s_waitcnt lgkmcnt(1)
	v_pk_fma_f16 v78, v79, v71, v75 op_sel_hi:[1,0,1]
	v_pk_fma_f16 v71, v79, v71, v36 op_sel:[0,1,0]
	ds_load_2addr_b32 v[75:76], v84 offset0:88 offset1:108
	ds_load_b128 v[36:39], v19 offset:480
	v_pk_fma_f16 v82, v79, v72, v67 op_sel_hi:[1,0,1]
	v_pk_fma_f16 v72, v79, v72, v68 op_sel:[0,1,0]
	v_pk_fma_f16 v77, v79, v73, v77 op_sel_hi:[1,0,1]
	v_pk_fma_f16 v73, v79, v73, v69 op_sel:[0,1,0]
	;; [unrolled: 2-line block ×3, first 2 shown]
	ds_load_b128 v[67:70], v19 offset:496
	s_waitcnt lgkmcnt(0)
	s_barrier
	buffer_gl0_inv
	s_load_b32 s5, s[26:27], 0x4
	v_pk_fma_f16 v78, v80, v40, v78 op_sel_hi:[1,0,1]
	v_pk_fma_f16 v40, v80, v40, v71 op_sel:[0,1,0]
	v_pk_fma_f16 v71, v80, v41, v82 op_sel_hi:[1,0,1]
	v_pk_fma_f16 v41, v80, v41, v72 op_sel:[0,1,0]
	;; [unrolled: 2-line block ×9, first 2 shown]
	v_pk_fma_f16 v41, v76, v68, v40 op_sel_hi:[1,0,1]
	s_waitcnt lgkmcnt(0)
	s_lshl_b32 s5, s5, 5
	v_pk_fma_f16 v40, v76, v68, v37 op_sel:[0,1,0]
	v_pk_fma_f16 v39, v76, v69, v71 op_sel_hi:[1,0,1]
	v_pk_fma_f16 v38, v76, v69, v38 op_sel:[0,1,0]
	v_pk_fma_f16 v37, v76, v70, v72 op_sel_hi:[1,0,1]
	v_pk_fma_f16 v36, v76, v70, v73 op_sel:[0,1,0]
	s_add_i32 s47, s5, s47
	s_delay_alu instid0(SALU_CYCLE_1)
	s_cmp_lt_i32 s47, s52
	s_cbranch_scc0 .LBB52_51
; %bb.49:                               ;   in Loop: Header=BB52_24 Depth=1
	v_dual_mov_b32 v76, v0 :: v_dual_mov_b32 v81, v3
	v_dual_mov_b32 v82, v1 :: v_dual_mov_b32 v77, v4
	;; [unrolled: 1-line block ×8, first 2 shown]
	s_branch .LBB52_24
.LBB52_50:
	s_mov_b32 s5, s4
	s_mov_b32 s6, s4
	;; [unrolled: 1-line block ×7, first 2 shown]
	v_dual_mov_b32 v0, s4 :: v_dual_mov_b32 v1, s5
	v_dual_mov_b32 v2, s6 :: v_dual_mov_b32 v3, s7
	;; [unrolled: 1-line block ×11, first 2 shown]
.LBB52_51:
	v_lshlrev_b32_e32 v24, 1, v34
	s_cmp_gt_i32 s44, s47
	s_cbranch_scc1 .LBB52_53
; %bb.52:
	v_mbcnt_lo_u32_b32 v8, -1, 0
	v_mov_b32_e32 v52, 32
	s_delay_alu instid0(VALU_DEP_2)
	v_xor_b32_e32 v57, 16, v8
	v_xor_b32_e32 v56, 8, v8
	;; [unrolled: 1-line block ×5, first 2 shown]
	s_cbranch_execz .LBB52_54
	s_branch .LBB52_103
.LBB52_53:
                                        ; implicit-def: $vgpr8
                                        ; implicit-def: $vgpr52
                                        ; implicit-def: $vgpr57
                                        ; implicit-def: $vgpr56
                                        ; implicit-def: $vgpr55
                                        ; implicit-def: $vgpr54
                                        ; implicit-def: $vgpr53
.LBB52_54:
	s_mul_hi_i32 s5, s47, s49
	s_mul_i32 s4, s47, s49
	s_sub_i32 s8, s44, s47
	s_lshl_b64 s[10:11], s[4:5], 2
	v_cmp_gt_u32_e64 s5, 32, v22
	v_cmp_gt_i32_e64 s3, s8, v22
	s_add_u32 s7, s50, s10
	s_addc_u32 s9, s51, s11
	s_delay_alu instid0(VALU_DEP_2)
	s_and_saveexec_b32 s4, s5
	s_cbranch_execz .LBB52_56
; %bb.55:
	v_mul_lo_u32 v8, s49, v22
	s_mov_b64 s[10:11], src_private_base
	s_delay_alu instid0(VALU_DEP_1) | instskip(NEXT) | instid1(VALU_DEP_1)
	v_ashrrev_i32_e32 v9, 31, v8
	v_lshlrev_b64 v[8:9], 2, v[8:9]
	s_delay_alu instid0(VALU_DEP_1) | instskip(NEXT) | instid1(VALU_DEP_2)
	v_add_co_u32 v10, vcc_lo, s7, v8
	v_add_co_ci_u32_e32 v9, vcc_lo, s9, v9, vcc_lo
	v_mov_b32_e32 v8, 0
	s_delay_alu instid0(VALU_DEP_3) | instskip(NEXT) | instid1(VALU_DEP_3)
	v_add_co_u32 v11, vcc_lo, v10, 64
	v_add_co_ci_u32_e32 v12, vcc_lo, 0, v9, vcc_lo
	s_delay_alu instid0(VALU_DEP_3) | instskip(SKIP_1) | instid1(VALU_DEP_4)
	v_mov_b32_e32 v9, v8
	v_mov_b32_e32 v10, v8
	v_cndmask_b32_e64 v11, 0, v11, s3
	s_delay_alu instid0(VALU_DEP_4)
	v_cndmask_b32_e64 v12, s11, v12, s3
	s_clause 0x1
	scratch_store_b32 off, v8, off
	scratch_store_b96 off, v[8:10], off offset:4
	flat_load_b128 v[8:11], v[11:12]
	v_mul_u32_u24_e32 v12, 0x60, v22
	s_waitcnt vmcnt(0) lgkmcnt(0)
	ds_store_b128 v12, v[8:11] offset:9280
.LBB52_56:
	s_or_b32 exec_lo, exec_lo, s4
	v_add_nc_u32_e32 v58, v25, v16
	v_and_b32_e32 v8, 12, v20
	v_mov_b32_e32 v16, 0
	s_delay_alu instid0(VALU_DEP_3) | instskip(NEXT) | instid1(VALU_DEP_3)
	v_cmp_gt_u32_e64 s6, 32, v58
	v_lshlrev_b32_e32 v59, 2, v8
	v_cmp_gt_i32_e64 s4, s8, v58
	s_delay_alu instid0(VALU_DEP_3)
	s_and_saveexec_b32 s10, s6
	s_cbranch_execz .LBB52_58
; %bb.57:
	v_mul_lo_u32 v8, s49, v58
	s_mov_b64 s[12:13], src_private_base
	v_mov_b32_e32 v14, v16
	v_mov_b32_e32 v15, v16
	v_mad_u32_u24 v12, 0x60, v58, v59
	s_clause 0x1
	scratch_store_b32 off, v16, off
	scratch_store_b96 off, v[14:16], off offset:4
	v_ashrrev_i32_e32 v9, 31, v8
	s_delay_alu instid0(VALU_DEP_1) | instskip(NEXT) | instid1(VALU_DEP_1)
	v_lshlrev_b64 v[8:9], 2, v[8:9]
	v_add_co_u32 v8, vcc_lo, s7, v8
	s_delay_alu instid0(VALU_DEP_2) | instskip(NEXT) | instid1(VALU_DEP_2)
	v_add_co_ci_u32_e32 v9, vcc_lo, s9, v9, vcc_lo
	v_add_co_u32 v8, vcc_lo, v8, v59
	s_delay_alu instid0(VALU_DEP_2) | instskip(NEXT) | instid1(VALU_DEP_2)
	v_add_co_ci_u32_e32 v9, vcc_lo, 0, v9, vcc_lo
	v_cndmask_b32_e64 v8, 0, v8, s4
	s_delay_alu instid0(VALU_DEP_2)
	v_cndmask_b32_e64 v9, s13, v9, s4
	flat_load_b128 v[8:11], v[8:9]
	s_waitcnt vmcnt(0) lgkmcnt(0)
	ds_store_b128 v12, v[8:11] offset:9216
.LBB52_58:
	s_or_b32 exec_lo, exec_lo, s10
	s_waitcnt lgkmcnt(0)
	s_waitcnt_vscnt null, 0x0
	s_barrier
	buffer_gl0_inv
	ds_load_b128 v[8:11], v17 offset:9216
	ds_load_b128 v[12:15], v23
	ds_load_b128 v[52:55], v23 offset:80
	ds_load_b128 v[67:70], v23 offset:160
	ds_load_b128 v[71:74], v23 offset:240
	ds_load_b128 v[75:78], v23 offset:320
	ds_load_b128 v[79:82], v23 offset:400
	ds_load_b128 v[83:86], v23 offset:480
	ds_load_b128 v[87:90], v23 offset:560
	v_dual_mov_b32 v66, 0 :: v_dual_mov_b32 v65, 0
	v_dual_mov_b32 v64, 0 :: v_dual_mov_b32 v63, 0
	;; [unrolled: 1-line block ×3, first 2 shown]
	v_mov_b32_e32 v62, 0
	s_cmp_lg_u64 s[34:35], 0
	v_cmp_gt_i32_e64 s7, s8, v34
	s_waitcnt lgkmcnt(7)
	;;#ASMSTART
	v_dot2_f32_f16 v66, v8, v12, v66
	;;#ASMEND
	;;#ASMSTART
	v_dot2_f32_f16 v66, v9, v13, v66
	;;#ASMEND
	;;#ASMSTART
	v_dot2_f32_f16 v66, v10, v14, v66
	;;#ASMEND
	;;#ASMSTART
	v_dot2_f32_f16 v66, v11, v15, v66
	;;#ASMEND
	s_waitcnt lgkmcnt(6)
	;;#ASMSTART
	v_dot2_f32_f16 v65, v8, v52, v65
	;;#ASMEND
	;;#ASMSTART
	v_dot2_f32_f16 v65, v9, v53, v65
	;;#ASMEND
	;;#ASMSTART
	v_dot2_f32_f16 v65, v10, v54, v65
	;;#ASMEND
	;;#ASMSTART
	v_dot2_f32_f16 v65, v11, v55, v65
	;;#ASMEND
	;; [unrolled: 13-line block ×8, first 2 shown]
	ds_load_b128 v[8:11], v17 offset:9232
	ds_load_b128 v[12:15], v23 offset:16
	;; [unrolled: 1-line block ×9, first 2 shown]
	s_cselect_b32 s10, -1, 0
	s_waitcnt lgkmcnt(7)
	;;#ASMSTART
	v_dot2_f32_f16 v66, v8, v12, v66
	;;#ASMEND
	;;#ASMSTART
	v_dot2_f32_f16 v66, v9, v13, v66
	;;#ASMEND
	;;#ASMSTART
	v_dot2_f32_f16 v66, v10, v14, v66
	;;#ASMEND
	;;#ASMSTART
	v_dot2_f32_f16 v66, v11, v15, v66
	;;#ASMEND
	s_waitcnt lgkmcnt(6)
	;;#ASMSTART
	v_dot2_f32_f16 v65, v8, v52, v65
	;;#ASMEND
	;;#ASMSTART
	v_dot2_f32_f16 v65, v9, v53, v65
	;;#ASMEND
	;;#ASMSTART
	v_dot2_f32_f16 v65, v10, v54, v65
	;;#ASMEND
	;;#ASMSTART
	v_dot2_f32_f16 v65, v11, v55, v65
	;;#ASMEND
	;; [unrolled: 13-line block ×8, first 2 shown]
	ds_load_b128 v[8:11], v17 offset:9248
	ds_load_b128 v[12:15], v23 offset:32
	;; [unrolled: 1-line block ×9, first 2 shown]
	s_waitcnt lgkmcnt(7)
	;;#ASMSTART
	v_dot2_f32_f16 v66, v8, v12, v66
	;;#ASMEND
	;;#ASMSTART
	v_dot2_f32_f16 v66, v9, v13, v66
	;;#ASMEND
	;;#ASMSTART
	v_dot2_f32_f16 v66, v10, v14, v66
	;;#ASMEND
	;;#ASMSTART
	v_dot2_f32_f16 v66, v11, v15, v66
	;;#ASMEND
	s_waitcnt lgkmcnt(6)
	;;#ASMSTART
	v_dot2_f32_f16 v65, v8, v52, v65
	;;#ASMEND
	;;#ASMSTART
	v_dot2_f32_f16 v65, v9, v53, v65
	;;#ASMEND
	;;#ASMSTART
	v_dot2_f32_f16 v65, v10, v54, v65
	;;#ASMEND
	;;#ASMSTART
	v_dot2_f32_f16 v65, v11, v55, v65
	;;#ASMEND
	;; [unrolled: 13-line block ×8, first 2 shown]
	ds_load_b128 v[8:11], v17 offset:9264
	ds_load_b128 v[12:15], v23 offset:48
	;; [unrolled: 1-line block ×9, first 2 shown]
	s_waitcnt lgkmcnt(7)
	;;#ASMSTART
	v_dot2_f32_f16 v66, v8, v12, v66
	;;#ASMEND
	;;#ASMSTART
	v_dot2_f32_f16 v66, v9, v13, v66
	;;#ASMEND
	;;#ASMSTART
	v_dot2_f32_f16 v66, v10, v14, v66
	;;#ASMEND
	;;#ASMSTART
	v_dot2_f32_f16 v66, v11, v15, v66
	;;#ASMEND
	s_waitcnt lgkmcnt(6)
	;;#ASMSTART
	v_dot2_f32_f16 v65, v8, v52, v65
	;;#ASMEND
	;;#ASMSTART
	v_dot2_f32_f16 v65, v9, v53, v65
	;;#ASMEND
	;;#ASMSTART
	v_dot2_f32_f16 v65, v10, v54, v65
	;;#ASMEND
	;;#ASMSTART
	v_dot2_f32_f16 v65, v11, v55, v65
	;;#ASMEND
	s_waitcnt lgkmcnt(5)
	;;#ASMSTART
	v_dot2_f32_f16 v64, v8, v67, v64
	;;#ASMEND
	;;#ASMSTART
	v_dot2_f32_f16 v64, v9, v68, v64
	;;#ASMEND
	;;#ASMSTART
	v_dot2_f32_f16 v64, v10, v69, v64
	;;#ASMEND
	;;#ASMSTART
	v_dot2_f32_f16 v64, v11, v70, v64
	;;#ASMEND
	s_waitcnt lgkmcnt(4)
	;;#ASMSTART
	v_dot2_f32_f16 v63, v8, v71, v63
	;;#ASMEND
	;;#ASMSTART
	v_dot2_f32_f16 v63, v9, v72, v63
	;;#ASMEND
	;;#ASMSTART
	v_dot2_f32_f16 v63, v10, v73, v63
	;;#ASMEND
	;;#ASMSTART
	v_dot2_f32_f16 v63, v11, v74, v63
	;;#ASMEND
	s_waitcnt lgkmcnt(3)
	;;#ASMSTART
	v_dot2_f32_f16 v60, v8, v75, v60
	;;#ASMEND
	;;#ASMSTART
	v_dot2_f32_f16 v60, v9, v76, v60
	;;#ASMEND
	;;#ASMSTART
	v_dot2_f32_f16 v60, v10, v77, v60
	;;#ASMEND
	;;#ASMSTART
	v_dot2_f32_f16 v60, v11, v78, v60
	;;#ASMEND
	s_waitcnt lgkmcnt(2)
	;;#ASMSTART
	v_dot2_f32_f16 v62, v8, v79, v62
	;;#ASMEND
	;;#ASMSTART
	v_dot2_f32_f16 v62, v9, v80, v62
	;;#ASMEND
	;;#ASMSTART
	v_dot2_f32_f16 v62, v10, v81, v62
	;;#ASMEND
	;;#ASMSTART
	v_dot2_f32_f16 v62, v11, v82, v62
	;;#ASMEND
	s_waitcnt lgkmcnt(1)
	;;#ASMSTART
	v_dot2_f32_f16 v61, v8, v83, v61
	;;#ASMEND
	;;#ASMSTART
	v_dot2_f32_f16 v61, v9, v84, v61
	;;#ASMEND
	;;#ASMSTART
	v_dot2_f32_f16 v61, v10, v85, v61
	;;#ASMEND
	;;#ASMSTART
	v_dot2_f32_f16 v61, v11, v86, v61
	;;#ASMEND
	s_waitcnt lgkmcnt(0)
	;;#ASMSTART
	v_dot2_f32_f16 v16, v8, v87, v16
	;;#ASMEND
	;;#ASMSTART
	v_dot2_f32_f16 v16, v9, v88, v16
	;;#ASMEND
	;;#ASMSTART
	v_dot2_f32_f16 v16, v10, v89, v16
	;;#ASMEND
	;;#ASMSTART
	v_dot2_f32_f16 v16, v11, v90, v16
	;;#ASMEND
	ds_load_b128 v[52:55], v17 offset:9280
	ds_load_b128 v[69:72], v23 offset:64
	;; [unrolled: 1-line block ×3, first 2 shown]
	v_add_nc_u32_e32 v17, s47, v34
	ds_load_b128 v[77:80], v23 offset:224
	ds_load_b128 v[81:84], v23 offset:304
	;; [unrolled: 1-line block ×6, first 2 shown]
	s_waitcnt lgkmcnt(7)
	;;#ASMSTART
	v_dot2_f32_f16 v66, v52, v69, v66
	;;#ASMEND
	;;#ASMSTART
	v_dot2_f32_f16 v66, v53, v70, v66
	;;#ASMEND
	;;#ASMSTART
	v_dot2_f32_f16 v66, v54, v71, v66
	;;#ASMEND
	;;#ASMSTART
	v_dot2_f32_f16 v66, v55, v72, v66
	;;#ASMEND
	s_waitcnt lgkmcnt(6)
	;;#ASMSTART
	v_dot2_f32_f16 v65, v52, v73, v65
	;;#ASMEND
	;;#ASMSTART
	v_dot2_f32_f16 v65, v53, v74, v65
	;;#ASMEND
	;;#ASMSTART
	v_dot2_f32_f16 v65, v54, v75, v65
	;;#ASMEND
	;;#ASMSTART
	v_dot2_f32_f16 v65, v55, v76, v65
	;;#ASMEND
	s_waitcnt lgkmcnt(5)
	;;#ASMSTART
	v_dot2_f32_f16 v64, v52, v77, v64
	;;#ASMEND
	;;#ASMSTART
	v_dot2_f32_f16 v64, v53, v78, v64
	;;#ASMEND
	;;#ASMSTART
	v_dot2_f32_f16 v64, v54, v79, v64
	;;#ASMEND
	;;#ASMSTART
	v_dot2_f32_f16 v64, v55, v80, v64
	;;#ASMEND
	s_waitcnt lgkmcnt(4)
	;;#ASMSTART
	v_dot2_f32_f16 v63, v52, v81, v63
	;;#ASMEND
	;;#ASMSTART
	v_dot2_f32_f16 v63, v53, v82, v63
	;;#ASMEND
	;;#ASMSTART
	v_dot2_f32_f16 v63, v54, v83, v63
	;;#ASMEND
	;;#ASMSTART
	v_dot2_f32_f16 v63, v55, v84, v63
	;;#ASMEND
	s_waitcnt lgkmcnt(3)
	;;#ASMSTART
	v_dot2_f32_f16 v60, v52, v85, v60
	;;#ASMEND
	;;#ASMSTART
	v_dot2_f32_f16 v60, v53, v86, v60
	;;#ASMEND
	;;#ASMSTART
	v_dot2_f32_f16 v60, v54, v87, v60
	;;#ASMEND
	;;#ASMSTART
	v_dot2_f32_f16 v60, v55, v88, v60
	;;#ASMEND
	s_waitcnt lgkmcnt(2)
	;;#ASMSTART
	v_dot2_f32_f16 v62, v52, v89, v62
	;;#ASMEND
	;;#ASMSTART
	v_dot2_f32_f16 v62, v53, v90, v62
	;;#ASMEND
	;; [unrolled: 3-line block ×3, first 2 shown]
	v_dual_mov_b32 v15, v7 :: v_dual_mov_b32 v14, v6
	;;#ASMSTART
	v_dot2_f32_f16 v62, v55, v92, v62
	;;#ASMEND
	s_waitcnt lgkmcnt(1)
	;;#ASMSTART
	v_dot2_f32_f16 v61, v52, v93, v61
	;;#ASMEND
	v_dual_mov_b32 v13, v5 :: v_dual_mov_b32 v12, v4
	v_dual_mov_b32 v11, v3 :: v_dual_mov_b32 v10, v2
	;; [unrolled: 1-line block ×3, first 2 shown]
	v_cndmask_b32_e64 v68, 0, 1, s10
	;;#ASMSTART
	v_dot2_f32_f16 v61, v53, v94, v61
	;;#ASMEND
	;;#ASMSTART
	v_dot2_f32_f16 v61, v54, v95, v61
	;;#ASMEND
	;; [unrolled: 3-line block ×3, first 2 shown]
	s_waitcnt lgkmcnt(0)
	;;#ASMSTART
	v_dot2_f32_f16 v16, v52, v97, v16
	;;#ASMEND
	;;#ASMSTART
	v_dot2_f32_f16 v16, v53, v98, v16
	;;#ASMEND
	;; [unrolled: 3-line block ×4, first 2 shown]
	s_and_saveexec_b32 s9, s7
	s_cbranch_execz .LBB52_63
; %bb.59:
	s_and_not1_b32 vcc_lo, exec_lo, s10
	s_cbranch_vccnz .LBB52_61
; %bb.60:
	v_mul_hi_u32 v8, s36, v26
	s_delay_alu instid0(VALU_DEP_1) | instskip(NEXT) | instid1(VALU_DEP_1)
	v_add_nc_u32_e32 v8, v26, v8
	v_lshrrev_b32_e32 v8, s37, v8
	s_delay_alu instid0(VALU_DEP_1) | instskip(NEXT) | instid1(VALU_DEP_1)
	v_mul_lo_u32 v8, v8, s38
	v_sub_nc_u32_e32 v10, v26, v8
	s_delay_alu instid0(VALU_DEP_1) | instskip(NEXT) | instid1(VALU_DEP_1)
	v_mad_u64_u32 v[8:9], null, v10, s48, v[17:18]
	v_ashrrev_i32_e32 v9, 31, v8
	s_delay_alu instid0(VALU_DEP_1) | instskip(NEXT) | instid1(VALU_DEP_1)
	v_lshlrev_b64 v[8:9], 1, v[8:9]
	v_add_co_u32 v8, vcc_lo, s34, v8
	s_delay_alu instid0(VALU_DEP_2) | instskip(SKIP_3) | instid1(VALU_DEP_1)
	v_add_co_ci_u32_e32 v9, vcc_lo, s35, v9, vcc_lo
	flat_load_u16 v8, v[8:9]
	s_waitcnt vmcnt(0) lgkmcnt(0)
	v_cvt_f32_f16_e32 v8, v8
	v_mul_f32_e32 v8, v21, v8
	s_branch .LBB52_62
.LBB52_61:
	v_mov_b32_e32 v8, 0
.LBB52_62:
	s_delay_alu instid0(VALU_DEP_1) | instskip(SKIP_3) | instid1(VALU_DEP_4)
	v_dual_add_f32 v66, v66, v8 :: v_dual_mov_b32 v15, v7
	v_max_f32_e32 v23, v0, v0
	v_mov_b32_e32 v8, v0
	v_dual_mov_b32 v14, v6 :: v_dual_mov_b32 v13, v5
	v_add_f32_e32 v52, 0x40051340, v66
	v_dual_mov_b32 v12, v4 :: v_dual_mov_b32 v11, v3
	v_dual_mov_b32 v10, v2 :: v_dual_mov_b32 v9, v1
	s_delay_alu instid0(VALU_DEP_3)
	v_max_f32_e32 v8, v23, v52
.LBB52_63:
	s_or_b32 exec_lo, exec_lo, s9
	v_xor_b32_e32 v57, 16, v18
	v_xor_b32_e32 v56, 8, v18
	;; [unrolled: 1-line block ×5, first 2 shown]
	v_cmp_gt_i32_e32 vcc_lo, 32, v57
	v_cndmask_b32_e32 v23, v18, v57, vcc_lo
	v_cmp_gt_i32_e32 vcc_lo, 32, v56
	s_delay_alu instid0(VALU_DEP_2)
	v_dual_cndmask_b32 v52, v18, v56 :: v_dual_lshlrev_b32 v69, 2, v23
	v_cmp_gt_i32_e32 vcc_lo, 32, v55
	ds_bpermute_b32 v23, v69, v8
	v_max_f32_e32 v8, v8, v8
	v_lshlrev_b32_e32 v70, 2, v52
	v_cndmask_b32_e32 v52, v18, v55, vcc_lo
	v_cmp_gt_i32_e32 vcc_lo, 32, v54
	s_delay_alu instid0(VALU_DEP_2) | instskip(SKIP_1) | instid1(VALU_DEP_2)
	v_dual_cndmask_b32 v52, v18, v54 :: v_dual_lshlrev_b32 v71, 2, v52
	v_cmp_gt_i32_e32 vcc_lo, 32, v53
	v_dual_cndmask_b32 v52, v18, v53 :: v_dual_lshlrev_b32 v67, 2, v52
	s_waitcnt lgkmcnt(0)
	v_max_f32_e32 v23, v23, v23
	s_delay_alu instid0(VALU_DEP_1) | instskip(SKIP_3) | instid1(VALU_DEP_1)
	v_max_f32_e32 v8, v8, v23
	ds_bpermute_b32 v23, v70, v8
	s_waitcnt lgkmcnt(0)
	v_max_f32_e32 v23, v23, v23
	v_max_f32_e32 v8, v8, v23
	ds_bpermute_b32 v23, v71, v8
	s_waitcnt lgkmcnt(0)
	v_max_f32_e32 v23, v23, v23
	s_delay_alu instid0(VALU_DEP_1) | instskip(SKIP_3) | instid1(VALU_DEP_1)
	v_max_f32_e32 v8, v8, v23
	ds_bpermute_b32 v23, v67, v8
	s_waitcnt lgkmcnt(0)
	v_dual_max_f32 v72, v23, v23 :: v_dual_lshlrev_b32 v23, 2, v52
	v_max_f32_e32 v8, v8, v72
	ds_bpermute_b32 v52, v23, v8
	s_waitcnt lgkmcnt(0)
	v_max_f32_e32 v72, v52, v52
	v_mov_b32_e32 v52, 32
	s_delay_alu instid0(VALU_DEP_2)
	v_max_f32_e32 v8, v8, v72
	s_and_saveexec_b32 s9, s7
	s_cbranch_execz .LBB52_68
; %bb.64:
	v_cmp_ne_u32_e32 vcc_lo, 1, v68
	s_cbranch_vccnz .LBB52_66
; %bb.65:
	v_or_b32_e32 v72, 1, v26
	s_delay_alu instid0(VALU_DEP_1) | instskip(NEXT) | instid1(VALU_DEP_1)
	v_mul_hi_u32 v73, s36, v72
	v_add_nc_u32_e32 v73, v72, v73
	s_delay_alu instid0(VALU_DEP_1) | instskip(NEXT) | instid1(VALU_DEP_1)
	v_lshrrev_b32_e32 v73, s37, v73
	v_mul_lo_u32 v73, v73, s38
	s_delay_alu instid0(VALU_DEP_1) | instskip(NEXT) | instid1(VALU_DEP_1)
	v_sub_nc_u32_e32 v74, v72, v73
	v_mad_u64_u32 v[72:73], null, v74, s48, v[17:18]
	s_delay_alu instid0(VALU_DEP_1) | instskip(NEXT) | instid1(VALU_DEP_1)
	v_ashrrev_i32_e32 v73, 31, v72
	v_lshlrev_b64 v[72:73], 1, v[72:73]
	s_delay_alu instid0(VALU_DEP_1) | instskip(NEXT) | instid1(VALU_DEP_2)
	v_add_co_u32 v72, vcc_lo, s34, v72
	v_add_co_ci_u32_e32 v73, vcc_lo, s35, v73, vcc_lo
	flat_load_u16 v72, v[72:73]
	s_waitcnt vmcnt(0) lgkmcnt(0)
	v_cvt_f32_f16_e32 v72, v72
	s_delay_alu instid0(VALU_DEP_1)
	v_mul_f32_e32 v72, v21, v72
	s_branch .LBB52_67
.LBB52_66:
	v_mov_b32_e32 v72, 0
.LBB52_67:
	s_delay_alu instid0(VALU_DEP_1) | instskip(SKIP_1) | instid1(VALU_DEP_2)
	v_add_f32_e32 v65, v65, v72
	v_max_f32_e32 v9, v9, v9
	v_add_f32_e32 v72, 0x40051340, v65
	s_delay_alu instid0(VALU_DEP_1)
	v_max_f32_e32 v9, v9, v72
.LBB52_68:
	s_or_b32 exec_lo, exec_lo, s9
	ds_bpermute_b32 v72, v69, v9
	s_waitcnt lgkmcnt(0)
	v_dual_max_f32 v9, v9, v9 :: v_dual_max_f32 v72, v72, v72
	s_delay_alu instid0(VALU_DEP_1) | instskip(SKIP_3) | instid1(VALU_DEP_1)
	v_max_f32_e32 v9, v9, v72
	ds_bpermute_b32 v72, v70, v9
	s_waitcnt lgkmcnt(0)
	v_max_f32_e32 v72, v72, v72
	v_max_f32_e32 v9, v9, v72
	ds_bpermute_b32 v72, v71, v9
	s_waitcnt lgkmcnt(0)
	v_max_f32_e32 v72, v72, v72
	s_delay_alu instid0(VALU_DEP_1) | instskip(SKIP_3) | instid1(VALU_DEP_1)
	v_max_f32_e32 v9, v9, v72
	ds_bpermute_b32 v72, v67, v9
	s_waitcnt lgkmcnt(0)
	v_max_f32_e32 v72, v72, v72
	v_max_f32_e32 v9, v9, v72
	ds_bpermute_b32 v72, v23, v9
	s_waitcnt lgkmcnt(0)
	v_max_f32_e32 v72, v72, v72
	s_delay_alu instid0(VALU_DEP_1)
	v_max_f32_e32 v9, v9, v72
	s_and_saveexec_b32 s9, s7
	s_cbranch_execz .LBB52_73
; %bb.69:
	v_cmp_ne_u32_e32 vcc_lo, 1, v68
	s_cbranch_vccnz .LBB52_71
; %bb.70:
	v_or_b32_e32 v72, 2, v26
	s_delay_alu instid0(VALU_DEP_1) | instskip(NEXT) | instid1(VALU_DEP_1)
	v_mul_hi_u32 v73, s36, v72
	v_add_nc_u32_e32 v73, v72, v73
	s_delay_alu instid0(VALU_DEP_1) | instskip(NEXT) | instid1(VALU_DEP_1)
	v_lshrrev_b32_e32 v73, s37, v73
	v_mul_lo_u32 v73, v73, s38
	s_delay_alu instid0(VALU_DEP_1) | instskip(NEXT) | instid1(VALU_DEP_1)
	v_sub_nc_u32_e32 v74, v72, v73
	v_mad_u64_u32 v[72:73], null, v74, s48, v[17:18]
	s_delay_alu instid0(VALU_DEP_1) | instskip(NEXT) | instid1(VALU_DEP_1)
	v_ashrrev_i32_e32 v73, 31, v72
	v_lshlrev_b64 v[72:73], 1, v[72:73]
	s_delay_alu instid0(VALU_DEP_1) | instskip(NEXT) | instid1(VALU_DEP_2)
	v_add_co_u32 v72, vcc_lo, s34, v72
	v_add_co_ci_u32_e32 v73, vcc_lo, s35, v73, vcc_lo
	flat_load_u16 v72, v[72:73]
	s_waitcnt vmcnt(0) lgkmcnt(0)
	v_cvt_f32_f16_e32 v72, v72
	s_delay_alu instid0(VALU_DEP_1)
	v_mul_f32_e32 v72, v21, v72
	s_branch .LBB52_72
.LBB52_71:
	v_mov_b32_e32 v72, 0
.LBB52_72:
	s_delay_alu instid0(VALU_DEP_1) | instskip(SKIP_1) | instid1(VALU_DEP_2)
	v_add_f32_e32 v64, v64, v72
	v_max_f32_e32 v10, v10, v10
	v_add_f32_e32 v72, 0x40051340, v64
	s_delay_alu instid0(VALU_DEP_1)
	v_max_f32_e32 v10, v10, v72
.LBB52_73:
	s_or_b32 exec_lo, exec_lo, s9
	ds_bpermute_b32 v72, v69, v10
	v_max_f32_e32 v10, v10, v10
	s_waitcnt lgkmcnt(0)
	v_max_f32_e32 v72, v72, v72
	s_delay_alu instid0(VALU_DEP_1) | instskip(SKIP_3) | instid1(VALU_DEP_1)
	v_max_f32_e32 v10, v10, v72
	ds_bpermute_b32 v72, v70, v10
	s_waitcnt lgkmcnt(0)
	v_max_f32_e32 v72, v72, v72
	v_max_f32_e32 v10, v10, v72
	ds_bpermute_b32 v72, v71, v10
	s_waitcnt lgkmcnt(0)
	v_max_f32_e32 v72, v72, v72
	s_delay_alu instid0(VALU_DEP_1) | instskip(SKIP_3) | instid1(VALU_DEP_1)
	v_max_f32_e32 v10, v10, v72
	ds_bpermute_b32 v72, v67, v10
	s_waitcnt lgkmcnt(0)
	v_max_f32_e32 v72, v72, v72
	v_max_f32_e32 v10, v10, v72
	ds_bpermute_b32 v72, v23, v10
	s_waitcnt lgkmcnt(0)
	v_max_f32_e32 v72, v72, v72
	s_delay_alu instid0(VALU_DEP_1)
	v_max_f32_e32 v10, v10, v72
	s_and_saveexec_b32 s9, s7
	s_cbranch_execz .LBB52_78
; %bb.74:
	v_cmp_ne_u32_e32 vcc_lo, 1, v68
	s_cbranch_vccnz .LBB52_76
; %bb.75:
	v_or_b32_e32 v72, 3, v26
	s_delay_alu instid0(VALU_DEP_1) | instskip(NEXT) | instid1(VALU_DEP_1)
	v_mul_hi_u32 v73, s36, v72
	v_add_nc_u32_e32 v73, v72, v73
	s_delay_alu instid0(VALU_DEP_1) | instskip(NEXT) | instid1(VALU_DEP_1)
	v_lshrrev_b32_e32 v73, s37, v73
	v_mul_lo_u32 v73, v73, s38
	s_delay_alu instid0(VALU_DEP_1) | instskip(NEXT) | instid1(VALU_DEP_1)
	v_sub_nc_u32_e32 v74, v72, v73
	v_mad_u64_u32 v[72:73], null, v74, s48, v[17:18]
	s_delay_alu instid0(VALU_DEP_1) | instskip(NEXT) | instid1(VALU_DEP_1)
	v_ashrrev_i32_e32 v73, 31, v72
	v_lshlrev_b64 v[72:73], 1, v[72:73]
	s_delay_alu instid0(VALU_DEP_1) | instskip(NEXT) | instid1(VALU_DEP_2)
	v_add_co_u32 v72, vcc_lo, s34, v72
	v_add_co_ci_u32_e32 v73, vcc_lo, s35, v73, vcc_lo
	flat_load_u16 v72, v[72:73]
	s_waitcnt vmcnt(0) lgkmcnt(0)
	v_cvt_f32_f16_e32 v72, v72
	s_delay_alu instid0(VALU_DEP_1)
	v_mul_f32_e32 v72, v21, v72
	s_branch .LBB52_77
.LBB52_76:
	v_mov_b32_e32 v72, 0
.LBB52_77:
	s_delay_alu instid0(VALU_DEP_1) | instskip(SKIP_1) | instid1(VALU_DEP_2)
	v_add_f32_e32 v63, v63, v72
	v_max_f32_e32 v11, v11, v11
	v_add_f32_e32 v72, 0x40051340, v63
	s_delay_alu instid0(VALU_DEP_1)
	v_max_f32_e32 v11, v11, v72
.LBB52_78:
	s_or_b32 exec_lo, exec_lo, s9
	ds_bpermute_b32 v72, v69, v11
	s_waitcnt lgkmcnt(0)
	v_dual_max_f32 v11, v11, v11 :: v_dual_max_f32 v72, v72, v72
	s_delay_alu instid0(VALU_DEP_1) | instskip(SKIP_3) | instid1(VALU_DEP_1)
	v_max_f32_e32 v11, v11, v72
	ds_bpermute_b32 v72, v70, v11
	s_waitcnt lgkmcnt(0)
	v_max_f32_e32 v72, v72, v72
	v_max_f32_e32 v11, v11, v72
	ds_bpermute_b32 v72, v71, v11
	s_waitcnt lgkmcnt(0)
	v_max_f32_e32 v72, v72, v72
	s_delay_alu instid0(VALU_DEP_1) | instskip(SKIP_3) | instid1(VALU_DEP_1)
	v_max_f32_e32 v11, v11, v72
	ds_bpermute_b32 v72, v67, v11
	s_waitcnt lgkmcnt(0)
	v_max_f32_e32 v72, v72, v72
	v_max_f32_e32 v11, v11, v72
	ds_bpermute_b32 v72, v23, v11
	s_waitcnt lgkmcnt(0)
	v_max_f32_e32 v72, v72, v72
	s_delay_alu instid0(VALU_DEP_1)
	v_max_f32_e32 v11, v11, v72
	s_and_saveexec_b32 s9, s7
	s_cbranch_execz .LBB52_83
; %bb.79:
	v_cmp_ne_u32_e32 vcc_lo, 1, v68
	s_cbranch_vccnz .LBB52_81
; %bb.80:
	v_or_b32_e32 v72, 4, v26
	s_delay_alu instid0(VALU_DEP_1) | instskip(NEXT) | instid1(VALU_DEP_1)
	v_mul_hi_u32 v73, s36, v72
	v_add_nc_u32_e32 v73, v72, v73
	s_delay_alu instid0(VALU_DEP_1) | instskip(NEXT) | instid1(VALU_DEP_1)
	v_lshrrev_b32_e32 v73, s37, v73
	v_mul_lo_u32 v73, v73, s38
	s_delay_alu instid0(VALU_DEP_1) | instskip(NEXT) | instid1(VALU_DEP_1)
	v_sub_nc_u32_e32 v74, v72, v73
	v_mad_u64_u32 v[72:73], null, v74, s48, v[17:18]
	s_delay_alu instid0(VALU_DEP_1) | instskip(NEXT) | instid1(VALU_DEP_1)
	v_ashrrev_i32_e32 v73, 31, v72
	v_lshlrev_b64 v[72:73], 1, v[72:73]
	s_delay_alu instid0(VALU_DEP_1) | instskip(NEXT) | instid1(VALU_DEP_2)
	v_add_co_u32 v72, vcc_lo, s34, v72
	v_add_co_ci_u32_e32 v73, vcc_lo, s35, v73, vcc_lo
	flat_load_u16 v72, v[72:73]
	s_waitcnt vmcnt(0) lgkmcnt(0)
	v_cvt_f32_f16_e32 v72, v72
	s_delay_alu instid0(VALU_DEP_1)
	v_mul_f32_e32 v72, v21, v72
	s_branch .LBB52_82
.LBB52_81:
	v_mov_b32_e32 v72, 0
.LBB52_82:
	s_delay_alu instid0(VALU_DEP_1) | instskip(SKIP_1) | instid1(VALU_DEP_2)
	v_add_f32_e32 v60, v60, v72
	v_max_f32_e32 v12, v12, v12
	v_add_f32_e32 v72, 0x40051340, v60
	s_delay_alu instid0(VALU_DEP_1)
	v_max_f32_e32 v12, v12, v72
.LBB52_83:
	s_or_b32 exec_lo, exec_lo, s9
	ds_bpermute_b32 v72, v69, v12
	v_max_f32_e32 v12, v12, v12
	s_waitcnt lgkmcnt(0)
	v_max_f32_e32 v72, v72, v72
	s_delay_alu instid0(VALU_DEP_1) | instskip(SKIP_3) | instid1(VALU_DEP_1)
	v_max_f32_e32 v12, v12, v72
	ds_bpermute_b32 v72, v70, v12
	s_waitcnt lgkmcnt(0)
	v_max_f32_e32 v72, v72, v72
	v_max_f32_e32 v12, v12, v72
	ds_bpermute_b32 v72, v71, v12
	s_waitcnt lgkmcnt(0)
	v_max_f32_e32 v72, v72, v72
	s_delay_alu instid0(VALU_DEP_1) | instskip(SKIP_3) | instid1(VALU_DEP_1)
	v_max_f32_e32 v12, v12, v72
	ds_bpermute_b32 v72, v67, v12
	s_waitcnt lgkmcnt(0)
	v_max_f32_e32 v72, v72, v72
	v_max_f32_e32 v12, v12, v72
	ds_bpermute_b32 v72, v23, v12
	s_waitcnt lgkmcnt(0)
	v_max_f32_e32 v72, v72, v72
	s_delay_alu instid0(VALU_DEP_1)
	v_max_f32_e32 v12, v12, v72
	s_and_saveexec_b32 s9, s7
	s_cbranch_execz .LBB52_88
; %bb.84:
	v_cmp_ne_u32_e32 vcc_lo, 1, v68
	s_cbranch_vccnz .LBB52_86
; %bb.85:
	v_or_b32_e32 v72, 5, v26
	s_delay_alu instid0(VALU_DEP_1) | instskip(NEXT) | instid1(VALU_DEP_1)
	v_mul_hi_u32 v73, s36, v72
	v_add_nc_u32_e32 v73, v72, v73
	s_delay_alu instid0(VALU_DEP_1) | instskip(NEXT) | instid1(VALU_DEP_1)
	v_lshrrev_b32_e32 v73, s37, v73
	v_mul_lo_u32 v73, v73, s38
	s_delay_alu instid0(VALU_DEP_1) | instskip(NEXT) | instid1(VALU_DEP_1)
	v_sub_nc_u32_e32 v74, v72, v73
	v_mad_u64_u32 v[72:73], null, v74, s48, v[17:18]
	s_delay_alu instid0(VALU_DEP_1) | instskip(NEXT) | instid1(VALU_DEP_1)
	v_ashrrev_i32_e32 v73, 31, v72
	v_lshlrev_b64 v[72:73], 1, v[72:73]
	s_delay_alu instid0(VALU_DEP_1) | instskip(NEXT) | instid1(VALU_DEP_2)
	v_add_co_u32 v72, vcc_lo, s34, v72
	v_add_co_ci_u32_e32 v73, vcc_lo, s35, v73, vcc_lo
	flat_load_u16 v72, v[72:73]
	s_waitcnt vmcnt(0) lgkmcnt(0)
	v_cvt_f32_f16_e32 v72, v72
	s_delay_alu instid0(VALU_DEP_1)
	v_mul_f32_e32 v72, v21, v72
	s_branch .LBB52_87
.LBB52_86:
	v_mov_b32_e32 v72, 0
.LBB52_87:
	s_delay_alu instid0(VALU_DEP_1) | instskip(NEXT) | instid1(VALU_DEP_1)
	v_dual_add_f32 v62, v62, v72 :: v_dual_max_f32 v13, v13, v13
	v_add_f32_e32 v72, 0x40051340, v62
	s_delay_alu instid0(VALU_DEP_1)
	v_max_f32_e32 v13, v13, v72
.LBB52_88:
	s_or_b32 exec_lo, exec_lo, s9
	ds_bpermute_b32 v72, v69, v13
	s_waitcnt lgkmcnt(0)
	v_dual_max_f32 v13, v13, v13 :: v_dual_max_f32 v72, v72, v72
	s_delay_alu instid0(VALU_DEP_1) | instskip(SKIP_3) | instid1(VALU_DEP_1)
	v_max_f32_e32 v13, v13, v72
	ds_bpermute_b32 v72, v70, v13
	s_waitcnt lgkmcnt(0)
	v_max_f32_e32 v72, v72, v72
	v_max_f32_e32 v13, v13, v72
	ds_bpermute_b32 v72, v71, v13
	s_waitcnt lgkmcnt(0)
	v_max_f32_e32 v72, v72, v72
	s_delay_alu instid0(VALU_DEP_1) | instskip(SKIP_3) | instid1(VALU_DEP_1)
	v_max_f32_e32 v13, v13, v72
	ds_bpermute_b32 v72, v67, v13
	s_waitcnt lgkmcnt(0)
	v_max_f32_e32 v72, v72, v72
	v_max_f32_e32 v13, v13, v72
	ds_bpermute_b32 v72, v23, v13
	s_waitcnt lgkmcnt(0)
	v_max_f32_e32 v72, v72, v72
	s_delay_alu instid0(VALU_DEP_1)
	v_max_f32_e32 v13, v13, v72
	s_and_saveexec_b32 s9, s7
	s_cbranch_execz .LBB52_93
; %bb.89:
	v_cmp_ne_u32_e32 vcc_lo, 1, v68
	s_cbranch_vccnz .LBB52_91
; %bb.90:
	v_or_b32_e32 v72, 6, v26
	s_delay_alu instid0(VALU_DEP_1) | instskip(NEXT) | instid1(VALU_DEP_1)
	v_mul_hi_u32 v73, s36, v72
	v_add_nc_u32_e32 v73, v72, v73
	s_delay_alu instid0(VALU_DEP_1) | instskip(NEXT) | instid1(VALU_DEP_1)
	v_lshrrev_b32_e32 v73, s37, v73
	v_mul_lo_u32 v73, v73, s38
	s_delay_alu instid0(VALU_DEP_1) | instskip(NEXT) | instid1(VALU_DEP_1)
	v_sub_nc_u32_e32 v74, v72, v73
	v_mad_u64_u32 v[72:73], null, v74, s48, v[17:18]
	s_delay_alu instid0(VALU_DEP_1) | instskip(NEXT) | instid1(VALU_DEP_1)
	v_ashrrev_i32_e32 v73, 31, v72
	v_lshlrev_b64 v[72:73], 1, v[72:73]
	s_delay_alu instid0(VALU_DEP_1) | instskip(NEXT) | instid1(VALU_DEP_2)
	v_add_co_u32 v72, vcc_lo, s34, v72
	v_add_co_ci_u32_e32 v73, vcc_lo, s35, v73, vcc_lo
	flat_load_u16 v72, v[72:73]
	s_waitcnt vmcnt(0) lgkmcnt(0)
	v_cvt_f32_f16_e32 v72, v72
	s_delay_alu instid0(VALU_DEP_1)
	v_mul_f32_e32 v72, v21, v72
	s_branch .LBB52_92
.LBB52_91:
	v_mov_b32_e32 v72, 0
.LBB52_92:
	s_delay_alu instid0(VALU_DEP_1) | instskip(NEXT) | instid1(VALU_DEP_1)
	v_dual_add_f32 v61, v61, v72 :: v_dual_max_f32 v14, v14, v14
	v_add_f32_e32 v72, 0x40051340, v61
	s_delay_alu instid0(VALU_DEP_1)
	v_max_f32_e32 v14, v14, v72
.LBB52_93:
	s_or_b32 exec_lo, exec_lo, s9
	ds_bpermute_b32 v72, v69, v14
	v_max_f32_e32 v14, v14, v14
	s_waitcnt lgkmcnt(0)
	v_max_f32_e32 v72, v72, v72
	s_delay_alu instid0(VALU_DEP_1) | instskip(SKIP_3) | instid1(VALU_DEP_1)
	v_max_f32_e32 v14, v14, v72
	ds_bpermute_b32 v72, v70, v14
	s_waitcnt lgkmcnt(0)
	v_max_f32_e32 v72, v72, v72
	v_max_f32_e32 v14, v14, v72
	ds_bpermute_b32 v72, v71, v14
	s_waitcnt lgkmcnt(0)
	v_max_f32_e32 v72, v72, v72
	s_delay_alu instid0(VALU_DEP_1) | instskip(SKIP_3) | instid1(VALU_DEP_1)
	v_max_f32_e32 v14, v14, v72
	ds_bpermute_b32 v72, v67, v14
	s_waitcnt lgkmcnt(0)
	v_max_f32_e32 v72, v72, v72
	v_max_f32_e32 v14, v14, v72
	ds_bpermute_b32 v72, v23, v14
	s_waitcnt lgkmcnt(0)
	v_max_f32_e32 v72, v72, v72
	s_delay_alu instid0(VALU_DEP_1)
	v_max_f32_e32 v14, v14, v72
	s_and_saveexec_b32 s9, s7
	s_cbranch_execz .LBB52_98
; %bb.94:
	v_cmp_ne_u32_e32 vcc_lo, 1, v68
	s_cbranch_vccnz .LBB52_96
; %bb.95:
	v_or_b32_e32 v68, 7, v26
	s_delay_alu instid0(VALU_DEP_1) | instskip(NEXT) | instid1(VALU_DEP_1)
	v_mul_hi_u32 v72, s36, v68
	v_add_nc_u32_e32 v72, v68, v72
	s_delay_alu instid0(VALU_DEP_1) | instskip(NEXT) | instid1(VALU_DEP_1)
	v_lshrrev_b32_e32 v72, s37, v72
	v_mul_lo_u32 v72, v72, s38
	s_delay_alu instid0(VALU_DEP_1) | instskip(NEXT) | instid1(VALU_DEP_1)
	v_sub_nc_u32_e32 v68, v68, v72
	v_mad_u64_u32 v[72:73], null, v68, s48, v[17:18]
	s_delay_alu instid0(VALU_DEP_1) | instskip(NEXT) | instid1(VALU_DEP_1)
	v_ashrrev_i32_e32 v73, 31, v72
	v_lshlrev_b64 v[72:73], 1, v[72:73]
	s_delay_alu instid0(VALU_DEP_1) | instskip(NEXT) | instid1(VALU_DEP_2)
	v_add_co_u32 v72, vcc_lo, s34, v72
	v_add_co_ci_u32_e32 v73, vcc_lo, s35, v73, vcc_lo
	flat_load_u16 v17, v[72:73]
	s_waitcnt vmcnt(0) lgkmcnt(0)
	v_cvt_f32_f16_e32 v17, v17
	s_delay_alu instid0(VALU_DEP_1)
	v_mul_f32_e32 v17, v21, v17
	s_branch .LBB52_97
.LBB52_96:
	v_mov_b32_e32 v17, 0
.LBB52_97:
	s_delay_alu instid0(VALU_DEP_1) | instskip(NEXT) | instid1(VALU_DEP_1)
	v_dual_add_f32 v16, v16, v17 :: v_dual_max_f32 v15, v15, v15
	v_add_f32_e32 v17, 0x40051340, v16
	s_delay_alu instid0(VALU_DEP_1)
	v_max_f32_e32 v15, v15, v17
.LBB52_98:
	s_or_b32 exec_lo, exec_lo, s9
	ds_bpermute_b32 v17, v69, v15
	v_dual_max_f32 v15, v15, v15 :: v_dual_sub_f32 v64, v64, v10
	v_dual_sub_f32 v63, v63, v11 :: v_dual_sub_f32 v62, v62, v13
	s_mul_hi_i32 s9, s47, s42
	v_lshl_add_u32 v68, v34, 4, v19
	s_waitcnt lgkmcnt(0)
	s_barrier
	buffer_gl0_inv
	v_sub_f32_e32 v60, v60, v12
	v_mul_f32_e32 v72, 0x3fb8aa3b, v62
	s_delay_alu instid0(VALU_DEP_1) | instskip(SKIP_2) | instid1(VALU_DEP_3)
	v_rndne_f32_e32 v85, v72
	v_fma_f32 v84, 0x3fb8aa3b, v62, -v72
	v_max_f32_e32 v17, v17, v17
	v_sub_f32_e32 v72, v72, v85
	s_delay_alu instid0(VALU_DEP_2) | instskip(NEXT) | instid1(VALU_DEP_1)
	v_dual_fmac_f32 v84, 0x32a5705f, v62 :: v_dual_max_f32 v15, v15, v17
	v_add_f32_e32 v72, v72, v84
	ds_bpermute_b32 v17, v70, v15
	v_mul_f32_e32 v70, 0x3fb8aa3b, v64
	v_exp_f32_e32 v72, v72
	s_delay_alu instid0(VALU_DEP_1) | instskip(SKIP_2) | instid1(VALU_DEP_3)
	v_fma_f32 v78, 0x3fb8aa3b, v64, -v70
	v_sub_f32_e32 v65, v65, v9
	v_rndne_f32_e32 v79, v70
	v_fmac_f32_e32 v78, 0x32a5705f, v64
	s_delay_alu instid0(VALU_DEP_2) | instskip(SKIP_2) | instid1(VALU_DEP_3)
	v_dual_mul_f32 v69, 0x3fb8aa3b, v65 :: v_dual_sub_f32 v70, v70, v79
	v_cvt_i32_f32_e32 v79, v79
	v_cmp_nlt_f32_e64 s7, 0x42b17218, v65
	v_fma_f32 v76, 0x3fb8aa3b, v65, -v69
	v_sub_f32_e32 v21, v66, v8
	s_waitcnt lgkmcnt(0)
	v_dual_add_f32 v70, v70, v78 :: v_dual_max_f32 v17, v17, v17
	s_delay_alu instid0(VALU_DEP_3) | instskip(NEXT) | instid1(VALU_DEP_3)
	v_dual_fmac_f32 v76, 0x32a5705f, v65 :: v_dual_sub_f32 v61, v61, v14
	v_mul_f32_e32 v66, 0x3fb8aa3b, v21
	s_delay_alu instid0(VALU_DEP_3) | instskip(SKIP_1) | instid1(VALU_DEP_3)
	v_exp_f32_e32 v70, v70
	v_cmp_ngt_f32_e32 vcc_lo, 0xc2ce8ed0, v21
	v_mul_f32_e32 v73, 0x3fb8aa3b, v61
	s_delay_alu instid0(VALU_DEP_3) | instskip(SKIP_2) | instid1(VALU_DEP_4)
	v_rndne_f32_e32 v75, v66
	v_max_f32_e32 v15, v15, v17
	v_fma_f32 v74, 0x3fb8aa3b, v21, -v66
	v_fma_f32 v86, 0x3fb8aa3b, v61, -v73
	s_delay_alu instid0(VALU_DEP_4)
	v_sub_f32_e32 v66, v66, v75
	ds_bpermute_b32 v17, v71, v15
	v_mul_f32_e32 v71, 0x3fb8aa3b, v60
	v_rndne_f32_e32 v87, v73
	v_cvt_i32_f32_e32 v75, v75
	v_fmac_f32_e32 v86, 0x32a5705f, v61
	s_delay_alu instid0(VALU_DEP_4) | instskip(SKIP_1) | instid1(VALU_DEP_1)
	v_fma_f32 v82, 0x3fb8aa3b, v60, -v71
	v_rndne_f32_e32 v83, v71
	v_dual_fmac_f32 v82, 0x32a5705f, v60 :: v_dual_sub_f32 v71, v71, v83
	s_waitcnt lgkmcnt(0)
	v_max_f32_e32 v17, v17, v17
	s_delay_alu instid0(VALU_DEP_1) | instskip(SKIP_1) | instid1(VALU_DEP_1)
	v_max_f32_e32 v15, v15, v17
	v_mul_f32_e32 v17, 0x3fb8aa3b, v63
	v_fma_f32 v80, 0x3fb8aa3b, v63, -v17
	v_rndne_f32_e32 v81, v17
	s_delay_alu instid0(VALU_DEP_2) | instskip(SKIP_3) | instid1(VALU_DEP_1)
	v_fmac_f32_e32 v80, 0x32a5705f, v63
	ds_bpermute_b32 v67, v67, v15
	s_waitcnt lgkmcnt(0)
	v_dual_fmac_f32 v74, 0x32a5705f, v21 :: v_dual_max_f32 v67, v67, v67
	v_add_f32_e32 v66, v66, v74
	v_rndne_f32_e32 v77, v69
	v_cvt_i32_f32_e32 v74, v87
	s_delay_alu instid0(VALU_DEP_4) | instskip(NEXT) | instid1(VALU_DEP_4)
	v_max_f32_e32 v15, v15, v67
	v_exp_f32_e32 v66, v66
	s_delay_alu instid0(VALU_DEP_3)
	v_sub_f32_e32 v69, v69, v77
	v_cvt_i32_f32_e32 v77, v77
	v_cvt_i32_f32_e32 v67, v81
	ds_bpermute_b32 v23, v23, v15
	v_add_f32_e32 v69, v69, v76
	v_ldexp_f32 v66, v66, v75
	s_delay_alu instid0(VALU_DEP_2) | instskip(NEXT) | instid1(VALU_DEP_1)
	v_exp_f32_e32 v69, v69
	v_dual_sub_f32 v73, v73, v87 :: v_dual_cndmask_b32 v66, 0, v66
	v_cmp_ngt_f32_e32 vcc_lo, 0xc2ce8ed0, v65
	s_delay_alu instid0(VALU_DEP_2) | instskip(NEXT) | instid1(VALU_DEP_1)
	v_add_f32_e32 v73, v73, v86
	v_exp_f32_e32 v73, v73
	s_waitcnt lgkmcnt(0)
	v_max_f32_e32 v23, v23, v23
	s_delay_alu instid0(VALU_DEP_1)
	v_max_f32_e32 v15, v15, v23
	v_sub_f32_e32 v17, v17, v81
	v_cvt_i32_f32_e32 v81, v83
	v_cvt_i32_f32_e32 v83, v85
	v_ldexp_f32 v23, v69, v77
	v_ldexp_f32 v69, v70, v79
	v_sub_f32_e32 v70, v16, v15
	s_delay_alu instid0(VALU_DEP_4) | instskip(SKIP_1) | instid1(VALU_DEP_3)
	v_ldexp_f32 v16, v72, v83
	v_add_f32_e32 v71, v71, v82
	v_dual_cndmask_b32 v23, 0, v23 :: v_dual_mul_f32 v72, 0x3fb8aa3b, v70
	v_add_f32_e32 v17, v17, v80
	v_cmp_ngt_f32_e32 vcc_lo, 0xc2ce8ed0, v64
	s_delay_alu instid0(VALU_DEP_4) | instskip(NEXT) | instid1(VALU_DEP_3)
	v_exp_f32_e32 v71, v71
	v_cndmask_b32_e64 v23, 0x7f800000, v23, s7
	v_cmp_nlt_f32_e64 s7, 0x42b17218, v64
	v_exp_f32_e32 v17, v17
	v_cndmask_b32_e32 v69, 0, v69, vcc_lo
	v_cmp_ngt_f32_e32 vcc_lo, 0xc2ce8ed0, v63
	s_delay_alu instid0(VALU_DEP_2)
	v_cndmask_b32_e64 v64, 0x7f800000, v69, s7
	v_cmp_nlt_f32_e64 s7, 0x42b17218, v63
	s_waitcnt_depctr 0xfff
	v_ldexp_f32 v17, v17, v67
	v_ldexp_f32 v67, v71, v81
	;; [unrolled: 1-line block ×3, first 2 shown]
	v_fma_f32 v73, 0x3fb8aa3b, v70, -v72
	v_rndne_f32_e32 v74, v72
	v_cndmask_b32_e32 v17, 0, v17, vcc_lo
	v_cmp_ngt_f32_e32 vcc_lo, 0xc2ce8ed0, v60
	s_delay_alu instid0(VALU_DEP_4) | instskip(NEXT) | instid1(VALU_DEP_4)
	v_fmac_f32_e32 v73, 0x32a5705f, v70
	v_sub_f32_e32 v72, v72, v74
	s_delay_alu instid0(VALU_DEP_4)
	v_cndmask_b32_e64 v63, 0x7f800000, v17, s7
	v_cndmask_b32_e32 v67, 0, v67, vcc_lo
	v_cmp_ngt_f32_e32 vcc_lo, 0xc2ce8ed0, v62
	v_cmp_nlt_f32_e64 s7, 0x42b17218, v60
	v_add_f32_e32 v72, v72, v73
	v_cvt_i32_f32_e32 v17, v74
	v_cndmask_b32_e32 v16, 0, v16, vcc_lo
	v_cmp_ngt_f32_e32 vcc_lo, 0xc2ce8ed0, v61
	s_delay_alu instid0(VALU_DEP_4) | instskip(SKIP_4) | instid1(VALU_DEP_3)
	v_exp_f32_e32 v65, v72
	v_cndmask_b32_e64 v60, 0x7f800000, v67, s7
	v_cmp_nlt_f32_e64 s7, 0x42b17218, v62
	v_cndmask_b32_e32 v71, 0, v71, vcc_lo
	v_cmp_nlt_f32_e32 vcc_lo, 0x42b17218, v21
	v_cndmask_b32_e64 v62, 0x7f800000, v16, s7
	v_cmp_nlt_f32_e64 s7, 0x42b17218, v61
	v_cndmask_b32_e32 v21, 0x7f800000, v66, vcc_lo
	s_delay_alu instid0(TRANS32_DEP_1) | instskip(SKIP_1) | instid1(VALU_DEP_4)
	v_ldexp_f32 v65, v65, v17
	v_cmp_gt_u32_e32 vcc_lo, s8, v34
	v_cndmask_b32_e64 v66, 0x7f800000, v71, s7
	v_cmp_ngt_f32_e64 s7, 0xc2ce8ed0, v70
	s_mul_i32 s8, s47, s42
	v_cndmask_b32_e32 v17, 0, v23, vcc_lo
	v_cndmask_b32_e32 v23, 0, v63, vcc_lo
	s_delay_alu instid0(VALU_DEP_3) | instskip(SKIP_4) | instid1(VALU_DEP_4)
	v_cndmask_b32_e64 v61, 0, v65, s7
	v_cmp_nlt_f32_e64 s7, 0x42b17218, v70
	v_dual_cndmask_b32 v16, 0, v21 :: v_dual_cndmask_b32 v21, 0, v64
	v_cndmask_b32_e32 v60, 0, v60, vcc_lo
	v_cvt_f16_f32_e32 v67, v23
	v_cndmask_b32_e64 v63, 0x7f800000, v61, s7
	v_cndmask_b32_e32 v61, 0, v62, vcc_lo
	v_cndmask_b32_e32 v62, 0, v66, vcc_lo
	v_cvt_f16_f32_e32 v64, v16
	v_cvt_f16_f32_e32 v65, v21
	v_cndmask_b32_e32 v63, 0, v63, vcc_lo
	v_cvt_f16_f32_e32 v66, v60
	v_cvt_f16_f32_e32 v69, v61
	;; [unrolled: 1-line block ×5, first 2 shown]
	v_pack_b32_f16 v65, v65, v67
	v_pack_b32_f16 v66, v66, v69
	s_lshl_b64 s[8:9], s[8:9], 2
	v_pack_b32_f16 v64, v64, v72
	v_pack_b32_f16 v67, v70, v71
	s_add_u32 s7, s43, s8
	s_addc_u32 s8, s45, s9
	ds_store_b128 v68, v[64:67]
	s_and_saveexec_b32 s9, s5
	s_cbranch_execz .LBB52_100
; %bb.99:
	v_mul_lo_u32 v64, s42, v22
	s_mov_b64 s[10:11], src_private_base
	v_mul_u32_u24_e32 v22, 0x50, v22
	s_delay_alu instid0(VALU_DEP_2) | instskip(NEXT) | instid1(VALU_DEP_1)
	v_ashrrev_i32_e32 v65, 31, v64
	v_lshlrev_b64 v[64:65], 2, v[64:65]
	s_delay_alu instid0(VALU_DEP_1) | instskip(NEXT) | instid1(VALU_DEP_2)
	v_add_co_u32 v66, vcc_lo, s7, v64
	v_add_co_ci_u32_e32 v65, vcc_lo, s8, v65, vcc_lo
	v_mov_b32_e32 v64, 0
	s_delay_alu instid0(VALU_DEP_3) | instskip(NEXT) | instid1(VALU_DEP_3)
	v_add_co_u32 v67, vcc_lo, v66, 64
	v_add_co_ci_u32_e32 v68, vcc_lo, 0, v65, vcc_lo
	s_delay_alu instid0(VALU_DEP_3) | instskip(SKIP_1) | instid1(VALU_DEP_4)
	v_mov_b32_e32 v65, v64
	v_mov_b32_e32 v66, v64
	v_cndmask_b32_e64 v67, 0, v67, s3
	s_delay_alu instid0(VALU_DEP_4)
	v_cndmask_b32_e64 v68, s11, v68, s3
	s_clause 0x1
	scratch_store_b32 off, v64, off
	scratch_store_b96 off, v[64:66], off offset:4
	flat_load_b128 v[64:67], v[67:68]
	s_waitcnt vmcnt(0) lgkmcnt(0)
	ds_store_b128 v22, v[64:67] offset:9280
.LBB52_100:
	s_or_b32 exec_lo, exec_lo, s9
	s_and_saveexec_b32 s3, s6
	s_cbranch_execz .LBB52_102
; %bb.101:
	v_mul_lo_u32 v64, s42, v58
	s_delay_alu instid0(VALU_DEP_1) | instskip(NEXT) | instid1(VALU_DEP_1)
	v_ashrrev_i32_e32 v65, 31, v64
	v_lshlrev_b64 v[64:65], 2, v[64:65]
	s_delay_alu instid0(VALU_DEP_1) | instskip(NEXT) | instid1(VALU_DEP_2)
	v_add_co_u32 v22, vcc_lo, s7, v64
	v_add_co_ci_u32_e32 v65, vcc_lo, s8, v65, vcc_lo
	v_mov_b32_e32 v64, 0
	s_delay_alu instid0(VALU_DEP_3) | instskip(NEXT) | instid1(VALU_DEP_3)
	v_add_co_u32 v22, vcc_lo, v22, v59
	v_add_co_ci_u32_e32 v67, vcc_lo, 0, v65, vcc_lo
	s_mov_b64 s[6:7], src_private_base
	s_delay_alu instid0(VALU_DEP_3) | instskip(SKIP_1) | instid1(VALU_DEP_3)
	v_mov_b32_e32 v65, v64
	v_mov_b32_e32 v66, v64
	v_cndmask_b32_e64 v68, s7, v67, s4
	v_cndmask_b32_e64 v67, 0, v22, s4
	s_clause 0x1
	scratch_store_b32 off, v64, off
	scratch_store_b96 off, v[64:66], off offset:4
	v_mad_u32_u24 v22, 0x50, v58, v59
	flat_load_b128 v[64:67], v[67:68]
	s_waitcnt vmcnt(0) lgkmcnt(0)
	ds_store_b128 v22, v[64:67] offset:9216
.LBB52_102:
	s_or_b32 exec_lo, exec_lo, s3
	v_dual_sub_f32 v0, v0, v8 :: v_dual_sub_f32 v1, v1, v9
	v_dual_sub_f32 v2, v2, v10 :: v_dual_sub_f32 v3, v3, v11
	;; [unrolled: 1-line block ×3, first 2 shown]
	s_delay_alu instid0(VALU_DEP_2) | instskip(NEXT) | instid1(VALU_DEP_4)
	v_dual_mul_f32 v22, 0x3fb8aa3b, v0 :: v_dual_mul_f32 v59, 0x3fb8aa3b, v2
	v_mul_f32_e32 v58, 0x3fb8aa3b, v1
	v_cmp_ngt_f32_e32 vcc_lo, 0xc2ce8ed0, v0
	s_waitcnt lgkmcnt(0)
	s_waitcnt_vscnt null, 0x0
	v_fma_f32 v64, 0x3fb8aa3b, v0, -v22
	v_rndne_f32_e32 v65, v22
	v_fma_f32 v70, 0x3fb8aa3b, v2, -v59
	v_fma_f32 v67, 0x3fb8aa3b, v1, -v58
	v_sub_f32_e32 v4, v4, v12
	s_barrier
	v_sub_f32_e32 v22, v22, v65
	v_fmac_f32_e32 v70, 0x32a5705f, v2
	v_dual_fmac_f32 v64, 0x32a5705f, v0 :: v_dual_fmac_f32 v67, 0x32a5705f, v1
	v_mul_f32_e32 v69, 0x3fb8aa3b, v4
	v_rndne_f32_e32 v68, v58
	v_cvt_i32_f32_e32 v65, v65
	s_delay_alu instid0(VALU_DEP_4)
	v_add_f32_e32 v22, v22, v64
	v_rndne_f32_e32 v64, v59
	v_mul_f32_e32 v66, 0x3fb8aa3b, v3
	buffer_gl0_inv
	v_sub_f32_e32 v5, v5, v13
	v_exp_f32_e32 v22, v22
	v_sub_f32_e32 v59, v59, v64
	v_cvt_i32_f32_e32 v64, v64
	v_fma_f32 v71, 0x3fb8aa3b, v3, -v66
	s_delay_alu instid0(VALU_DEP_3) | instskip(NEXT) | instid1(VALU_DEP_2)
	v_add_f32_e32 v59, v59, v70
	v_fmac_f32_e32 v71, 0x32a5705f, v3
	s_waitcnt_depctr 0xfff
	v_ldexp_f32 v22, v22, v65
	v_exp_f32_e32 v59, v59
	s_delay_alu instid0(VALU_DEP_1)
	v_cndmask_b32_e32 v22, 0, v22, vcc_lo
	v_cmp_ngt_f32_e32 vcc_lo, 0xc2ce8ed0, v1
	s_waitcnt_depctr 0xfff
	v_ldexp_f32 v59, v59, v64
	v_sub_f32_e32 v58, v58, v68
	v_cvt_i32_f32_e32 v68, v68
	s_delay_alu instid0(VALU_DEP_2) | instskip(SKIP_1) | instid1(VALU_DEP_2)
	v_add_f32_e32 v58, v58, v67
	v_rndne_f32_e32 v67, v66
	v_exp_f32_e32 v58, v58
	s_delay_alu instid0(VALU_DEP_1) | instskip(SKIP_2) | instid1(VALU_DEP_1)
	v_cvt_i32_f32_e32 v65, v67
	s_waitcnt_depctr 0xfff
	v_ldexp_f32 v58, v58, v68
	v_cndmask_b32_e32 v58, 0, v58, vcc_lo
	v_cmp_nlt_f32_e32 vcc_lo, 0x42b17218, v0
	v_cndmask_b32_e32 v0, 0x7f800000, v22, vcc_lo
	v_cmp_nlt_f32_e32 vcc_lo, 0x42b17218, v1
	s_delay_alu instid0(VALU_DEP_4) | instskip(SKIP_1) | instid1(VALU_DEP_4)
	v_cndmask_b32_e32 v1, 0x7f800000, v58, vcc_lo
	v_cmp_ngt_f32_e32 vcc_lo, 0xc2ce8ed0, v2
	v_cvt_f16_f32_e32 v58, v0
	s_delay_alu instid0(VALU_DEP_3) | instskip(SKIP_2) | instid1(VALU_DEP_4)
	v_fmac_f32_e32 v17, v50, v1
	v_cndmask_b32_e32 v59, 0, v59, vcc_lo
	v_cmp_nlt_f32_e32 vcc_lo, 0x42b17218, v2
	v_pk_mul_f16 v50, v58, v43 op_sel_hi:[0,1]
	v_rndne_f32_e32 v43, v69
	s_delay_alu instid0(VALU_DEP_4)
	v_cndmask_b32_e32 v2, 0x7f800000, v59, vcc_lo
	v_fmac_f32_e32 v16, v51, v0
	v_cvt_f16_f32_e32 v0, v1
	v_fma_f32 v1, 0x3fb8aa3b, v4, -v69
	v_sub_f32_e32 v51, v69, v43
	v_cmp_ngt_f32_e32 vcc_lo, 0xc2ce8ed0, v3
	s_delay_alu instid0(VALU_DEP_4) | instskip(NEXT) | instid1(VALU_DEP_4)
	v_pk_mul_f16 v58, v0, v42 op_sel_hi:[0,1]
	v_dual_fmac_f32 v1, 0x32a5705f, v4 :: v_dual_sub_f32 v66, v66, v67
	v_cvt_f16_f32_e32 v0, v2
	s_delay_alu instid0(VALU_DEP_2) | instskip(NEXT) | instid1(VALU_DEP_1)
	v_dual_add_f32 v1, v51, v1 :: v_dual_add_f32 v66, v66, v71
	v_exp_f32_e32 v22, v66
	s_waitcnt_depctr 0xfff
	v_ldexp_f32 v22, v22, v65
	s_delay_alu instid0(VALU_DEP_1) | instskip(SKIP_1) | instid1(VALU_DEP_2)
	v_cndmask_b32_e32 v22, 0, v22, vcc_lo
	v_cmp_nlt_f32_e32 vcc_lo, 0x42b17218, v3
	v_cndmask_b32_e32 v3, 0x7f800000, v22, vcc_lo
	v_pk_mul_f16 v22, v0, v41 op_sel_hi:[0,1]
	v_exp_f32_e32 v0, v1
	v_mul_f32_e32 v1, 0x3fb8aa3b, v5
	v_cmp_ngt_f32_e32 vcc_lo, 0xc2ce8ed0, v4
	v_fmac_f32_e32 v23, v48, v3
	s_delay_alu instid0(VALU_DEP_3) | instskip(SKIP_1) | instid1(VALU_DEP_2)
	v_rndne_f32_e32 v42, v1
	v_fma_f32 v41, 0x3fb8aa3b, v5, -v1
	v_sub_f32_e32 v1, v1, v42
	v_fmac_f32_e32 v21, v49, v2
	v_cvt_f16_f32_e32 v2, v3
	v_cvt_i32_f32_e32 v3, v43
	s_delay_alu instid0(VALU_DEP_1) | instskip(NEXT) | instid1(VALU_DEP_1)
	v_ldexp_f32 v0, v0, v3
	v_dual_mul_f32 v43, 0x3fb8aa3b, v6 :: v_dual_cndmask_b32 v0, 0, v0
	s_delay_alu instid0(VALU_DEP_1) | instskip(SKIP_3) | instid1(VALU_DEP_3)
	v_fma_f32 v48, 0x3fb8aa3b, v6, -v43
	v_fmac_f32_e32 v41, 0x32a5705f, v5
	v_cmp_nlt_f32_e32 vcc_lo, 0x42b17218, v4
	v_rndne_f32_e32 v49, v43
	v_dual_fmac_f32 v48, 0x32a5705f, v6 :: v_dual_add_f32 v1, v1, v41
	v_cndmask_b32_e32 v0, 0x7f800000, v0, vcc_lo
	v_mul_f32_e32 v3, 0x3fb8aa3b, v7
	v_cmp_ngt_f32_e32 vcc_lo, 0xc2ce8ed0, v5
	s_delay_alu instid0(VALU_DEP_4) | instskip(NEXT) | instid1(VALU_DEP_3)
	v_exp_f32_e32 v1, v1
	v_fmac_f32_e32 v60, v47, v0
	s_delay_alu instid0(VALU_DEP_3) | instskip(SKIP_1) | instid1(VALU_DEP_2)
	v_fma_f32 v51, 0x3fb8aa3b, v7, -v3
	v_rndne_f32_e32 v59, v3
	v_fmac_f32_e32 v51, 0x32a5705f, v7
	s_delay_alu instid0(VALU_DEP_2) | instskip(NEXT) | instid1(VALU_DEP_1)
	v_sub_f32_e32 v3, v3, v59
	v_add_f32_e32 v3, v3, v51
	v_pk_mul_f16 v51, v2, v40 op_sel_hi:[0,1]
	v_cvt_i32_f32_e32 v2, v42
	v_cvt_f16_f32_e32 v40, v0
	s_delay_alu instid0(VALU_DEP_4) | instskip(NEXT) | instid1(VALU_DEP_2)
	v_exp_f32_e32 v3, v3
	v_ldexp_f32 v0, v1, v2
	v_sub_f32_e32 v41, v43, v49
	v_cvt_i32_f32_e32 v1, v59
	s_delay_alu instid0(VALU_DEP_2) | instskip(NEXT) | instid1(VALU_DEP_1)
	v_add_f32_e32 v41, v41, v48
	v_exp_f32_e32 v4, v41
	v_cvt_i32_f32_e32 v41, v49
	v_pk_mul_f16 v49, v40, v39 op_sel_hi:[0,1]
	s_waitcnt_depctr 0xfff
	v_ldexp_f32 v2, v4, v41
	v_cndmask_b32_e32 v4, 0, v0, vcc_lo
	v_cmp_ngt_f32_e32 vcc_lo, 0xc2ce8ed0, v6
	v_ldexp_f32 v0, v3, v1
	s_delay_alu instid0(VALU_DEP_4) | instskip(SKIP_1) | instid1(VALU_DEP_3)
	v_cndmask_b32_e32 v39, 0, v2, vcc_lo
	v_cmp_ngt_f32_e32 vcc_lo, 0xc2ce8ed0, v7
	v_cndmask_b32_e32 v40, 0, v0, vcc_lo
	v_cmp_nlt_f32_e32 vcc_lo, 0x42b17218, v5
	v_cndmask_b32_e32 v41, 0x7f800000, v4, vcc_lo
	v_cmp_nlt_f32_e32 vcc_lo, 0x42b17218, v6
	s_delay_alu instid0(VALU_DEP_2)
	v_cvt_f16_f32_e32 v42, v41
	v_cndmask_b32_e32 v39, 0x7f800000, v39, vcc_lo
	v_add_nc_u32_e32 v59, 0x2400, v20
	v_cmp_nlt_f32_e32 vcc_lo, 0x42b17218, v7
	v_fmac_f32_e32 v61, v46, v41
	v_pk_mul_f16 v46, v42, v38 op_sel_hi:[0,1]
	v_fmac_f32_e32 v62, v45, v39
	ds_load_2addr_b32 v[47:48], v59 offset1:20
	ds_load_b128 v[0:3], v19
	v_cndmask_b32_e32 v40, 0x7f800000, v40, vcc_lo
	ds_load_b128 v[4:7], v19 offset:16
	v_cvt_f16_f32_e32 v43, v39
	v_cvt_f16_f32_e32 v41, v40
	v_fmac_f32_e32 v63, v44, v40
	s_delay_alu instid0(VALU_DEP_3) | instskip(NEXT) | instid1(VALU_DEP_3)
	v_pk_mul_f16 v64, v43, v37 op_sel_hi:[0,1]
	v_pk_mul_f16 v65, v41, v36 op_sel_hi:[0,1]
	ds_load_2addr_b32 v[44:45], v59 offset0:40 offset1:60
	ds_load_b128 v[36:39], v19 offset:32
	ds_load_b128 v[40:43], v19 offset:48
	s_waitcnt lgkmcnt(4)
	v_pk_fma_f16 v50, v47, v0, v50 op_sel_hi:[1,0,1]
	v_pk_fma_f16 v0, v47, v0, v58 op_sel:[0,1,0]
	v_pk_fma_f16 v22, v47, v1, v22 op_sel_hi:[1,0,1]
	v_pk_fma_f16 v1, v47, v1, v51 op_sel:[0,1,0]
	;; [unrolled: 2-line block ×4, first 2 shown]
	s_waitcnt lgkmcnt(3)
	v_pk_fma_f16 v50, v48, v4, v50 op_sel_hi:[1,0,1]
	v_pk_fma_f16 v4, v48, v4, v0 op_sel:[0,1,0]
	v_pk_fma_f16 v22, v48, v5, v22 op_sel_hi:[1,0,1]
	v_pk_fma_f16 v5, v48, v5, v1 op_sel:[0,1,0]
	v_pk_fma_f16 v49, v48, v6, v49 op_sel_hi:[1,0,1]
	v_pk_fma_f16 v6, v48, v6, v2 op_sel:[0,1,0]
	v_pk_fma_f16 v51, v48, v7, v46 op_sel_hi:[1,0,1]
	v_pk_fma_f16 v7, v48, v7, v3 op_sel:[0,1,0]
	ds_load_2addr_b32 v[46:47], v59 offset0:80 offset1:100
	ds_load_b128 v[0:3], v19 offset:64
	s_waitcnt lgkmcnt(3)
	v_pk_fma_f16 v48, v44, v36, v50 op_sel_hi:[1,0,1]
	v_pk_fma_f16 v36, v44, v36, v4 op_sel:[0,1,0]
	v_pk_fma_f16 v22, v44, v37, v22 op_sel_hi:[1,0,1]
	v_pk_fma_f16 v37, v44, v37, v5 op_sel:[0,1,0]
	v_pk_fma_f16 v49, v44, v38, v49 op_sel_hi:[1,0,1]
	v_pk_fma_f16 v38, v44, v38, v6 op_sel:[0,1,0]
	v_pk_fma_f16 v50, v44, v39, v51 op_sel_hi:[1,0,1]
	v_pk_fma_f16 v39, v44, v39, v7 op_sel:[0,1,0]
	ds_load_b128 v[4:7], v19 offset:80
	s_waitcnt lgkmcnt(3)
	v_pk_fma_f16 v48, v45, v40, v48 op_sel_hi:[1,0,1]
	v_pk_fma_f16 v40, v45, v40, v36 op_sel:[0,1,0]
	v_pk_fma_f16 v22, v45, v41, v22 op_sel_hi:[1,0,1]
	v_pk_fma_f16 v41, v45, v41, v37 op_sel:[0,1,0]
	v_pk_fma_f16 v49, v45, v42, v49 op_sel_hi:[1,0,1]
	v_pk_fma_f16 v42, v45, v42, v38 op_sel:[0,1,0]
	v_pk_fma_f16 v50, v45, v43, v50 op_sel_hi:[1,0,1]
	v_pk_fma_f16 v45, v45, v43, v39 op_sel:[0,1,0]
	ds_load_2addr_b32 v[43:44], v59 offset0:120 offset1:140
	ds_load_b128 v[36:39], v19 offset:96
	s_waitcnt lgkmcnt(3)
	v_pk_fma_f16 v48, v46, v0, v48 op_sel_hi:[1,0,1]
	v_pk_fma_f16 v40, v46, v0, v40 op_sel:[0,1,0]
	v_pk_fma_f16 v22, v46, v1, v22 op_sel_hi:[1,0,1]
	v_pk_fma_f16 v41, v46, v1, v41 op_sel:[0,1,0]
	v_pk_fma_f16 v49, v46, v2, v49 op_sel_hi:[1,0,1]
	v_pk_fma_f16 v42, v46, v2, v42 op_sel:[0,1,0]
	v_pk_fma_f16 v50, v46, v3, v50 op_sel_hi:[1,0,1]
	v_pk_fma_f16 v45, v46, v3, v45 op_sel:[0,1,0]
	ds_load_b128 v[0:3], v19 offset:112
	;; [unrolled: 21-line block ×3, first 2 shown]
	s_waitcnt lgkmcnt(3)
	v_pk_fma_f16 v58, v44, v0, v48 op_sel_hi:[1,0,1]
	v_pk_fma_f16 v0, v44, v0, v40 op_sel:[0,1,0]
	v_pk_fma_f16 v22, v44, v1, v22 op_sel_hi:[1,0,1]
	v_pk_fma_f16 v1, v44, v1, v41 op_sel:[0,1,0]
	;; [unrolled: 2-line block ×3, first 2 shown]
	ds_load_2addr_b32 v[47:48], v59 offset0:200 offset1:220
	ds_load_b128 v[40:43], v19 offset:160
	v_pk_fma_f16 v50, v44, v3, v50 op_sel_hi:[1,0,1]
	v_pk_fma_f16 v3, v44, v3, v51 op_sel:[0,1,0]
	s_waitcnt lgkmcnt(3)
	v_pk_fma_f16 v44, v45, v4, v58 op_sel_hi:[1,0,1]
	v_pk_fma_f16 v4, v45, v4, v0 op_sel:[0,1,0]
	v_pk_fma_f16 v22, v45, v5, v22 op_sel_hi:[1,0,1]
	v_pk_fma_f16 v5, v45, v5, v1 op_sel:[0,1,0]
	;; [unrolled: 2-line block ×4, first 2 shown]
	ds_load_b128 v[0:3], v19 offset:176
	s_waitcnt lgkmcnt(3)
	v_pk_fma_f16 v44, v46, v36, v44 op_sel_hi:[1,0,1]
	v_pk_fma_f16 v36, v46, v36, v4 op_sel:[0,1,0]
	v_add_nc_u32_e32 v4, 0x2600, v20
	v_pk_fma_f16 v22, v46, v37, v22 op_sel_hi:[1,0,1]
	v_pk_fma_f16 v37, v46, v37, v5 op_sel:[0,1,0]
	v_pk_fma_f16 v49, v46, v38, v49 op_sel_hi:[1,0,1]
	v_pk_fma_f16 v38, v46, v38, v6 op_sel:[0,1,0]
	v_pk_fma_f16 v50, v46, v39, v50 op_sel_hi:[1,0,1]
	v_pk_fma_f16 v39, v46, v39, v7 op_sel:[0,1,0]
	s_waitcnt lgkmcnt(1)
	v_pk_fma_f16 v46, v47, v40, v44 op_sel_hi:[1,0,1]
	ds_load_2addr_b32 v[44:45], v4 offset0:112 offset1:132
	ds_load_b128 v[4:7], v19 offset:192
	v_pk_fma_f16 v40, v47, v40, v36 op_sel:[0,1,0]
	v_pk_fma_f16 v22, v47, v41, v22 op_sel_hi:[1,0,1]
	v_pk_fma_f16 v41, v47, v41, v37 op_sel:[0,1,0]
	v_pk_fma_f16 v49, v47, v42, v49 op_sel_hi:[1,0,1]
	;; [unrolled: 2-line block ×3, first 2 shown]
	v_pk_fma_f16 v43, v47, v43, v39 op_sel:[0,1,0]
	ds_load_b128 v[36:39], v19 offset:208
	v_add_nc_u32_e32 v58, 0x2800, v20
	s_waitcnt lgkmcnt(3)
	v_pk_fma_f16 v46, v48, v0, v46 op_sel_hi:[1,0,1]
	v_pk_fma_f16 v47, v48, v0, v40 op_sel:[0,1,0]
	v_pk_fma_f16 v22, v48, v1, v22 op_sel_hi:[1,0,1]
	v_pk_fma_f16 v51, v48, v1, v41 op_sel:[0,1,0]
	;; [unrolled: 2-line block ×4, first 2 shown]
	ds_load_2addr_b32 v[40:41], v58 offset0:24 offset1:44
	ds_load_b128 v[0:3], v19 offset:224
	v_add_nc_u32_e32 v20, 0x2c00, v20
	s_waitcnt lgkmcnt(3)
	v_pk_fma_f16 v46, v44, v4, v46 op_sel_hi:[1,0,1]
	v_pk_fma_f16 v47, v44, v4, v47 op_sel:[0,1,0]
	v_pk_fma_f16 v22, v44, v5, v22 op_sel_hi:[1,0,1]
	v_pk_fma_f16 v48, v44, v5, v51 op_sel:[0,1,0]
	v_pk_fma_f16 v49, v44, v6, v49 op_sel_hi:[1,0,1]
	v_pk_fma_f16 v42, v44, v6, v42 op_sel:[0,1,0]
	v_pk_fma_f16 v50, v44, v7, v50 op_sel_hi:[1,0,1]
	v_pk_fma_f16 v43, v44, v7, v43 op_sel:[0,1,0]
	ds_load_b128 v[4:7], v19 offset:240
	s_waitcnt lgkmcnt(3)
	v_pk_fma_f16 v44, v45, v36, v46 op_sel_hi:[1,0,1]
	v_pk_fma_f16 v46, v45, v36, v47 op_sel:[0,1,0]
	v_pk_fma_f16 v22, v45, v37, v22 op_sel_hi:[1,0,1]
	v_pk_fma_f16 v47, v45, v37, v48 op_sel:[0,1,0]
	v_pk_fma_f16 v48, v45, v38, v49 op_sel_hi:[1,0,1]
	v_pk_fma_f16 v49, v45, v38, v42 op_sel:[0,1,0]
	v_pk_fma_f16 v50, v45, v39, v50 op_sel_hi:[1,0,1]
	v_pk_fma_f16 v45, v45, v39, v43 op_sel:[0,1,0]
	ds_load_2addr_b32 v[42:43], v58 offset0:64 offset1:84
	ds_load_b128 v[36:39], v19 offset:256
	s_waitcnt lgkmcnt(3)
	v_pk_fma_f16 v44, v40, v0, v44 op_sel_hi:[1,0,1]
	v_pk_fma_f16 v46, v40, v0, v46 op_sel:[0,1,0]
	v_pk_fma_f16 v22, v40, v1, v22 op_sel_hi:[1,0,1]
	v_pk_fma_f16 v47, v40, v1, v47 op_sel:[0,1,0]
	v_pk_fma_f16 v48, v40, v2, v48 op_sel_hi:[1,0,1]
	v_pk_fma_f16 v49, v40, v2, v49 op_sel:[0,1,0]
	v_pk_fma_f16 v50, v40, v3, v50 op_sel_hi:[1,0,1]
	v_pk_fma_f16 v40, v40, v3, v45 op_sel:[0,1,0]
	ds_load_b128 v[0:3], v19 offset:272
	s_waitcnt lgkmcnt(3)
	v_pk_fma_f16 v51, v41, v4, v44 op_sel_hi:[1,0,1]
	v_pk_fma_f16 v46, v41, v4, v46 op_sel:[0,1,0]
	v_pk_fma_f16 v22, v41, v5, v22 op_sel_hi:[1,0,1]
	v_pk_fma_f16 v47, v41, v5, v47 op_sel:[0,1,0]
	v_pk_fma_f16 v48, v41, v6, v48 op_sel_hi:[1,0,1]
	v_pk_fma_f16 v49, v41, v6, v49 op_sel:[0,1,0]
	v_pk_fma_f16 v50, v41, v7, v50 op_sel_hi:[1,0,1]
	v_pk_fma_f16 v40, v41, v7, v40 op_sel:[0,1,0]
	ds_load_2addr_b32 v[44:45], v58 offset0:104 offset1:124
	ds_load_b128 v[4:7], v19 offset:288
	;; [unrolled: 21-line block ×3, first 2 shown]
	s_waitcnt lgkmcnt(3)
	v_pk_fma_f16 v41, v44, v4, v41 op_sel_hi:[1,0,1]
	v_pk_fma_f16 v42, v44, v4, v42 op_sel:[0,1,0]
	v_pk_fma_f16 v22, v44, v5, v22 op_sel_hi:[1,0,1]
	v_pk_fma_f16 v43, v44, v5, v51 op_sel:[0,1,0]
	;; [unrolled: 2-line block ×4, first 2 shown]
	ds_load_b128 v[4:7], v19 offset:336
	s_waitcnt lgkmcnt(3)
	v_pk_fma_f16 v51, v45, v36, v41 op_sel_hi:[1,0,1]
	v_pk_fma_f16 v36, v45, v36, v42 op_sel:[0,1,0]
	v_pk_fma_f16 v22, v45, v37, v22 op_sel_hi:[1,0,1]
	v_pk_fma_f16 v37, v45, v37, v43 op_sel:[0,1,0]
	;; [unrolled: 2-line block ×3, first 2 shown]
	ds_load_2addr_b32 v[48:49], v58 offset0:184 offset1:204
	ds_load_b128 v[40:43], v19 offset:352
	v_pk_fma_f16 v50, v45, v39, v50 op_sel_hi:[1,0,1]
	v_pk_fma_f16 v44, v45, v39, v44 op_sel:[0,1,0]
	s_waitcnt lgkmcnt(3)
	v_pk_fma_f16 v45, v46, v0, v51 op_sel_hi:[1,0,1]
	v_pk_fma_f16 v0, v46, v0, v36 op_sel:[0,1,0]
	v_pk_fma_f16 v22, v46, v1, v22 op_sel_hi:[1,0,1]
	v_pk_fma_f16 v1, v46, v1, v37 op_sel:[0,1,0]
	;; [unrolled: 2-line block ×3, first 2 shown]
	v_pk_fma_f16 v50, v46, v3, v50 op_sel_hi:[1,0,1]
	ds_load_b128 v[36:39], v19 offset:368
	v_pk_fma_f16 v3, v46, v3, v44 op_sel:[0,1,0]
	s_waitcnt lgkmcnt(3)
	v_pk_fma_f16 v44, v47, v4, v45 op_sel_hi:[1,0,1]
	v_pk_fma_f16 v4, v47, v4, v0 op_sel:[0,1,0]
	v_pk_fma_f16 v22, v47, v5, v22 op_sel_hi:[1,0,1]
	v_pk_fma_f16 v5, v47, v5, v1 op_sel:[0,1,0]
	;; [unrolled: 2-line block ×4, first 2 shown]
	s_waitcnt lgkmcnt(1)
	v_pk_fma_f16 v47, v48, v40, v44 op_sel_hi:[1,0,1]
	ds_load_2addr_b32 v[44:45], v58 offset0:224 offset1:244
	ds_load_b128 v[0:3], v19 offset:384
	v_pk_fma_f16 v40, v48, v40, v4 op_sel:[0,1,0]
	v_pk_fma_f16 v22, v48, v41, v22 op_sel_hi:[1,0,1]
	v_pk_fma_f16 v41, v48, v41, v5 op_sel:[0,1,0]
	v_pk_fma_f16 v46, v48, v42, v46 op_sel_hi:[1,0,1]
	;; [unrolled: 2-line block ×3, first 2 shown]
	v_pk_fma_f16 v43, v48, v43, v7 op_sel:[0,1,0]
	ds_load_b128 v[4:7], v19 offset:400
	s_waitcnt lgkmcnt(3)
	v_pk_fma_f16 v48, v49, v36, v47 op_sel_hi:[1,0,1]
	v_pk_fma_f16 v40, v49, v36, v40 op_sel:[0,1,0]
	v_pk_fma_f16 v22, v49, v37, v22 op_sel_hi:[1,0,1]
	v_pk_fma_f16 v41, v49, v37, v41 op_sel:[0,1,0]
	;; [unrolled: 2-line block ×4, first 2 shown]
	ds_load_2addr_b32 v[46:47], v20 offset0:8 offset1:28
	ds_load_b128 v[36:39], v19 offset:416
	s_waitcnt lgkmcnt(3)
	v_pk_fma_f16 v48, v44, v0, v48 op_sel_hi:[1,0,1]
	v_pk_fma_f16 v40, v44, v0, v40 op_sel:[0,1,0]
	v_pk_fma_f16 v22, v44, v1, v22 op_sel_hi:[1,0,1]
	v_pk_fma_f16 v41, v44, v1, v41 op_sel:[0,1,0]
	;; [unrolled: 2-line block ×4, first 2 shown]
	ds_load_b128 v[0:3], v19 offset:432
	s_waitcnt lgkmcnt(3)
	v_pk_fma_f16 v48, v45, v4, v48 op_sel_hi:[1,0,1]
	v_pk_fma_f16 v40, v45, v4, v40 op_sel:[0,1,0]
	v_pk_fma_f16 v22, v45, v5, v22 op_sel_hi:[1,0,1]
	v_pk_fma_f16 v41, v45, v5, v41 op_sel:[0,1,0]
	;; [unrolled: 2-line block ×4, first 2 shown]
	ds_load_2addr_b32 v[44:45], v20 offset0:48 offset1:68
	ds_load_b128 v[4:7], v19 offset:448
	s_waitcnt lgkmcnt(3)
	v_pk_fma_f16 v48, v46, v36, v48 op_sel_hi:[1,0,1]
	v_pk_fma_f16 v40, v46, v36, v40 op_sel:[0,1,0]
	v_pk_fma_f16 v22, v46, v37, v22 op_sel_hi:[1,0,1]
	v_pk_fma_f16 v41, v46, v37, v41 op_sel:[0,1,0]
	;; [unrolled: 2-line block ×4, first 2 shown]
	ds_load_b128 v[36:39], v19 offset:464
	s_waitcnt lgkmcnt(3)
	v_pk_fma_f16 v51, v47, v0, v48 op_sel_hi:[1,0,1]
	v_pk_fma_f16 v0, v47, v0, v40 op_sel:[0,1,0]
	v_pk_fma_f16 v22, v47, v1, v22 op_sel_hi:[1,0,1]
	v_pk_fma_f16 v1, v47, v1, v41 op_sel:[0,1,0]
	;; [unrolled: 2-line block ×3, first 2 shown]
	ds_load_2addr_b32 v[48:49], v20 offset0:88 offset1:108
	ds_load_b128 v[40:43], v19 offset:480
	v_pk_fma_f16 v20, v47, v3, v50 op_sel_hi:[1,0,1]
	v_pk_fma_f16 v46, v47, v3, v46 op_sel:[0,1,0]
	s_waitcnt lgkmcnt(3)
	v_pk_fma_f16 v47, v44, v4, v51 op_sel_hi:[1,0,1]
	v_pk_fma_f16 v4, v44, v4, v0 op_sel:[0,1,0]
	v_pk_fma_f16 v22, v44, v5, v22 op_sel_hi:[1,0,1]
	v_pk_fma_f16 v5, v44, v5, v1 op_sel:[0,1,0]
	ds_load_b128 v[0:3], v19 offset:496
	v_pk_fma_f16 v50, v44, v6, v58 op_sel_hi:[1,0,1]
	v_pk_fma_f16 v6, v44, v6, v59 op_sel:[0,1,0]
	v_pk_fma_f16 v19, v44, v7, v20 op_sel_hi:[1,0,1]
	v_pk_fma_f16 v7, v44, v7, v46 op_sel:[0,1,0]
	s_waitcnt lgkmcnt(3)
	v_pk_fma_f16 v20, v45, v36, v47 op_sel_hi:[1,0,1]
	v_pk_fma_f16 v4, v45, v36, v4 op_sel:[0,1,0]
	v_pk_fma_f16 v22, v45, v37, v22 op_sel_hi:[1,0,1]
	v_pk_fma_f16 v5, v45, v37, v5 op_sel:[0,1,0]
	v_pk_fma_f16 v36, v45, v38, v50 op_sel_hi:[1,0,1]
	v_mov_b32_e32 v50, v17
	v_pk_fma_f16 v6, v45, v38, v6 op_sel:[0,1,0]
	v_pk_fma_f16 v19, v45, v39, v19 op_sel_hi:[1,0,1]
	v_pk_fma_f16 v7, v45, v39, v7 op_sel:[0,1,0]
	s_waitcnt lgkmcnt(1)
	v_pk_fma_f16 v20, v48, v40, v20 op_sel_hi:[1,0,1]
	v_pk_fma_f16 v4, v48, v40, v4 op_sel:[0,1,0]
	v_pk_fma_f16 v22, v48, v41, v22 op_sel_hi:[1,0,1]
	v_pk_fma_f16 v5, v48, v41, v5 op_sel:[0,1,0]
	;; [unrolled: 2-line block ×4, first 2 shown]
	s_waitcnt lgkmcnt(0)
	v_pk_fma_f16 v43, v49, v0, v20 op_sel_hi:[1,0,1]
	v_pk_fma_f16 v42, v49, v0, v4 op_sel:[0,1,0]
	v_pk_fma_f16 v41, v49, v1, v22 op_sel_hi:[1,0,1]
	v_pk_fma_f16 v40, v49, v1, v5 op_sel:[0,1,0]
	;; [unrolled: 2-line block ×4, first 2 shown]
	v_dual_mov_b32 v45, v62 :: v_dual_mov_b32 v0, v8
	v_mov_b32_e32 v44, v63
	v_dual_mov_b32 v46, v61 :: v_dual_mov_b32 v47, v60
	v_mov_b32_e32 v2, v10
	;; [unrolled: 2-line block ×4, first 2 shown]
	v_mov_b32_e32 v3, v11
	v_mov_b32_e32 v5, v13
	v_dual_mov_b32 v7, v15 :: v_dual_mov_b32 v8, v18
	s_barrier
	buffer_gl0_inv
.LBB52_103:
	v_cmp_lt_i32_e32 vcc_lo, v57, v52
	s_cmp_eq_u64 s[24:25], 0
	s_cselect_b32 s3, -1, 0
	s_cmp_lg_u32 s14, 0
	v_cndmask_b32_e32 v9, v8, v57, vcc_lo
	v_cmp_lt_i32_e32 vcc_lo, v56, v52
	s_cselect_b32 s4, -1, 0
	s_delay_alu instid0(SALU_CYCLE_1) | instskip(NEXT) | instid1(VALU_DEP_2)
	s_or_b32 s3, s4, s3
	v_lshlrev_b32_e32 v9, 2, v9
	ds_bpermute_b32 v12, v9, v49
	s_waitcnt lgkmcnt(0)
	v_add_f32_e32 v12, v49, v12
	ds_bpermute_b32 v14, v9, v47
	ds_bpermute_b32 v16, v9, v45
	;; [unrolled: 1-line block ×3, first 2 shown]
	v_cndmask_b32_e32 v17, v8, v56, vcc_lo
	ds_bpermute_b32 v11, v9, v50
	ds_bpermute_b32 v13, v9, v48
	;; [unrolled: 1-line block ×4, first 2 shown]
	v_cmp_lt_i32_e32 vcc_lo, v55, v52
	s_waitcnt lgkmcnt(6)
	v_dual_add_f32 v14, v47, v14 :: v_dual_lshlrev_b32 v17, 2, v17
	s_waitcnt lgkmcnt(5)
	v_add_f32_e32 v16, v45, v16
	s_waitcnt lgkmcnt(4)
	v_add_f32_e32 v10, v51, v10
	ds_bpermute_b32 v20, v17, v12
	s_waitcnt lgkmcnt(4)
	v_add_f32_e32 v11, v50, v11
	ds_bpermute_b32 v18, v17, v10
	ds_bpermute_b32 v22, v17, v14
	s_waitcnt lgkmcnt(3)
	v_add_f32_e32 v9, v44, v9
	ds_bpermute_b32 v44, v17, v16
	v_add_f32_e32 v13, v48, v13
	s_waitcnt lgkmcnt(3)
	v_dual_add_f32 v15, v46, v15 :: v_dual_add_f32 v12, v12, v20
	ds_bpermute_b32 v19, v17, v11
	s_waitcnt lgkmcnt(3)
	v_dual_add_f32 v10, v10, v18 :: v_dual_cndmask_b32 v45, v8, v55
	ds_bpermute_b32 v21, v17, v13
	s_waitcnt lgkmcnt(3)
	v_add_f32_e32 v14, v14, v22
	s_waitcnt lgkmcnt(2)
	v_add_f32_e32 v16, v16, v44
	ds_bpermute_b32 v23, v17, v15
	v_lshlrev_b32_e32 v45, 2, v45
	ds_bpermute_b32 v17, v17, v9
	v_cmp_lt_i32_e32 vcc_lo, v54, v52
	s_waitcnt lgkmcnt(3)
	v_add_f32_e32 v11, v11, v19
	ds_bpermute_b32 v19, v45, v12
	s_waitcnt lgkmcnt(2)
	v_add_f32_e32 v15, v15, v23
	s_waitcnt lgkmcnt(0)
	v_dual_add_f32 v9, v9, v17 :: v_dual_add_f32 v12, v12, v19
	ds_bpermute_b32 v17, v45, v10
	ds_bpermute_b32 v23, v45, v16
	v_add_f32_e32 v13, v13, v21
	ds_bpermute_b32 v21, v45, v14
	ds_bpermute_b32 v22, v45, v15
	;; [unrolled: 1-line block ×3, first 2 shown]
	s_waitcnt lgkmcnt(4)
	v_add_f32_e32 v10, v10, v17
	s_waitcnt lgkmcnt(3)
	v_add_f32_e32 v16, v16, v23
	ds_bpermute_b32 v20, v45, v13
	s_waitcnt lgkmcnt(3)
	v_add_f32_e32 v14, v14, v21
	ds_bpermute_b32 v18, v45, v11
	v_cndmask_b32_e32 v45, v8, v54, vcc_lo
	v_cmp_lt_i32_e32 vcc_lo, v53, v52
	s_delay_alu instid0(VALU_DEP_2)
	v_lshlrev_b32_e32 v45, 2, v45
	v_cndmask_b32_e32 v8, v8, v53, vcc_lo
	s_and_b32 vcc_lo, exec_lo, s3
	ds_bpermute_b32 v19, v45, v12
	v_lshlrev_b32_e32 v8, 2, v8
	s_waitcnt lgkmcnt(0)
	v_add_f32_e32 v12, v12, v19
	ds_bpermute_b32 v17, v45, v10
	ds_bpermute_b32 v21, v45, v14
	;; [unrolled: 1-line block ×3, first 2 shown]
	v_add_f32_e32 v11, v11, v18
	ds_bpermute_b32 v19, v8, v12
	v_add_f32_e32 v9, v9, v44
	v_add_f32_e32 v13, v13, v20
	ds_bpermute_b32 v44, v45, v9
	s_waitcnt lgkmcnt(4)
	v_add_f32_e32 v10, v10, v17
	s_waitcnt lgkmcnt(3)
	v_add_f32_e32 v14, v14, v21
	;; [unrolled: 2-line block ×3, first 2 shown]
	ds_bpermute_b32 v18, v45, v11
	ds_bpermute_b32 v20, v45, v13
	;; [unrolled: 1-line block ×4, first 2 shown]
	s_waitcnt lgkmcnt(4)
	v_add_f32_e32 v17, v9, v44
	ds_bpermute_b32 v9, v8, v10
	v_add_f32_e32 v15, v15, v22
	ds_bpermute_b32 v44, v8, v17
	ds_bpermute_b32 v22, v45, v15
	s_waitcnt lgkmcnt(6)
	v_add_f32_e32 v11, v11, v18
	s_waitcnt lgkmcnt(5)
	v_add_f32_e32 v13, v13, v20
	ds_bpermute_b32 v18, v8, v11
	ds_bpermute_b32 v20, v8, v13
	s_waitcnt lgkmcnt(2)
	v_add_f32_e32 v15, v15, v22
	ds_bpermute_b32 v22, v8, v15
	v_add_f32_e32 v8, v10, v9
	v_add_f32_e32 v10, v12, v19
	v_add_f32_e32 v12, v14, v21
	s_waitcnt lgkmcnt(2)
	v_dual_add_f32 v14, v16, v23 :: v_dual_add_f32 v9, v11, v18
	s_waitcnt lgkmcnt(1)
	v_add_f32_e32 v11, v13, v20
	s_waitcnt lgkmcnt(0)
	v_add_f32_e32 v13, v15, v22
	v_add_f32_e32 v15, v17, v44
	s_cbranch_vccnz .LBB52_106
; %bb.104:
	s_lshl_b64 s[4:5], s[22:23], 2
	v_dual_mov_b32 v16, 0 :: v_dual_max_f32 v17, v0, v0
	s_add_u32 s4, s24, s4
	s_addc_u32 s5, s25, s5
	v_dual_max_f32 v18, v1, v1 :: v_dual_max_f32 v19, v2, v2
	global_load_b32 v16, v16, s[4:5]
	v_max_f32_e32 v20, v3, v3
	v_dual_max_f32 v22, v4, v4 :: v_dual_max_f32 v23, v5, v5
	v_dual_max_f32 v50, v6, v6 :: v_dual_max_f32 v51, v7, v7
	s_waitcnt vmcnt(0)
	v_max_f32_e32 v21, v16, v16
	s_delay_alu instid0(VALU_DEP_1) | instskip(NEXT) | instid1(VALU_DEP_1)
	v_max_f32_e32 v46, v19, v21
	v_dual_max_f32 v44, v17, v21 :: v_dual_sub_f32 v19, v16, v46
	s_delay_alu instid0(VALU_DEP_1) | instskip(SKIP_2) | instid1(VALU_DEP_2)
	v_sub_f32_e32 v17, v16, v44
	v_dual_max_f32 v47, v20, v21 :: v_dual_sub_f32 v2, v2, v46
	v_dual_max_f32 v45, v18, v21 :: v_dual_sub_f32 v0, v0, v44
	;; [unrolled: 1-line block ×4, first 2 shown]
	v_max_f32_e32 v50, v50, v21
	s_delay_alu instid0(VALU_DEP_3) | instskip(SKIP_2) | instid1(VALU_DEP_3)
	v_dual_max_f32 v51, v51, v21 :: v_dual_sub_f32 v4, v4, v48
	v_sub_f32_e32 v18, v16, v45
	v_sub_f32_e32 v21, v16, v48
	v_dual_sub_f32 v5, v5, v49 :: v_dual_sub_f32 v52, v16, v51
	v_sub_f32_e32 v23, v16, v50
	v_dual_sub_f32 v7, v7, v51 :: v_dual_sub_f32 v22, v16, v49
	v_dual_mul_f32 v55, 0x3fb8aa3b, v18 :: v_dual_mul_f32 v16, 0x3fb8aa3b, v0
	v_dual_sub_f32 v1, v1, v45 :: v_dual_sub_f32 v6, v6, v50
	v_dual_mul_f32 v53, 0x3fb8aa3b, v17 :: v_dual_mul_f32 v56, 0x3fb8aa3b, v2
	s_delay_alu instid0(VALU_DEP_3) | instskip(SKIP_1) | instid1(VALU_DEP_4)
	v_fma_f32 v68, 0x3fb8aa3b, v0, -v16
	v_rndne_f32_e32 v69, v16
	v_dual_mul_f32 v54, 0x3fb8aa3b, v1 :: v_dual_mul_f32 v57, 0x3fb8aa3b, v19
	s_delay_alu instid0(VALU_DEP_4)
	v_fma_f32 v70, 0x3fb8aa3b, v17, -v53
	v_rndne_f32_e32 v71, v53
	v_rndne_f32_e32 v75, v55
	v_fmac_f32_e32 v68, 0x32a5705f, v0
	v_sub_f32_e32 v16, v16, v69
	v_dual_mul_f32 v58, 0x3fb8aa3b, v3 :: v_dual_mul_f32 v59, 0x3fb8aa3b, v20
	v_dual_mul_f32 v60, 0x3fb8aa3b, v4 :: v_dual_mul_f32 v61, 0x3fb8aa3b, v21
	v_fma_f32 v72, 0x3fb8aa3b, v1, -v54
	v_rndne_f32_e32 v73, v54
	v_fma_f32 v74, 0x3fb8aa3b, v18, -v55
	v_fma_f32 v78, 0x3fb8aa3b, v19, -v57
	v_rndne_f32_e32 v79, v57
	v_dual_fmac_f32 v70, 0x32a5705f, v17 :: v_dual_sub_f32 v53, v53, v71
	v_dual_sub_f32 v55, v55, v75 :: v_dual_add_f32 v16, v16, v68
	v_dual_mul_f32 v62, 0x3fb8aa3b, v5 :: v_dual_mul_f32 v63, 0x3fb8aa3b, v22
	v_rndne_f32_e32 v83, v59
	v_rndne_f32_e32 v87, v61
	v_fmac_f32_e32 v72, 0x32a5705f, v1
	v_dual_sub_f32 v54, v54, v73 :: v_dual_sub_f32 v57, v57, v79
	v_dual_fmac_f32 v78, 0x32a5705f, v19 :: v_dual_add_f32 v53, v53, v70
	v_exp_f32_e32 v16, v16
	v_dual_mul_f32 v64, 0x3fb8aa3b, v6 :: v_dual_mul_f32 v65, 0x3fb8aa3b, v23
	v_dual_mul_f32 v66, 0x3fb8aa3b, v7 :: v_dual_mul_f32 v67, 0x3fb8aa3b, v52
	v_fma_f32 v76, 0x3fb8aa3b, v2, -v56
	v_rndne_f32_e32 v77, v56
	v_fma_f32 v80, 0x3fb8aa3b, v3, -v58
	v_fma_f32 v82, 0x3fb8aa3b, v20, -v59
	;; [unrolled: 1-line block ×3, first 2 shown]
	v_rndne_f32_e32 v91, v63
	v_cvt_i32_f32_e32 v69, v69
	v_dual_fmac_f32 v74, 0x32a5705f, v18 :: v_dual_sub_f32 v59, v59, v83
	v_dual_sub_f32 v61, v61, v87 :: v_dual_add_f32 v54, v54, v72
	v_exp_f32_e32 v53, v53
	v_fma_f32 v90, 0x3fb8aa3b, v22, -v63
	v_rndne_f32_e32 v95, v65
	v_rndne_f32_e32 v99, v67
	v_cvt_i32_f32_e32 v71, v71
	v_fmac_f32_e32 v76, 0x32a5705f, v2
	v_dual_sub_f32 v56, v56, v77 :: v_dual_sub_f32 v63, v63, v91
	v_dual_fmac_f32 v80, 0x32a5705f, v3 :: v_dual_add_f32 v55, v55, v74
	v_exp_f32_e32 v54, v54
	v_ldexp_f32 v16, v16, v69
	v_cmp_ngt_f32_e32 vcc_lo, 0xc2ce8ed0, v0
	v_rndne_f32_e32 v81, v58
	v_fma_f32 v94, 0x3fb8aa3b, v23, -v65
	v_fma_f32 v98, 0x3fb8aa3b, v52, -v67
	v_cvt_i32_f32_e32 v73, v73
	v_sub_f32_e32 v65, v65, v95
	v_dual_sub_f32 v67, v67, v99 :: v_dual_add_f32 v56, v56, v76
	v_exp_f32_e32 v55, v55
	v_ldexp_f32 v53, v53, v71
	v_cndmask_b32_e32 v16, 0, v16, vcc_lo
	v_cmp_ngt_f32_e32 vcc_lo, 0xc2ce8ed0, v17
	v_cvt_i32_f32_e32 v75, v75
	v_dual_sub_f32 v58, v58, v81 :: v_dual_add_f32 v57, v57, v78
	v_dual_fmac_f32 v90, 0x32a5705f, v22 :: v_dual_cndmask_b32 v53, 0, v53
	v_fmac_f32_e32 v94, 0x32a5705f, v23
	v_exp_f32_e32 v56, v56
	v_ldexp_f32 v54, v54, v73
	v_cmp_ngt_f32_e32 vcc_lo, 0xc2ce8ed0, v1
	v_fma_f32 v84, 0x3fb8aa3b, v4, -v60
	v_rndne_f32_e32 v85, v60
	v_rndne_f32_e32 v89, v62
	v_cvt_i32_f32_e32 v77, v77
	v_dual_fmac_f32 v86, 0x32a5705f, v21 :: v_dual_add_f32 v65, v65, v94
	v_fmac_f32_e32 v82, 0x32a5705f, v20
	v_add_f32_e32 v58, v58, v80
	v_exp_f32_e32 v57, v57
	v_ldexp_f32 v55, v55, v75
	v_cndmask_b32_e32 v54, 0, v54, vcc_lo
	v_cmp_ngt_f32_e32 vcc_lo, 0xc2ce8ed0, v18
	v_fma_f32 v88, 0x3fb8aa3b, v5, -v62
	v_cvt_i32_f32_e32 v79, v79
	v_dual_sub_f32 v60, v60, v85 :: v_dual_add_f32 v63, v63, v90
	v_dual_sub_f32 v62, v62, v89 :: v_dual_cndmask_b32 v55, 0, v55
	v_dual_add_f32 v61, v61, v86 :: v_dual_fmac_f32 v84, 0x32a5705f, v4
	v_add_f32_e32 v59, v59, v82
	v_exp_f32_e32 v58, v58
	v_ldexp_f32 v56, v56, v77
	v_cmp_ngt_f32_e32 vcc_lo, 0xc2ce8ed0, v2
	v_fma_f32 v92, 0x3fb8aa3b, v6, -v64
	v_cvt_i32_f32_e32 v81, v81
	v_add_f32_e32 v60, v60, v84
	v_exp_f32_e32 v59, v59
	v_ldexp_f32 v57, v57, v79
	v_cndmask_b32_e32 v56, 0, v56, vcc_lo
	v_cmp_ngt_f32_e32 vcc_lo, 0xc2ce8ed0, v19
	v_cvt_i32_f32_e32 v83, v83
	v_fmac_f32_e32 v92, 0x32a5705f, v6
	v_fmac_f32_e32 v98, 0x32a5705f, v52
	;; [unrolled: 1-line block ×3, first 2 shown]
	v_exp_f32_e32 v60, v60
	v_ldexp_f32 v58, v58, v81
	v_cndmask_b32_e32 v57, 0, v57, vcc_lo
	v_add_f32_e32 v67, v67, v98
	v_cmp_ngt_f32_e32 vcc_lo, 0xc2ce8ed0, v3
	v_rndne_f32_e32 v93, v64
	v_cvt_i32_f32_e32 v85, v85
	v_add_f32_e32 v62, v62, v88
	v_exp_f32_e32 v61, v61
	v_ldexp_f32 v59, v59, v83
	v_cndmask_b32_e32 v58, 0, v58, vcc_lo
	v_cmp_ngt_f32_e32 vcc_lo, 0xc2ce8ed0, v20
	v_cvt_i32_f32_e32 v87, v87
	v_sub_f32_e32 v64, v64, v93
	v_exp_f32_e32 v62, v62
	v_ldexp_f32 v60, v60, v85
	v_cndmask_b32_e32 v59, 0, v59, vcc_lo
	v_cmp_ngt_f32_e32 vcc_lo, 0xc2ce8ed0, v4
	v_cvt_i32_f32_e32 v89, v89
	v_add_f32_e32 v64, v64, v92
	v_exp_f32_e32 v63, v63
	v_ldexp_f32 v61, v61, v87
	v_cndmask_b32_e32 v60, 0, v60, vcc_lo
	v_cmp_ngt_f32_e32 vcc_lo, 0xc2ce8ed0, v21
	v_cvt_i32_f32_e32 v91, v91
	v_exp_f32_e32 v64, v64
	v_ldexp_f32 v62, v62, v89
	v_rndne_f32_e32 v97, v66
	v_cndmask_b32_e32 v61, 0, v61, vcc_lo
	v_cmp_ngt_f32_e32 vcc_lo, 0xc2ce8ed0, v5
	v_cvt_i32_f32_e32 v93, v93
	v_exp_f32_e32 v65, v65
	v_ldexp_f32 v63, v63, v91
	v_fma_f32 v96, 0x3fb8aa3b, v7, -v66
	v_cndmask_b32_e32 v62, 0, v62, vcc_lo
	v_cmp_ngt_f32_e32 vcc_lo, 0xc2ce8ed0, v22
	v_cvt_i32_f32_e32 v95, v95
	v_sub_f32_e32 v66, v66, v97
	v_ldexp_f32 v64, v64, v93
	v_cvt_i32_f32_e32 v97, v97
	v_cndmask_b32_e32 v63, 0, v63, vcc_lo
	v_cmp_ngt_f32_e32 vcc_lo, 0xc2ce8ed0, v6
	v_ldexp_f32 v65, v65, v95
	v_exp_f32_e32 v67, v67
	v_cvt_i32_f32_e32 v99, v99
	v_cndmask_b32_e32 v64, 0, v64, vcc_lo
	v_cmp_ngt_f32_e32 vcc_lo, 0xc2ce8ed0, v23
	v_dual_fmac_f32 v96, 0x32a5705f, v7 :: v_dual_cndmask_b32 v65, 0, v65
	s_delay_alu instid0(VALU_DEP_1) | instskip(SKIP_1) | instid1(TRANS32_DEP_1)
	v_add_f32_e32 v66, v66, v96
	v_cmp_ngt_f32_e32 vcc_lo, 0xc2ce8ed0, v7
	v_ldexp_f32 v67, v67, v99
	s_delay_alu instid0(VALU_DEP_3) | instskip(SKIP_2) | instid1(VALU_DEP_1)
	v_exp_f32_e32 v66, v66
	s_waitcnt_depctr 0xfff
	v_ldexp_f32 v66, v66, v97
	v_cndmask_b32_e32 v66, 0, v66, vcc_lo
	v_cmp_ngt_f32_e32 vcc_lo, 0xc2ce8ed0, v52
	v_cndmask_b32_e32 v67, 0, v67, vcc_lo
	v_cmp_nlt_f32_e32 vcc_lo, 0x42b17218, v0
	v_cndmask_b32_e32 v0, 0x7f800000, v16, vcc_lo
	v_cmp_nlt_f32_e32 vcc_lo, 0x42b17218, v17
	v_cndmask_b32_e32 v16, 0x7f800000, v53, vcc_lo
	v_cmp_nlt_f32_e32 vcc_lo, 0x42b17218, v1
	s_delay_alu instid0(VALU_DEP_2) | instskip(SKIP_4) | instid1(VALU_DEP_3)
	v_dual_fmac_f32 v16, v8, v0 :: v_dual_cndmask_b32 v1, 0x7f800000, v54
	v_cmp_nlt_f32_e32 vcc_lo, 0x42b17218, v18
	v_cvt_f16_f32_e32 v0, v0
	v_cndmask_b32_e32 v17, 0x7f800000, v55, vcc_lo
	v_cmp_nlt_f32_e32 vcc_lo, 0x42b17218, v2
	v_pk_mul_f16 v43, v43, v0 op_sel_hi:[1,0]
	s_delay_alu instid0(VALU_DEP_3) | instskip(SKIP_4) | instid1(VALU_DEP_3)
	v_dual_fmac_f32 v17, v9, v1 :: v_dual_cndmask_b32 v2, 0x7f800000, v56
	v_cmp_nlt_f32_e32 vcc_lo, 0x42b17218, v19
	v_cvt_f16_f32_e32 v1, v1
	v_cndmask_b32_e32 v18, 0x7f800000, v57, vcc_lo
	v_cmp_nlt_f32_e32 vcc_lo, 0x42b17218, v3
	v_pk_mul_f16 v42, v42, v1 op_sel_hi:[1,0]
	s_delay_alu instid0(VALU_DEP_3)
	v_fmac_f32_e32 v18, v10, v2
	v_cndmask_b32_e32 v3, 0x7f800000, v58, vcc_lo
	v_cmp_nlt_f32_e32 vcc_lo, 0x42b17218, v20
	v_cvt_f16_f32_e32 v2, v2
	v_cndmask_b32_e32 v19, 0x7f800000, v59, vcc_lo
	v_cmp_nlt_f32_e32 vcc_lo, 0x42b17218, v4
	s_delay_alu instid0(VALU_DEP_3) | instskip(NEXT) | instid1(VALU_DEP_3)
	v_pk_mul_f16 v41, v41, v2 op_sel_hi:[1,0]
	v_dual_fmac_f32 v19, v11, v3 :: v_dual_cndmask_b32 v4, 0x7f800000, v60
	v_cmp_nlt_f32_e32 vcc_lo, 0x42b17218, v21
	v_cvt_f16_f32_e32 v3, v3
	v_cndmask_b32_e32 v20, 0x7f800000, v61, vcc_lo
	v_cmp_nlt_f32_e32 vcc_lo, 0x42b17218, v5
	s_delay_alu instid0(VALU_DEP_3) | instskip(NEXT) | instid1(VALU_DEP_3)
	v_pk_mul_f16 v40, v40, v3 op_sel_hi:[1,0]
	v_dual_fmac_f32 v20, v12, v4 :: v_dual_cndmask_b32 v5, 0x7f800000, v62
	;; [unrolled: 7-line block ×3, first 2 shown]
	v_cmp_nlt_f32_e32 vcc_lo, 0x42b17218, v23
	v_cvt_f16_f32_e32 v5, v5
	v_cndmask_b32_e32 v22, 0x7f800000, v65, vcc_lo
	v_cmp_nlt_f32_e32 vcc_lo, 0x42b17218, v7
	s_delay_alu instid0(VALU_DEP_3) | instskip(NEXT) | instid1(VALU_DEP_3)
	v_pk_mul_f16 v38, v38, v5 op_sel_hi:[1,0]
	v_fmac_f32_e32 v22, v14, v6
	v_cndmask_b32_e32 v7, 0x7f800000, v66, vcc_lo
	v_cmp_nlt_f32_e32 vcc_lo, 0x42b17218, v52
	v_cvt_f16_f32_e32 v6, v6
	v_cndmask_b32_e32 v23, 0x7f800000, v67, vcc_lo
	s_delay_alu instid0(VALU_DEP_2) | instskip(NEXT) | instid1(VALU_DEP_2)
	v_pk_mul_f16 v37, v37, v6 op_sel_hi:[1,0]
	v_fmac_f32_e32 v23, v15, v7
	v_cvt_f16_f32_e32 v7, v7
	v_dual_mov_b32 v8, v16 :: v_dual_mov_b32 v9, v17
	v_dual_mov_b32 v10, v18 :: v_dual_mov_b32 v11, v19
	s_delay_alu instid0(VALU_DEP_3)
	v_pk_mul_f16 v36, v36, v7 op_sel_hi:[1,0]
	v_dual_mov_b32 v0, v44 :: v_dual_mov_b32 v7, v51
	v_dual_mov_b32 v12, v20 :: v_dual_mov_b32 v13, v21
	v_dual_mov_b32 v14, v22 :: v_dual_mov_b32 v15, v23
	v_dual_mov_b32 v1, v45 :: v_dual_mov_b32 v2, v46
	v_dual_mov_b32 v3, v47 :: v_dual_mov_b32 v4, v48
	v_dual_mov_b32 v5, v49 :: v_dual_mov_b32 v6, v50
	s_mov_b32 s3, exec_lo
	v_cmpx_gt_i32_e64 s38, v26
	s_cbranch_execnz .LBB52_107
.LBB52_105:
	s_nop 0
	s_sendmsg sendmsg(MSG_DEALLOC_VGPRS)
	s_endpgm
.LBB52_106:
	v_dual_mov_b32 v16, v8 :: v_dual_mov_b32 v17, v9
	v_dual_mov_b32 v18, v10 :: v_dual_mov_b32 v19, v11
	;; [unrolled: 1-line block ×4, first 2 shown]
	s_mov_b32 s3, exec_lo
	v_cmpx_gt_i32_e64 s38, v26
	s_cbranch_execz .LBB52_105
.LBB52_107:
	s_load_b32 s0, s[0:1], 0xd4
	v_mov_b32_e32 v44, 1.0
	s_waitcnt lgkmcnt(0)
	s_cmp_lg_u32 s0, 1
	s_cselect_b32 s3, -1, 0
	s_cmp_eq_u32 s0, 1
	s_cselect_b32 s4, -1, 0
	s_and_b32 vcc_lo, exec_lo, s3
	s_cbranch_vccnz .LBB52_109
; %bb.108:
	v_div_scale_f32 v26, null, v16, v16, 1.0
	s_delay_alu instid0(VALU_DEP_1) | instskip(SKIP_2) | instid1(VALU_DEP_1)
	v_rcp_f32_e32 v44, v26
	s_waitcnt_depctr 0xfff
	v_fma_f32 v45, -v26, v44, 1.0
	v_fmac_f32_e32 v44, v45, v44
	v_div_scale_f32 v45, vcc_lo, 1.0, v16, 1.0
	s_delay_alu instid0(VALU_DEP_1) | instskip(NEXT) | instid1(VALU_DEP_1)
	v_mul_f32_e32 v46, v45, v44
	v_fma_f32 v47, -v26, v46, v45
	s_delay_alu instid0(VALU_DEP_1) | instskip(NEXT) | instid1(VALU_DEP_1)
	v_fmac_f32_e32 v46, v47, v44
	v_fma_f32 v26, -v26, v46, v45
	s_delay_alu instid0(VALU_DEP_1) | instskip(NEXT) | instid1(VALU_DEP_1)
	v_div_fmas_f32 v26, v26, v44, v46
	v_div_fixup_f32 v44, v26, v16, 1.0
.LBB52_109:
	s_mul_i32 s1, s46, s38
	s_delay_alu instid0(SALU_CYCLE_1) | instskip(NEXT) | instid1(SALU_CYCLE_1)
	s_add_i32 s1, s1, s33
	v_add_nc_u32_e32 v16, s1, v25
	s_delay_alu instid0(VALU_DEP_1) | instskip(NEXT) | instid1(VALU_DEP_1)
	v_mad_u64_u32 v[45:46], null, v16, s39, s[22:23]
	v_mad_u64_u32 v[25:26], null, s0, v45, s[14:15]
	s_and_saveexec_b32 s5, s2
	s_cbranch_execz .LBB52_111
; %bb.110:
	s_delay_alu instid0(VALU_DEP_1) | instskip(SKIP_3) | instid1(VALU_DEP_3)
	v_mad_u64_u32 v[45:46], null, v25, 40, v[24:25]
	v_cvt_f32_f16_e32 v26, v43
	v_mov_b32_e32 v46, 0
	v_lshrrev_b32_e32 v16, 16, v43
	v_mul_f32_e32 v43, v44, v26
	s_delay_alu instid0(VALU_DEP_3) | instskip(NEXT) | instid1(VALU_DEP_3)
	v_lshlrev_b64 v[45:46], 2, v[45:46]
	v_cvt_f32_f16_e32 v16, v16
	s_delay_alu instid0(VALU_DEP_1) | instskip(NEXT) | instid1(VALU_DEP_3)
	v_mul_f32_e32 v44, v44, v16
	v_add_co_u32 v45, vcc_lo, s28, v45
	s_delay_alu instid0(VALU_DEP_4)
	v_add_co_ci_u32_e32 v46, vcc_lo, s29, v46, vcc_lo
	global_store_b64 v[45:46], v[43:44], off
.LBB52_111:
	s_or_b32 exec_lo, exec_lo, s5
	v_cmp_eq_u32_e32 vcc_lo, 0, v34
	s_and_b32 s3, vcc_lo, s3
	s_delay_alu instid0(SALU_CYCLE_1)
	s_and_saveexec_b32 s5, s3
	s_cbranch_execz .LBB52_113
; %bb.112:
	v_ashrrev_i32_e32 v26, 31, v25
	v_mov_b32_e32 v43, v0
	v_mov_b32_e32 v44, v8
	s_delay_alu instid0(VALU_DEP_3) | instskip(NEXT) | instid1(VALU_DEP_1)
	v_lshlrev_b64 v[25:26], 3, v[25:26]
	v_add_co_u32 v25, vcc_lo, s30, v25
	s_delay_alu instid0(VALU_DEP_2)
	v_add_co_ci_u32_e32 v26, vcc_lo, s31, v26, vcc_lo
	global_store_b64 v[25:26], v[43:44], off
.LBB52_113:
	s_or_b32 exec_lo, exec_lo, s5
	v_cmp_gt_i32_e32 vcc_lo, s38, v35
	s_and_b32 exec_lo, exec_lo, vcc_lo
	s_cbranch_execz .LBB52_105
; %bb.114:
	v_cndmask_b32_e64 v25, 0, 1, s4
	v_mov_b32_e32 v0, 1.0
	s_and_not1_b32 vcc_lo, exec_lo, s4
	s_cbranch_vccnz .LBB52_116
; %bb.115:
	v_div_scale_f32 v0, null, v17, v17, 1.0
	s_delay_alu instid0(VALU_DEP_1) | instskip(SKIP_2) | instid1(VALU_DEP_1)
	v_rcp_f32_e32 v8, v0
	s_waitcnt_depctr 0xfff
	v_fma_f32 v16, -v0, v8, 1.0
	v_fmac_f32_e32 v8, v16, v8
	v_div_scale_f32 v16, vcc_lo, 1.0, v17, 1.0
	s_delay_alu instid0(VALU_DEP_1) | instskip(NEXT) | instid1(VALU_DEP_1)
	v_mul_f32_e32 v26, v16, v8
	v_fma_f32 v34, -v0, v26, v16
	s_delay_alu instid0(VALU_DEP_1) | instskip(NEXT) | instid1(VALU_DEP_1)
	v_fmac_f32_e32 v26, v34, v8
	v_fma_f32 v0, -v0, v26, v16
	s_delay_alu instid0(VALU_DEP_1) | instskip(NEXT) | instid1(VALU_DEP_1)
	v_div_fmas_f32 v0, v0, v8, v26
	v_div_fixup_f32 v0, v0, v17, 1.0
.LBB52_116:
	v_add_nc_u32_e32 v8, s1, v33
	s_delay_alu instid0(VALU_DEP_1) | instskip(NEXT) | instid1(VALU_DEP_1)
	v_mad_u64_u32 v[33:34], null, v8, s39, s[22:23]
	v_mad_u64_u32 v[16:17], null, s0, v33, s[14:15]
	s_and_saveexec_b32 s4, s2
	s_cbranch_execz .LBB52_118
; %bb.117:
	v_lshrrev_b32_e32 v8, 16, v42
	s_delay_alu instid0(VALU_DEP_2) | instskip(SKIP_1) | instid1(VALU_DEP_3)
	v_mad_u64_u32 v[33:34], null, v16, 40, v[24:25]
	v_cvt_f32_f16_e32 v17, v42
	v_cvt_f32_f16_e32 v8, v8
	v_mov_b32_e32 v34, 0
	s_delay_alu instid0(VALU_DEP_3) | instskip(NEXT) | instid1(VALU_DEP_3)
	v_mul_f32_e32 v42, v0, v17
	v_mul_f32_e32 v43, v0, v8
	s_delay_alu instid0(VALU_DEP_3) | instskip(NEXT) | instid1(VALU_DEP_1)
	v_lshlrev_b64 v[33:34], 2, v[33:34]
	v_add_co_u32 v33, vcc_lo, s28, v33
	s_delay_alu instid0(VALU_DEP_2)
	v_add_co_ci_u32_e32 v34, vcc_lo, s29, v34, vcc_lo
	global_store_b64 v[33:34], v[42:43], off
.LBB52_118:
	s_or_b32 exec_lo, exec_lo, s4
	s_and_saveexec_b32 s4, s3
	s_cbranch_execz .LBB52_120
; %bb.119:
	s_delay_alu instid0(VALU_DEP_1) | instskip(SKIP_1) | instid1(VALU_DEP_2)
	v_ashrrev_i32_e32 v17, 31, v16
	v_mov_b32_e32 v8, v1
	v_lshlrev_b64 v[16:17], 3, v[16:17]
	s_delay_alu instid0(VALU_DEP_1) | instskip(NEXT) | instid1(VALU_DEP_2)
	v_add_co_u32 v16, vcc_lo, s30, v16
	v_add_co_ci_u32_e32 v17, vcc_lo, s31, v17, vcc_lo
	global_store_b64 v[16:17], v[8:9], off
.LBB52_120:
	s_or_b32 exec_lo, exec_lo, s4
	v_add_nc_u32_e32 v0, s33, v32
	s_delay_alu instid0(VALU_DEP_1)
	v_cmp_gt_i32_e32 vcc_lo, s38, v0
	s_and_b32 exec_lo, exec_lo, vcc_lo
	s_cbranch_execz .LBB52_105
; %bb.121:
	v_cmp_ne_u32_e32 vcc_lo, 1, v25
	v_mov_b32_e32 v8, 1.0
	s_cbranch_vccnz .LBB52_123
; %bb.122:
	v_div_scale_f32 v0, null, v18, v18, 1.0
	s_delay_alu instid0(VALU_DEP_1) | instskip(SKIP_2) | instid1(VALU_DEP_1)
	v_rcp_f32_e32 v1, v0
	s_waitcnt_depctr 0xfff
	v_fma_f32 v8, -v0, v1, 1.0
	v_fmac_f32_e32 v1, v8, v1
	v_div_scale_f32 v8, vcc_lo, 1.0, v18, 1.0
	s_delay_alu instid0(VALU_DEP_1) | instskip(NEXT) | instid1(VALU_DEP_1)
	v_mul_f32_e32 v9, v8, v1
	v_fma_f32 v16, -v0, v9, v8
	s_delay_alu instid0(VALU_DEP_1) | instskip(NEXT) | instid1(VALU_DEP_1)
	v_fmac_f32_e32 v9, v16, v1
	v_fma_f32 v0, -v0, v9, v8
	s_delay_alu instid0(VALU_DEP_1) | instskip(NEXT) | instid1(VALU_DEP_1)
	v_div_fmas_f32 v0, v0, v1, v9
	v_div_fixup_f32 v8, v0, v18, 1.0
.LBB52_123:
	v_add_nc_u32_e32 v0, s1, v32
	s_delay_alu instid0(VALU_DEP_1) | instskip(NEXT) | instid1(VALU_DEP_1)
	v_mad_u64_u32 v[16:17], null, v0, s39, s[22:23]
	v_mad_u64_u32 v[0:1], null, s0, v16, s[14:15]
	s_and_saveexec_b32 s4, s2
	s_cbranch_execz .LBB52_125
; %bb.124:
	s_delay_alu instid0(VALU_DEP_1) | instskip(SKIP_3) | instid1(VALU_DEP_3)
	v_mad_u64_u32 v[16:17], null, v0, 40, v[24:25]
	v_cvt_f32_f16_e32 v9, v41
	v_mov_b32_e32 v17, 0
	v_lshrrev_b32_e32 v1, 16, v41
	v_mul_f32_e32 v32, v8, v9
	s_delay_alu instid0(VALU_DEP_3) | instskip(NEXT) | instid1(VALU_DEP_3)
	v_lshlrev_b64 v[16:17], 2, v[16:17]
	v_cvt_f32_f16_e32 v1, v1
	s_delay_alu instid0(VALU_DEP_1) | instskip(NEXT) | instid1(VALU_DEP_3)
	v_mul_f32_e32 v33, v8, v1
	v_add_co_u32 v8, vcc_lo, s28, v16
	s_delay_alu instid0(VALU_DEP_4)
	v_add_co_ci_u32_e32 v9, vcc_lo, s29, v17, vcc_lo
	global_store_b64 v[8:9], v[32:33], off
.LBB52_125:
	s_or_b32 exec_lo, exec_lo, s4
	s_and_saveexec_b32 s4, s3
	s_cbranch_execz .LBB52_127
; %bb.126:
	s_delay_alu instid0(VALU_DEP_1) | instskip(SKIP_1) | instid1(VALU_DEP_2)
	v_ashrrev_i32_e32 v1, 31, v0
	v_mov_b32_e32 v9, v2
	v_lshlrev_b64 v[0:1], 3, v[0:1]
	s_delay_alu instid0(VALU_DEP_1) | instskip(NEXT) | instid1(VALU_DEP_2)
	v_add_co_u32 v0, vcc_lo, s30, v0
	v_add_co_ci_u32_e32 v1, vcc_lo, s31, v1, vcc_lo
	global_store_b64 v[0:1], v[9:10], off
.LBB52_127:
	s_or_b32 exec_lo, exec_lo, s4
	v_add_nc_u32_e32 v0, s33, v31
	s_delay_alu instid0(VALU_DEP_1)
	v_cmp_gt_i32_e32 vcc_lo, s38, v0
	s_and_b32 exec_lo, exec_lo, vcc_lo
	s_cbranch_execz .LBB52_105
; %bb.128:
	v_cmp_ne_u32_e32 vcc_lo, 1, v25
	v_mov_b32_e32 v2, 1.0
	s_cbranch_vccnz .LBB52_130
; %bb.129:
	v_div_scale_f32 v0, null, v19, v19, 1.0
	s_delay_alu instid0(VALU_DEP_1) | instskip(SKIP_2) | instid1(VALU_DEP_1)
	v_rcp_f32_e32 v1, v0
	s_waitcnt_depctr 0xfff
	v_fma_f32 v2, -v0, v1, 1.0
	v_fmac_f32_e32 v1, v2, v1
	v_div_scale_f32 v2, vcc_lo, 1.0, v19, 1.0
	s_delay_alu instid0(VALU_DEP_1) | instskip(NEXT) | instid1(VALU_DEP_1)
	v_mul_f32_e32 v8, v2, v1
	v_fma_f32 v9, -v0, v8, v2
	s_delay_alu instid0(VALU_DEP_1) | instskip(NEXT) | instid1(VALU_DEP_1)
	v_fmac_f32_e32 v8, v9, v1
	v_fma_f32 v0, -v0, v8, v2
	s_delay_alu instid0(VALU_DEP_1) | instskip(NEXT) | instid1(VALU_DEP_1)
	v_div_fmas_f32 v0, v0, v1, v8
	v_div_fixup_f32 v2, v0, v19, 1.0
.LBB52_130:
	v_add_nc_u32_e32 v0, s1, v31
	s_delay_alu instid0(VALU_DEP_1) | instskip(NEXT) | instid1(VALU_DEP_1)
	v_mad_u64_u32 v[8:9], null, v0, s39, s[22:23]
	v_mad_u64_u32 v[0:1], null, s0, v8, s[14:15]
	s_and_saveexec_b32 s4, s2
	s_cbranch_execz .LBB52_132
; %bb.131:
	v_lshrrev_b32_e32 v1, 16, v40
	s_delay_alu instid0(VALU_DEP_2) | instskip(SKIP_1) | instid1(VALU_DEP_3)
	v_mad_u64_u32 v[8:9], null, v0, 40, v[24:25]
	v_cvt_f32_f16_e32 v10, v40
	v_cvt_f32_f16_e32 v16, v1
	v_mov_b32_e32 v9, 0
	s_delay_alu instid0(VALU_DEP_3) | instskip(NEXT) | instid1(VALU_DEP_3)
	v_mul_f32_e32 v1, v2, v10
	v_mul_f32_e32 v2, v2, v16
	s_delay_alu instid0(VALU_DEP_3) | instskip(NEXT) | instid1(VALU_DEP_1)
	v_lshlrev_b64 v[8:9], 2, v[8:9]
	v_add_co_u32 v8, vcc_lo, s28, v8
	s_delay_alu instid0(VALU_DEP_2)
	v_add_co_ci_u32_e32 v9, vcc_lo, s29, v9, vcc_lo
	global_store_b64 v[8:9], v[1:2], off
.LBB52_132:
	s_or_b32 exec_lo, exec_lo, s4
	s_and_saveexec_b32 s4, s3
	s_cbranch_execz .LBB52_134
; %bb.133:
	s_delay_alu instid0(VALU_DEP_1) | instskip(SKIP_1) | instid1(VALU_DEP_2)
	v_ashrrev_i32_e32 v1, 31, v0
	v_mov_b32_e32 v10, v3
	v_lshlrev_b64 v[0:1], 3, v[0:1]
	s_delay_alu instid0(VALU_DEP_1) | instskip(NEXT) | instid1(VALU_DEP_2)
	v_add_co_u32 v0, vcc_lo, s30, v0
	v_add_co_ci_u32_e32 v1, vcc_lo, s31, v1, vcc_lo
	global_store_b64 v[0:1], v[10:11], off
.LBB52_134:
	s_or_b32 exec_lo, exec_lo, s4
	v_add_nc_u32_e32 v0, s33, v30
	s_delay_alu instid0(VALU_DEP_1)
	v_cmp_gt_i32_e32 vcc_lo, s38, v0
	s_and_b32 exec_lo, exec_lo, vcc_lo
	s_cbranch_execz .LBB52_105
; %bb.135:
	v_cmp_ne_u32_e32 vcc_lo, 1, v25
	v_mov_b32_e32 v2, 1.0
	s_cbranch_vccnz .LBB52_137
; %bb.136:
	v_div_scale_f32 v0, null, v20, v20, 1.0
	s_delay_alu instid0(VALU_DEP_1) | instskip(SKIP_2) | instid1(VALU_DEP_1)
	v_rcp_f32_e32 v1, v0
	s_waitcnt_depctr 0xfff
	v_fma_f32 v2, -v0, v1, 1.0
	v_fmac_f32_e32 v1, v2, v1
	v_div_scale_f32 v2, vcc_lo, 1.0, v20, 1.0
	s_delay_alu instid0(VALU_DEP_1) | instskip(NEXT) | instid1(VALU_DEP_1)
	v_mul_f32_e32 v3, v2, v1
	v_fma_f32 v8, -v0, v3, v2
	s_delay_alu instid0(VALU_DEP_1) | instskip(NEXT) | instid1(VALU_DEP_1)
	v_fmac_f32_e32 v3, v8, v1
	v_fma_f32 v0, -v0, v3, v2
	s_delay_alu instid0(VALU_DEP_1) | instskip(NEXT) | instid1(VALU_DEP_1)
	v_div_fmas_f32 v0, v0, v1, v3
	v_div_fixup_f32 v2, v0, v20, 1.0
.LBB52_137:
	v_add_nc_u32_e32 v0, s1, v30
	s_delay_alu instid0(VALU_DEP_1) | instskip(NEXT) | instid1(VALU_DEP_1)
	v_mad_u64_u32 v[8:9], null, v0, s39, s[22:23]
	v_mad_u64_u32 v[0:1], null, s0, v8, s[14:15]
	s_and_saveexec_b32 s4, s2
	s_cbranch_execz .LBB52_139
; %bb.138:
	v_lshrrev_b32_e32 v1, 16, v39
	s_delay_alu instid0(VALU_DEP_2) | instskip(SKIP_1) | instid1(VALU_DEP_3)
	v_mad_u64_u32 v[8:9], null, v0, 40, v[24:25]
	v_cvt_f32_f16_e32 v3, v39
	v_cvt_f32_f16_e32 v10, v1
	v_mov_b32_e32 v9, 0
	s_delay_alu instid0(VALU_DEP_3) | instskip(NEXT) | instid1(VALU_DEP_3)
	v_mul_f32_e32 v1, v2, v3
	v_mul_f32_e32 v2, v2, v10
	s_delay_alu instid0(VALU_DEP_3) | instskip(NEXT) | instid1(VALU_DEP_1)
	v_lshlrev_b64 v[8:9], 2, v[8:9]
	v_add_co_u32 v8, vcc_lo, s28, v8
	s_delay_alu instid0(VALU_DEP_2)
	v_add_co_ci_u32_e32 v9, vcc_lo, s29, v9, vcc_lo
	global_store_b64 v[8:9], v[1:2], off
.LBB52_139:
	s_or_b32 exec_lo, exec_lo, s4
	s_and_saveexec_b32 s4, s3
	s_cbranch_execz .LBB52_141
; %bb.140:
	s_delay_alu instid0(VALU_DEP_1) | instskip(SKIP_1) | instid1(VALU_DEP_2)
	v_ashrrev_i32_e32 v1, 31, v0
	v_mov_b32_e32 v11, v4
	v_lshlrev_b64 v[0:1], 3, v[0:1]
	s_delay_alu instid0(VALU_DEP_1) | instskip(NEXT) | instid1(VALU_DEP_2)
	v_add_co_u32 v0, vcc_lo, s30, v0
	v_add_co_ci_u32_e32 v1, vcc_lo, s31, v1, vcc_lo
	global_store_b64 v[0:1], v[11:12], off
.LBB52_141:
	s_or_b32 exec_lo, exec_lo, s4
	v_add_nc_u32_e32 v0, s33, v29
	s_delay_alu instid0(VALU_DEP_1)
	v_cmp_gt_i32_e32 vcc_lo, s38, v0
	s_and_b32 exec_lo, exec_lo, vcc_lo
	s_cbranch_execz .LBB52_105
; %bb.142:
	v_cmp_ne_u32_e32 vcc_lo, 1, v25
	v_mov_b32_e32 v2, 1.0
	s_cbranch_vccnz .LBB52_144
; %bb.143:
	v_div_scale_f32 v0, null, v21, v21, 1.0
	s_delay_alu instid0(VALU_DEP_1) | instskip(SKIP_2) | instid1(VALU_DEP_1)
	v_rcp_f32_e32 v1, v0
	s_waitcnt_depctr 0xfff
	v_fma_f32 v2, -v0, v1, 1.0
	v_fmac_f32_e32 v1, v2, v1
	v_div_scale_f32 v2, vcc_lo, 1.0, v21, 1.0
	s_delay_alu instid0(VALU_DEP_1) | instskip(NEXT) | instid1(VALU_DEP_1)
	v_mul_f32_e32 v3, v2, v1
	v_fma_f32 v4, -v0, v3, v2
	s_delay_alu instid0(VALU_DEP_1) | instskip(NEXT) | instid1(VALU_DEP_1)
	v_fmac_f32_e32 v3, v4, v1
	v_fma_f32 v0, -v0, v3, v2
	s_delay_alu instid0(VALU_DEP_1) | instskip(NEXT) | instid1(VALU_DEP_1)
	v_div_fmas_f32 v0, v0, v1, v3
	v_div_fixup_f32 v2, v0, v21, 1.0
.LBB52_144:
	v_add_nc_u32_e32 v0, s1, v29
	s_delay_alu instid0(VALU_DEP_1) | instskip(NEXT) | instid1(VALU_DEP_1)
	v_mad_u64_u32 v[3:4], null, v0, s39, s[22:23]
	v_mad_u64_u32 v[0:1], null, s0, v3, s[14:15]
	s_and_saveexec_b32 s4, s2
	s_cbranch_execz .LBB52_146
; %bb.145:
	s_delay_alu instid0(VALU_DEP_1) | instskip(SKIP_3) | instid1(VALU_DEP_3)
	v_mad_u64_u32 v[3:4], null, v0, 40, v[24:25]
	v_lshrrev_b32_e32 v1, 16, v38
	v_cvt_f32_f16_e32 v8, v38
	v_mov_b32_e32 v4, 0
	v_cvt_f32_f16_e32 v9, v1
	s_delay_alu instid0(VALU_DEP_3) | instskip(NEXT) | instid1(VALU_DEP_3)
	v_mul_f32_e32 v1, v2, v8
	v_lshlrev_b64 v[3:4], 2, v[3:4]
	s_delay_alu instid0(VALU_DEP_3) | instskip(NEXT) | instid1(VALU_DEP_2)
	v_mul_f32_e32 v2, v2, v9
	v_add_co_u32 v3, vcc_lo, s28, v3
	s_delay_alu instid0(VALU_DEP_3)
	v_add_co_ci_u32_e32 v4, vcc_lo, s29, v4, vcc_lo
	global_store_b64 v[3:4], v[1:2], off
.LBB52_146:
	s_or_b32 exec_lo, exec_lo, s4
	s_and_saveexec_b32 s4, s3
	s_cbranch_execz .LBB52_148
; %bb.147:
	s_delay_alu instid0(VALU_DEP_1) | instskip(SKIP_1) | instid1(VALU_DEP_2)
	v_ashrrev_i32_e32 v1, 31, v0
	v_mov_b32_e32 v12, v5
	v_lshlrev_b64 v[0:1], 3, v[0:1]
	s_delay_alu instid0(VALU_DEP_1) | instskip(NEXT) | instid1(VALU_DEP_2)
	v_add_co_u32 v0, vcc_lo, s30, v0
	v_add_co_ci_u32_e32 v1, vcc_lo, s31, v1, vcc_lo
	global_store_b64 v[0:1], v[12:13], off
.LBB52_148:
	s_or_b32 exec_lo, exec_lo, s4
	v_add_nc_u32_e32 v0, s33, v28
	s_delay_alu instid0(VALU_DEP_1)
	v_cmp_gt_i32_e32 vcc_lo, s38, v0
	s_and_b32 exec_lo, exec_lo, vcc_lo
	s_cbranch_execz .LBB52_105
; %bb.149:
	v_cmp_ne_u32_e32 vcc_lo, 1, v25
	v_mov_b32_e32 v2, 1.0
	s_cbranch_vccnz .LBB52_151
; %bb.150:
	v_div_scale_f32 v0, null, v22, v22, 1.0
	s_delay_alu instid0(VALU_DEP_1) | instskip(SKIP_2) | instid1(VALU_DEP_1)
	v_rcp_f32_e32 v1, v0
	s_waitcnt_depctr 0xfff
	v_fma_f32 v2, -v0, v1, 1.0
	v_fmac_f32_e32 v1, v2, v1
	v_div_scale_f32 v2, vcc_lo, 1.0, v22, 1.0
	s_delay_alu instid0(VALU_DEP_1) | instskip(NEXT) | instid1(VALU_DEP_1)
	v_mul_f32_e32 v3, v2, v1
	v_fma_f32 v4, -v0, v3, v2
	s_delay_alu instid0(VALU_DEP_1) | instskip(NEXT) | instid1(VALU_DEP_1)
	v_fmac_f32_e32 v3, v4, v1
	v_fma_f32 v0, -v0, v3, v2
	s_delay_alu instid0(VALU_DEP_1) | instskip(NEXT) | instid1(VALU_DEP_1)
	v_div_fmas_f32 v0, v0, v1, v3
	v_div_fixup_f32 v2, v0, v22, 1.0
.LBB52_151:
	v_add_nc_u32_e32 v0, s1, v28
	s_delay_alu instid0(VALU_DEP_1) | instskip(NEXT) | instid1(VALU_DEP_1)
	v_mad_u64_u32 v[3:4], null, v0, s39, s[22:23]
	v_mad_u64_u32 v[0:1], null, s0, v3, s[14:15]
	s_and_saveexec_b32 s4, s2
	s_cbranch_execz .LBB52_153
; %bb.152:
	s_delay_alu instid0(VALU_DEP_1) | instskip(SKIP_3) | instid1(VALU_DEP_3)
	v_mad_u64_u32 v[3:4], null, v0, 40, v[24:25]
	v_lshrrev_b32_e32 v1, 16, v37
	v_cvt_f32_f16_e32 v5, v37
	v_mov_b32_e32 v4, 0
	v_cvt_f32_f16_e32 v8, v1
	s_delay_alu instid0(VALU_DEP_3) | instskip(NEXT) | instid1(VALU_DEP_3)
	v_mul_f32_e32 v1, v2, v5
	v_lshlrev_b64 v[3:4], 2, v[3:4]
	s_delay_alu instid0(VALU_DEP_3) | instskip(NEXT) | instid1(VALU_DEP_2)
	v_mul_f32_e32 v2, v2, v8
	v_add_co_u32 v3, vcc_lo, s28, v3
	s_delay_alu instid0(VALU_DEP_3)
	v_add_co_ci_u32_e32 v4, vcc_lo, s29, v4, vcc_lo
	global_store_b64 v[3:4], v[1:2], off
.LBB52_153:
	;; [unrolled: 64-line block ×3, first 2 shown]
	s_or_b32 exec_lo, exec_lo, s0
	s_delay_alu instid0(SALU_CYCLE_1)
	s_and_b32 exec_lo, exec_lo, s3
	s_cbranch_execz .LBB52_105
; %bb.161:
	s_delay_alu instid0(VALU_DEP_1) | instskip(SKIP_1) | instid1(VALU_DEP_2)
	v_ashrrev_i32_e32 v1, 31, v0
	v_mov_b32_e32 v14, v7
	v_lshlrev_b64 v[0:1], 3, v[0:1]
	s_delay_alu instid0(VALU_DEP_1) | instskip(NEXT) | instid1(VALU_DEP_2)
	v_add_co_u32 v0, vcc_lo, s30, v0
	v_add_co_ci_u32_e32 v1, vcc_lo, s31, v1, vcc_lo
	global_store_b64 v[0:1], v[14:15], off
	s_nop 0
	s_sendmsg sendmsg(MSG_DEALLOC_VGPRS)
	s_endpgm
	.section	.rodata,"a",@progbits
	.p2align	6, 0x0
	.amdhsa_kernel _ZL15flash_attn_tileILi40ELi40ELi64ELi1ELb0EEvPKcS1_S1_S1_S1_PKiPfP15HIP_vector_typeIfLj2EEffffjfiS5_IjLj3EEiiiiiiiiiiiliiliiiiil
		.amdhsa_group_segment_fixed_size 12384
		.amdhsa_private_segment_fixed_size 32
		.amdhsa_kernarg_size 464
		.amdhsa_user_sgpr_count 13
		.amdhsa_user_sgpr_dispatch_ptr 0
		.amdhsa_user_sgpr_queue_ptr 0
		.amdhsa_user_sgpr_kernarg_segment_ptr 1
		.amdhsa_user_sgpr_dispatch_id 0
		.amdhsa_user_sgpr_private_segment_size 0
		.amdhsa_wavefront_size32 1
		.amdhsa_uses_dynamic_stack 0
		.amdhsa_enable_private_segment 1
		.amdhsa_system_sgpr_workgroup_id_x 1
		.amdhsa_system_sgpr_workgroup_id_y 1
		.amdhsa_system_sgpr_workgroup_id_z 1
		.amdhsa_system_sgpr_workgroup_info 0
		.amdhsa_system_vgpr_workitem_id 1
		.amdhsa_next_free_vgpr 119
		.amdhsa_next_free_sgpr 55
		.amdhsa_reserve_vcc 1
		.amdhsa_float_round_mode_32 0
		.amdhsa_float_round_mode_16_64 0
		.amdhsa_float_denorm_mode_32 3
		.amdhsa_float_denorm_mode_16_64 3
		.amdhsa_dx10_clamp 1
		.amdhsa_ieee_mode 1
		.amdhsa_fp16_overflow 0
		.amdhsa_workgroup_processor_mode 1
		.amdhsa_memory_ordered 1
		.amdhsa_forward_progress 0
		.amdhsa_shared_vgpr_count 0
		.amdhsa_exception_fp_ieee_invalid_op 0
		.amdhsa_exception_fp_denorm_src 0
		.amdhsa_exception_fp_ieee_div_zero 0
		.amdhsa_exception_fp_ieee_overflow 0
		.amdhsa_exception_fp_ieee_underflow 0
		.amdhsa_exception_fp_ieee_inexact 0
		.amdhsa_exception_int_div_zero 0
	.end_amdhsa_kernel
	.section	.text._ZL15flash_attn_tileILi40ELi40ELi64ELi1ELb0EEvPKcS1_S1_S1_S1_PKiPfP15HIP_vector_typeIfLj2EEffffjfiS5_IjLj3EEiiiiiiiiiiiliiliiiiil,"axG",@progbits,_ZL15flash_attn_tileILi40ELi40ELi64ELi1ELb0EEvPKcS1_S1_S1_S1_PKiPfP15HIP_vector_typeIfLj2EEffffjfiS5_IjLj3EEiiiiiiiiiiiliiliiiiil,comdat
.Lfunc_end52:
	.size	_ZL15flash_attn_tileILi40ELi40ELi64ELi1ELb0EEvPKcS1_S1_S1_S1_PKiPfP15HIP_vector_typeIfLj2EEffffjfiS5_IjLj3EEiiiiiiiiiiiliiliiiiil, .Lfunc_end52-_ZL15flash_attn_tileILi40ELi40ELi64ELi1ELb0EEvPKcS1_S1_S1_S1_PKiPfP15HIP_vector_typeIfLj2EEffffjfiS5_IjLj3EEiiiiiiiiiiiliiliiiiil
                                        ; -- End function
	.section	.AMDGPU.csdata,"",@progbits
; Kernel info:
; codeLenInByte = 31348
; NumSgprs: 57
; NumVgprs: 119
; ScratchSize: 32
; MemoryBound: 0
; FloatMode: 240
; IeeeMode: 1
; LDSByteSize: 12384 bytes/workgroup (compile time only)
; SGPRBlocks: 7
; VGPRBlocks: 14
; NumSGPRsForWavesPerEU: 57
; NumVGPRsForWavesPerEU: 119
; Occupancy: 12
; WaveLimiterHint : 1
; COMPUTE_PGM_RSRC2:SCRATCH_EN: 1
; COMPUTE_PGM_RSRC2:USER_SGPR: 13
; COMPUTE_PGM_RSRC2:TRAP_HANDLER: 0
; COMPUTE_PGM_RSRC2:TGID_X_EN: 1
; COMPUTE_PGM_RSRC2:TGID_Y_EN: 1
; COMPUTE_PGM_RSRC2:TGID_Z_EN: 1
; COMPUTE_PGM_RSRC2:TIDIG_COMP_CNT: 1
	.section	.text._ZL25flash_attn_mask_to_KV_maxILi64EEvPK7__half2Piiii,"axG",@progbits,_ZL25flash_attn_mask_to_KV_maxILi64EEvPK7__half2Piiii,comdat
	.globl	_ZL25flash_attn_mask_to_KV_maxILi64EEvPK7__half2Piiii ; -- Begin function _ZL25flash_attn_mask_to_KV_maxILi64EEvPK7__half2Piiii
	.p2align	8
	.type	_ZL25flash_attn_mask_to_KV_maxILi64EEvPK7__half2Piiii,@function
_ZL25flash_attn_mask_to_KV_maxILi64EEvPK7__half2Piiii: ; @_ZL25flash_attn_mask_to_KV_maxILi64EEvPK7__half2Piiii
; %bb.0:
	s_load_b128 s[4:7], s[0:1], 0x0
	s_mov_b32 s2, exec_lo
	v_cmpx_gt_u32_e32 32, v0
	s_cbranch_execz .LBB53_2
; %bb.1:
	v_dual_mov_b32 v2, 1 :: v_dual_lshlrev_b32 v1, 2, v0
	ds_store_b32 v1, v2
.LBB53_2:
	s_or_b32 exec_lo, exec_lo, s2
	s_clause 0x1
	s_load_b128 s[8:11], s[0:1], 0x10
	s_load_b32 s1, s[0:1], 0x20
	v_dual_mov_b32 v2, 0 :: v_dual_and_b32 v1, 31, v0
	v_lshrrev_b32_e32 v5, 3, v0
	s_waitcnt lgkmcnt(0)
	s_barrier
	s_delay_alu instid0(VALU_DEP_2) | instskip(SKIP_4) | instid1(SALU_CYCLE_1)
	v_lshlrev_b32_e32 v6, 2, v1
	buffer_gl0_inv
	s_mul_i32 s0, s14, s9
	s_mul_i32 s2, s15, s10
	s_lshl_b32 s0, s0, 6
	s_add_i32 s2, s2, s0
	v_cmp_eq_u32_e64 s0, 0, v1
	s_ashr_i32 s3, s2, 31
	s_delay_alu instid0(SALU_CYCLE_1) | instskip(NEXT) | instid1(SALU_CYCLE_1)
	s_lshl_b64 s[10:11], s[2:3], 2
	s_add_u32 s3, s4, s10
	s_addc_u32 s4, s5, s11
	s_lshl_b32 s5, s8, 8
	s_branch .LBB53_4
.LBB53_3:                               ;   in Loop: Header=BB53_4 Depth=1
	s_or_b32 exec_lo, exec_lo, s10
	s_waitcnt lgkmcnt(0)
	s_barrier
	buffer_gl0_inv
	ds_load_b32 v1, v6
	s_waitcnt lgkmcnt(0)
	s_barrier
	buffer_gl0_inv
	;;#ASMSTART
	;;#ASMEND
	v_cmp_ne_u32_e32 vcc_lo, 0, v1
	s_cmp_lg_u32 vcc_lo, exec_lo
	s_cselect_b32 s8, -1, 0
	s_delay_alu instid0(SALU_CYCLE_1)
	s_and_b32 vcc_lo, exec_lo, s8
	s_cbranch_vccnz .LBB53_260
.LBB53_4:                               ; =>This Inner Loop Header: Depth=1
	s_mov_b32 s2, s5
	s_addk_i32 s5, 0xff00
	s_delay_alu instid0(SALU_CYCLE_1)
	s_cmp_lt_i32 s5, 0
	s_cbranch_scc1 .LBB53_259
; %bb.5:                                ;   in Loop: Header=BB53_4 Depth=1
	s_lshr_b32 s8, s5, 1
	s_mov_b32 s10, 0
	v_add_nc_u32_e32 v1, s8, v0
	s_delay_alu instid0(VALU_DEP_1) | instskip(NEXT) | instid1(VALU_DEP_1)
	v_lshlrev_b64 v[3:4], 2, v[1:2]
	v_add_co_u32 v3, vcc_lo, s3, v3
	s_delay_alu instid0(VALU_DEP_2) | instskip(SKIP_4) | instid1(VALU_DEP_2)
	v_add_co_ci_u32_e32 v4, vcc_lo, s4, v4, vcc_lo
	global_load_b32 v3, v[3:4], off
	s_waitcnt vmcnt(0)
	v_lshrrev_b32_e32 v4, 16, v3
	v_cmp_class_f16_e64 s8, v3, 0x204
	v_and_b32_e32 v4, 0x7fff, v4
	s_delay_alu instid0(VALU_DEP_1) | instskip(NEXT) | instid1(VALU_DEP_3)
	v_cmp_eq_f16_e32 vcc_lo, 0x7c00, v4
	s_and_b32 s11, s8, vcc_lo
	s_delay_alu instid0(SALU_CYCLE_1)
	s_and_saveexec_b32 s8, s11
	s_cbranch_execz .LBB53_257
; %bb.6:                                ;   in Loop: Header=BB53_4 Depth=1
	v_add_nc_u32_e32 v3, s9, v1
	s_mov_b32 s11, 0
	s_delay_alu instid0(VALU_DEP_1) | instskip(NEXT) | instid1(VALU_DEP_1)
	v_ashrrev_i32_e32 v4, 31, v3
	v_lshlrev_b64 v[7:8], 2, v[3:4]
	s_delay_alu instid0(VALU_DEP_1) | instskip(NEXT) | instid1(VALU_DEP_2)
	v_add_co_u32 v7, vcc_lo, s3, v7
	v_add_co_ci_u32_e32 v8, vcc_lo, s4, v8, vcc_lo
	global_load_b32 v1, v[7:8], off
	s_waitcnt vmcnt(0)
	v_cmp_class_f16_e64 s12, v1, 0x204
	s_delay_alu instid0(VALU_DEP_1)
	s_and_saveexec_b32 s10, s12
	s_cbranch_execz .LBB53_256
; %bb.7:                                ;   in Loop: Header=BB53_4 Depth=1
	v_lshrrev_b32_e32 v1, 16, v1
	s_mov_b32 s12, 0
	s_delay_alu instid0(VALU_DEP_1) | instskip(NEXT) | instid1(VALU_DEP_1)
	v_cmp_class_f16_e64 s13, v1, 0x204
	s_and_saveexec_b32 s11, s13
	s_cbranch_execz .LBB53_255
; %bb.8:                                ;   in Loop: Header=BB53_4 Depth=1
	v_add_nc_u32_e32 v3, s9, v3
	s_mov_b32 s13, 0
	s_delay_alu instid0(VALU_DEP_1) | instskip(NEXT) | instid1(VALU_DEP_1)
	v_ashrrev_i32_e32 v4, 31, v3
	v_lshlrev_b64 v[7:8], 2, v[3:4]
	s_delay_alu instid0(VALU_DEP_1) | instskip(NEXT) | instid1(VALU_DEP_2)
	v_add_co_u32 v7, vcc_lo, s3, v7
	v_add_co_ci_u32_e32 v8, vcc_lo, s4, v8, vcc_lo
	global_load_b32 v1, v[7:8], off
	s_waitcnt vmcnt(0)
	v_cmp_class_f16_e64 s16, v1, 0x204
	s_delay_alu instid0(VALU_DEP_1)
	s_and_saveexec_b32 s12, s16
	s_cbranch_execz .LBB53_254
; %bb.9:                                ;   in Loop: Header=BB53_4 Depth=1
	v_lshrrev_b32_e32 v1, 16, v1
	s_mov_b32 s16, 0
	s_delay_alu instid0(VALU_DEP_1) | instskip(NEXT) | instid1(VALU_DEP_1)
	v_cmp_class_f16_e64 s17, v1, 0x204
	s_and_saveexec_b32 s13, s17
	s_cbranch_execz .LBB53_253
; %bb.10:                               ;   in Loop: Header=BB53_4 Depth=1
	v_add_nc_u32_e32 v3, s9, v3
	s_mov_b32 s17, 0
	s_delay_alu instid0(VALU_DEP_1) | instskip(NEXT) | instid1(VALU_DEP_1)
	v_ashrrev_i32_e32 v4, 31, v3
	v_lshlrev_b64 v[7:8], 2, v[3:4]
	s_delay_alu instid0(VALU_DEP_1) | instskip(NEXT) | instid1(VALU_DEP_2)
	v_add_co_u32 v7, vcc_lo, s3, v7
	v_add_co_ci_u32_e32 v8, vcc_lo, s4, v8, vcc_lo
	global_load_b32 v1, v[7:8], off
	s_waitcnt vmcnt(0)
	v_cmp_class_f16_e64 s18, v1, 0x204
	s_delay_alu instid0(VALU_DEP_1)
	s_and_saveexec_b32 s16, s18
	s_cbranch_execz .LBB53_252
; %bb.11:                               ;   in Loop: Header=BB53_4 Depth=1
	v_lshrrev_b32_e32 v1, 16, v1
	s_mov_b32 s18, 0
	s_delay_alu instid0(VALU_DEP_1) | instskip(NEXT) | instid1(VALU_DEP_1)
	v_cmp_class_f16_e64 s19, v1, 0x204
	s_and_saveexec_b32 s17, s19
	s_cbranch_execz .LBB53_251
; %bb.12:                               ;   in Loop: Header=BB53_4 Depth=1
	v_add_nc_u32_e32 v3, s9, v3
	s_mov_b32 s19, 0
	s_delay_alu instid0(VALU_DEP_1) | instskip(NEXT) | instid1(VALU_DEP_1)
	v_ashrrev_i32_e32 v4, 31, v3
	v_lshlrev_b64 v[7:8], 2, v[3:4]
	s_delay_alu instid0(VALU_DEP_1) | instskip(NEXT) | instid1(VALU_DEP_2)
	v_add_co_u32 v7, vcc_lo, s3, v7
	v_add_co_ci_u32_e32 v8, vcc_lo, s4, v8, vcc_lo
	global_load_b32 v1, v[7:8], off
	s_waitcnt vmcnt(0)
	v_cmp_class_f16_e64 s20, v1, 0x204
	s_delay_alu instid0(VALU_DEP_1)
	s_and_saveexec_b32 s18, s20
	s_cbranch_execz .LBB53_250
; %bb.13:                               ;   in Loop: Header=BB53_4 Depth=1
	;; [unrolled: 22-line block ×24, first 2 shown]
	v_lshrrev_b32_e32 v1, 16, v1
	s_mov_b32 s65, 0
	s_delay_alu instid0(VALU_DEP_1) | instskip(NEXT) | instid1(VALU_DEP_1)
	v_cmp_class_f16_e64 s66, v1, 0x204
	s_and_saveexec_b32 s64, s66
	s_cbranch_execz .LBB53_205
; %bb.58:                               ;   in Loop: Header=BB53_4 Depth=1
	v_add_nc_u32_e32 v3, s9, v3
	s_delay_alu instid0(VALU_DEP_1) | instskip(NEXT) | instid1(VALU_DEP_1)
	v_ashrrev_i32_e32 v4, 31, v3
	v_lshlrev_b64 v[7:8], 2, v[3:4]
	s_delay_alu instid0(VALU_DEP_1) | instskip(NEXT) | instid1(VALU_DEP_2)
	v_add_co_u32 v7, vcc_lo, s3, v7
	v_add_co_ci_u32_e32 v8, vcc_lo, s4, v8, vcc_lo
	global_load_b32 v1, v[7:8], off
	s_waitcnt vmcnt(0)
	v_cmp_class_f16_e64 s66, v1, 0x204
	s_mov_b32 s67, exec_lo
	s_delay_alu instid0(VALU_DEP_1) | instid1(SALU_CYCLE_1)
	s_and_b32 s66, s67, s66
                                        ; implicit-def: $vgpr10 : SGPR spill to VGPR lane
	v_writelane_b32 v10, s67, 0
	s_mov_b32 exec_lo, s66
	s_cbranch_execz .LBB53_204
; %bb.59:                               ;   in Loop: Header=BB53_4 Depth=1
	v_lshrrev_b32_e32 v1, 16, v1
	s_delay_alu instid0(VALU_DEP_1)
	v_cmp_class_f16_e64 s66, v1, 0x204
	s_mov_b32 s67, exec_lo
	s_delay_alu instid0(VALU_DEP_1) | instid1(SALU_CYCLE_1)
	s_and_b32 s66, s67, s66
	v_writelane_b32 v10, s67, 1
	s_mov_b32 exec_lo, s66
	s_cbranch_execz .LBB53_203
; %bb.60:                               ;   in Loop: Header=BB53_4 Depth=1
	v_add_nc_u32_e32 v3, s9, v3
	s_delay_alu instid0(VALU_DEP_1) | instskip(NEXT) | instid1(VALU_DEP_1)
	v_ashrrev_i32_e32 v4, 31, v3
	v_lshlrev_b64 v[7:8], 2, v[3:4]
	s_delay_alu instid0(VALU_DEP_1) | instskip(NEXT) | instid1(VALU_DEP_2)
	v_add_co_u32 v7, vcc_lo, s3, v7
	v_add_co_ci_u32_e32 v8, vcc_lo, s4, v8, vcc_lo
	global_load_b32 v1, v[7:8], off
	s_waitcnt vmcnt(0)
	v_cmp_class_f16_e64 s66, v1, 0x204
	s_mov_b32 s67, exec_lo
	s_delay_alu instid0(VALU_DEP_1) | instid1(SALU_CYCLE_1)
	s_and_b32 s66, s67, s66
	v_writelane_b32 v10, s67, 2
	s_mov_b32 exec_lo, s66
	s_cbranch_execz .LBB53_202
; %bb.61:                               ;   in Loop: Header=BB53_4 Depth=1
	v_lshrrev_b32_e32 v1, 16, v1
	s_delay_alu instid0(VALU_DEP_1)
	v_cmp_class_f16_e64 s66, v1, 0x204
	s_mov_b32 s67, exec_lo
	s_delay_alu instid0(VALU_DEP_1) | instid1(SALU_CYCLE_1)
	s_and_b32 s66, s67, s66
	v_writelane_b32 v10, s67, 3
	s_mov_b32 exec_lo, s66
	s_cbranch_execz .LBB53_201
; %bb.62:                               ;   in Loop: Header=BB53_4 Depth=1
	v_add_nc_u32_e32 v3, s9, v3
	s_delay_alu instid0(VALU_DEP_1) | instskip(NEXT) | instid1(VALU_DEP_1)
	v_ashrrev_i32_e32 v4, 31, v3
	v_lshlrev_b64 v[7:8], 2, v[3:4]
	s_delay_alu instid0(VALU_DEP_1) | instskip(NEXT) | instid1(VALU_DEP_2)
	v_add_co_u32 v7, vcc_lo, s3, v7
	v_add_co_ci_u32_e32 v8, vcc_lo, s4, v8, vcc_lo
	global_load_b32 v1, v[7:8], off
	s_waitcnt vmcnt(0)
	v_cmp_class_f16_e64 s66, v1, 0x204
	s_mov_b32 s67, exec_lo
	s_delay_alu instid0(VALU_DEP_1) | instid1(SALU_CYCLE_1)
	s_and_b32 s66, s67, s66
	;; [unrolled: 27-line block ×16, first 2 shown]
                                        ; implicit-def: $vgpr9 : SGPR spill to VGPR lane
	v_writelane_b32 v9, s67, 0
	s_mov_b32 exec_lo, s66
	s_cbranch_execz .LBB53_172
; %bb.91:                               ;   in Loop: Header=BB53_4 Depth=1
	v_lshrrev_b32_e32 v1, 16, v1
	s_delay_alu instid0(VALU_DEP_1) | instskip(NEXT) | instid1(VALU_DEP_1)
	v_cmp_class_f16_e64 s66, v1, 0x204
	s_and_saveexec_b32 s98, s66
	s_cbranch_execz .LBB53_171
; %bb.92:                               ;   in Loop: Header=BB53_4 Depth=1
	v_add_nc_u32_e32 v3, s9, v3
	s_delay_alu instid0(VALU_DEP_1) | instskip(NEXT) | instid1(VALU_DEP_1)
	v_ashrrev_i32_e32 v4, 31, v3
	v_lshlrev_b64 v[7:8], 2, v[3:4]
	s_delay_alu instid0(VALU_DEP_1) | instskip(NEXT) | instid1(VALU_DEP_2)
	v_add_co_u32 v7, vcc_lo, s3, v7
	v_add_co_ci_u32_e32 v8, vcc_lo, s4, v8, vcc_lo
	global_load_b32 v1, v[7:8], off
	s_waitcnt vmcnt(0)
	v_cmp_class_f16_e64 s66, v1, 0x204
	s_delay_alu instid0(VALU_DEP_1)
	s_and_saveexec_b32 s99, s66
	s_cbranch_execz .LBB53_170
; %bb.93:                               ;   in Loop: Header=BB53_4 Depth=1
	v_lshrrev_b32_e32 v1, 16, v1
	s_delay_alu instid0(VALU_DEP_1) | instskip(NEXT) | instid1(VALU_DEP_1)
	v_cmp_class_f16_e64 s66, v1, 0x204
	s_and_saveexec_b32 s100, s66
	s_cbranch_execz .LBB53_169
; %bb.94:                               ;   in Loop: Header=BB53_4 Depth=1
	v_add_nc_u32_e32 v3, s9, v3
	s_delay_alu instid0(VALU_DEP_1) | instskip(NEXT) | instid1(VALU_DEP_1)
	v_ashrrev_i32_e32 v4, 31, v3
	v_lshlrev_b64 v[7:8], 2, v[3:4]
	s_delay_alu instid0(VALU_DEP_1) | instskip(NEXT) | instid1(VALU_DEP_2)
	v_add_co_u32 v7, vcc_lo, s3, v7
	v_add_co_ci_u32_e32 v8, vcc_lo, s4, v8, vcc_lo
	global_load_b32 v1, v[7:8], off
	s_waitcnt vmcnt(0)
	v_cmp_class_f16_e64 s66, v1, 0x204
	s_delay_alu instid0(VALU_DEP_1)
	s_and_saveexec_b32 s101, s66
	;; [unrolled: 20-line block ×3, first 2 shown]
	s_cbranch_execz .LBB53_166
; %bb.97:                               ;   in Loop: Header=BB53_4 Depth=1
	v_lshrrev_b32_e32 v1, 16, v1
	s_delay_alu instid0(VALU_DEP_1) | instskip(NEXT) | instid1(VALU_DEP_1)
	v_cmp_class_f16_e64 s66, v1, 0x204
	s_and_saveexec_b32 s104, s66
	s_cbranch_execz .LBB53_165
; %bb.98:                               ;   in Loop: Header=BB53_4 Depth=1
	v_add_nc_u32_e32 v3, s9, v3
	s_delay_alu instid0(VALU_DEP_1) | instskip(NEXT) | instid1(VALU_DEP_1)
	v_ashrrev_i32_e32 v4, 31, v3
	v_lshlrev_b64 v[7:8], 2, v[3:4]
	s_delay_alu instid0(VALU_DEP_1) | instskip(NEXT) | instid1(VALU_DEP_2)
	v_add_co_u32 v7, vcc_lo, s3, v7
	v_add_co_ci_u32_e32 v8, vcc_lo, s4, v8, vcc_lo
	global_load_b32 v1, v[7:8], off
	s_waitcnt vmcnt(0)
	v_cmp_class_f16_e64 s66, v1, 0x204
	s_delay_alu instid0(VALU_DEP_1)
	s_and_saveexec_b32 vcc_hi, s66
	s_cbranch_execz .LBB53_164
; %bb.99:                               ;   in Loop: Header=BB53_4 Depth=1
	v_lshrrev_b32_e32 v1, 16, v1
	s_mov_b32 s66, 0
	s_delay_alu instid0(VALU_DEP_1) | instskip(NEXT) | instid1(VALU_DEP_1)
	v_cmp_class_f16_e64 s67, v1, 0x204
	s_and_saveexec_b32 s65, s67
	s_cbranch_execz .LBB53_163
; %bb.100:                              ;   in Loop: Header=BB53_4 Depth=1
	v_add_nc_u32_e32 v3, s9, v3
	s_mov_b32 s67, 0
	s_delay_alu instid0(VALU_DEP_1) | instskip(NEXT) | instid1(VALU_DEP_1)
	v_ashrrev_i32_e32 v4, 31, v3
	v_lshlrev_b64 v[7:8], 2, v[3:4]
	s_delay_alu instid0(VALU_DEP_1) | instskip(NEXT) | instid1(VALU_DEP_2)
	v_add_co_u32 v7, vcc_lo, s3, v7
	v_add_co_ci_u32_e32 v8, vcc_lo, s4, v8, vcc_lo
	global_load_b32 v1, v[7:8], off
	s_waitcnt vmcnt(0)
	v_cmp_class_f16_e64 s68, v1, 0x204
	s_delay_alu instid0(VALU_DEP_1)
	s_and_saveexec_b32 s66, s68
	s_cbranch_execz .LBB53_162
; %bb.101:                              ;   in Loop: Header=BB53_4 Depth=1
	v_lshrrev_b32_e32 v1, 16, v1
	s_mov_b32 s68, 0
	s_delay_alu instid0(VALU_DEP_1) | instskip(NEXT) | instid1(VALU_DEP_1)
	v_cmp_class_f16_e64 s69, v1, 0x204
	s_and_saveexec_b32 s67, s69
	s_cbranch_execz .LBB53_161
; %bb.102:                              ;   in Loop: Header=BB53_4 Depth=1
	v_add_nc_u32_e32 v3, s9, v3
	s_mov_b32 s69, 0
	s_delay_alu instid0(VALU_DEP_1) | instskip(NEXT) | instid1(VALU_DEP_1)
	v_ashrrev_i32_e32 v4, 31, v3
	v_lshlrev_b64 v[7:8], 2, v[3:4]
	s_delay_alu instid0(VALU_DEP_1) | instskip(NEXT) | instid1(VALU_DEP_2)
	v_add_co_u32 v7, vcc_lo, s3, v7
	v_add_co_ci_u32_e32 v8, vcc_lo, s4, v8, vcc_lo
	global_load_b32 v1, v[7:8], off
	s_waitcnt vmcnt(0)
	v_cmp_class_f16_e64 s70, v1, 0x204
	s_delay_alu instid0(VALU_DEP_1)
	s_and_saveexec_b32 s68, s70
	s_cbranch_execz .LBB53_160
; %bb.103:                              ;   in Loop: Header=BB53_4 Depth=1
	;; [unrolled: 22-line block ×15, first 2 shown]
	v_lshrrev_b32_e32 v1, 16, v1
	s_mov_b32 vcc_lo, 0
	s_delay_alu instid0(VALU_DEP_1) | instskip(NEXT) | instid1(VALU_DEP_1)
	v_cmp_class_f16_e64 s96, v1, 0x204
	s_and_saveexec_b32 s95, s96
	s_cbranch_execz .LBB53_133
; %bb.130:                              ;   in Loop: Header=BB53_4 Depth=1
	v_add_nc_u32_e32 v3, s9, v3
	s_delay_alu instid0(VALU_DEP_1) | instskip(NEXT) | instid1(VALU_DEP_1)
	v_ashrrev_i32_e32 v4, 31, v3
	v_lshlrev_b64 v[3:4], 2, v[3:4]
	s_delay_alu instid0(VALU_DEP_1) | instskip(NEXT) | instid1(VALU_DEP_2)
	v_add_co_u32 v3, vcc_lo, s3, v3
	v_add_co_ci_u32_e32 v4, vcc_lo, s4, v4, vcc_lo
	s_mov_b32 vcc_lo, 0
	global_load_b32 v1, v[3:4], off
	s_waitcnt vmcnt(0)
	v_cmp_class_f16_e64 s97, v1, 0x204
	s_delay_alu instid0(VALU_DEP_1)
	s_and_saveexec_b32 s96, s97
; %bb.131:                              ;   in Loop: Header=BB53_4 Depth=1
	v_lshrrev_b32_e32 v1, 16, v1
	s_delay_alu instid0(VALU_DEP_1) | instskip(NEXT) | instid1(VALU_DEP_1)
	v_cmp_class_f16_e64 s97, v1, 0x204
	s_and_b32 vcc_lo, s97, exec_lo
; %bb.132:                              ;   in Loop: Header=BB53_4 Depth=1
	s_or_b32 exec_lo, exec_lo, s96
	s_delay_alu instid0(SALU_CYCLE_1)
	s_and_b32 vcc_lo, vcc_lo, exec_lo
.LBB53_133:                             ;   in Loop: Header=BB53_4 Depth=1
	s_or_b32 exec_lo, exec_lo, s95
	s_delay_alu instid0(SALU_CYCLE_1)
	s_and_b32 s95, vcc_lo, exec_lo
.LBB53_134:                             ;   in Loop: Header=BB53_4 Depth=1
	s_or_b32 exec_lo, exec_lo, s94
	s_delay_alu instid0(SALU_CYCLE_1)
	s_and_b32 s94, s95, exec_lo
.LBB53_135:                             ;   in Loop: Header=BB53_4 Depth=1
	s_or_b32 exec_lo, exec_lo, s93
	s_delay_alu instid0(SALU_CYCLE_1)
	s_and_b32 s93, s94, exec_lo
.LBB53_136:                             ;   in Loop: Header=BB53_4 Depth=1
	s_or_b32 exec_lo, exec_lo, s92
	s_delay_alu instid0(SALU_CYCLE_1)
	s_and_b32 s92, s93, exec_lo
.LBB53_137:                             ;   in Loop: Header=BB53_4 Depth=1
	s_or_b32 exec_lo, exec_lo, s91
	s_delay_alu instid0(SALU_CYCLE_1)
	s_and_b32 s91, s92, exec_lo
.LBB53_138:                             ;   in Loop: Header=BB53_4 Depth=1
	s_or_b32 exec_lo, exec_lo, s90
	s_delay_alu instid0(SALU_CYCLE_1)
	s_and_b32 s90, s91, exec_lo
.LBB53_139:                             ;   in Loop: Header=BB53_4 Depth=1
	s_or_b32 exec_lo, exec_lo, s89
	s_delay_alu instid0(SALU_CYCLE_1)
	s_and_b32 s89, s90, exec_lo
.LBB53_140:                             ;   in Loop: Header=BB53_4 Depth=1
	s_or_b32 exec_lo, exec_lo, s88
	s_delay_alu instid0(SALU_CYCLE_1)
	s_and_b32 s88, s89, exec_lo
.LBB53_141:                             ;   in Loop: Header=BB53_4 Depth=1
	s_or_b32 exec_lo, exec_lo, s87
	s_delay_alu instid0(SALU_CYCLE_1)
	s_and_b32 s87, s88, exec_lo
.LBB53_142:                             ;   in Loop: Header=BB53_4 Depth=1
	s_or_b32 exec_lo, exec_lo, s86
	s_delay_alu instid0(SALU_CYCLE_1)
	s_and_b32 s86, s87, exec_lo
.LBB53_143:                             ;   in Loop: Header=BB53_4 Depth=1
	s_or_b32 exec_lo, exec_lo, s85
	s_delay_alu instid0(SALU_CYCLE_1)
	s_and_b32 s85, s86, exec_lo
.LBB53_144:                             ;   in Loop: Header=BB53_4 Depth=1
	s_or_b32 exec_lo, exec_lo, s84
	s_delay_alu instid0(SALU_CYCLE_1)
	s_and_b32 s84, s85, exec_lo
.LBB53_145:                             ;   in Loop: Header=BB53_4 Depth=1
	s_or_b32 exec_lo, exec_lo, s83
	s_delay_alu instid0(SALU_CYCLE_1)
	s_and_b32 s83, s84, exec_lo
.LBB53_146:                             ;   in Loop: Header=BB53_4 Depth=1
	s_or_b32 exec_lo, exec_lo, s82
	s_delay_alu instid0(SALU_CYCLE_1)
	s_and_b32 s82, s83, exec_lo
.LBB53_147:                             ;   in Loop: Header=BB53_4 Depth=1
	s_or_b32 exec_lo, exec_lo, s81
	s_delay_alu instid0(SALU_CYCLE_1)
	s_and_b32 s81, s82, exec_lo
.LBB53_148:                             ;   in Loop: Header=BB53_4 Depth=1
	s_or_b32 exec_lo, exec_lo, s80
	s_delay_alu instid0(SALU_CYCLE_1)
	s_and_b32 s80, s81, exec_lo
.LBB53_149:                             ;   in Loop: Header=BB53_4 Depth=1
	s_or_b32 exec_lo, exec_lo, s79
	s_delay_alu instid0(SALU_CYCLE_1)
	s_and_b32 s79, s80, exec_lo
.LBB53_150:                             ;   in Loop: Header=BB53_4 Depth=1
	s_or_b32 exec_lo, exec_lo, s78
	s_delay_alu instid0(SALU_CYCLE_1)
	s_and_b32 s78, s79, exec_lo
.LBB53_151:                             ;   in Loop: Header=BB53_4 Depth=1
	s_or_b32 exec_lo, exec_lo, s77
	s_delay_alu instid0(SALU_CYCLE_1)
	s_and_b32 s77, s78, exec_lo
.LBB53_152:                             ;   in Loop: Header=BB53_4 Depth=1
	s_or_b32 exec_lo, exec_lo, s76
	s_delay_alu instid0(SALU_CYCLE_1)
	s_and_b32 s76, s77, exec_lo
.LBB53_153:                             ;   in Loop: Header=BB53_4 Depth=1
	s_or_b32 exec_lo, exec_lo, s75
	s_delay_alu instid0(SALU_CYCLE_1)
	s_and_b32 s75, s76, exec_lo
.LBB53_154:                             ;   in Loop: Header=BB53_4 Depth=1
	s_or_b32 exec_lo, exec_lo, s74
	s_delay_alu instid0(SALU_CYCLE_1)
	s_and_b32 s74, s75, exec_lo
.LBB53_155:                             ;   in Loop: Header=BB53_4 Depth=1
	s_or_b32 exec_lo, exec_lo, s73
	s_delay_alu instid0(SALU_CYCLE_1)
	s_and_b32 s73, s74, exec_lo
.LBB53_156:                             ;   in Loop: Header=BB53_4 Depth=1
	s_or_b32 exec_lo, exec_lo, s72
	s_delay_alu instid0(SALU_CYCLE_1)
	s_and_b32 s72, s73, exec_lo
.LBB53_157:                             ;   in Loop: Header=BB53_4 Depth=1
	s_or_b32 exec_lo, exec_lo, s71
	s_delay_alu instid0(SALU_CYCLE_1)
	s_and_b32 s71, s72, exec_lo
.LBB53_158:                             ;   in Loop: Header=BB53_4 Depth=1
	s_or_b32 exec_lo, exec_lo, s70
	s_delay_alu instid0(SALU_CYCLE_1)
	s_and_b32 s70, s71, exec_lo
.LBB53_159:                             ;   in Loop: Header=BB53_4 Depth=1
	s_or_b32 exec_lo, exec_lo, s69
	s_delay_alu instid0(SALU_CYCLE_1)
	s_and_b32 s69, s70, exec_lo
.LBB53_160:                             ;   in Loop: Header=BB53_4 Depth=1
	s_or_b32 exec_lo, exec_lo, s68
	s_delay_alu instid0(SALU_CYCLE_1)
	s_and_b32 s68, s69, exec_lo
.LBB53_161:                             ;   in Loop: Header=BB53_4 Depth=1
	s_or_b32 exec_lo, exec_lo, s67
	s_delay_alu instid0(SALU_CYCLE_1)
	s_and_b32 s67, s68, exec_lo
.LBB53_162:                             ;   in Loop: Header=BB53_4 Depth=1
	s_or_b32 exec_lo, exec_lo, s66
	s_delay_alu instid0(SALU_CYCLE_1)
	s_and_b32 s66, s67, exec_lo
.LBB53_163:                             ;   in Loop: Header=BB53_4 Depth=1
	s_or_b32 exec_lo, exec_lo, s65
	s_delay_alu instid0(SALU_CYCLE_1)
	s_and_b32 s65, s66, exec_lo
.LBB53_164:                             ;   in Loop: Header=BB53_4 Depth=1
	s_or_b32 exec_lo, exec_lo, vcc_hi
	s_delay_alu instid0(SALU_CYCLE_1)
	s_and_b32 s65, s65, exec_lo
.LBB53_165:                             ;   in Loop: Header=BB53_4 Depth=1
	s_or_b32 exec_lo, exec_lo, s104
	s_delay_alu instid0(SALU_CYCLE_1)
	s_and_b32 s65, s65, exec_lo
.LBB53_166:                             ;   in Loop: Header=BB53_4 Depth=1
	s_or_b32 exec_lo, exec_lo, s103
	s_delay_alu instid0(SALU_CYCLE_1)
	s_and_b32 s65, s65, exec_lo
.LBB53_167:                             ;   in Loop: Header=BB53_4 Depth=1
	s_or_b32 exec_lo, exec_lo, s102
	s_delay_alu instid0(SALU_CYCLE_1)
	s_and_b32 s65, s65, exec_lo
.LBB53_168:                             ;   in Loop: Header=BB53_4 Depth=1
	s_or_b32 exec_lo, exec_lo, s101
	s_delay_alu instid0(SALU_CYCLE_1)
	s_and_b32 s65, s65, exec_lo
.LBB53_169:                             ;   in Loop: Header=BB53_4 Depth=1
	s_or_b32 exec_lo, exec_lo, s100
	s_delay_alu instid0(SALU_CYCLE_1)
	s_and_b32 s65, s65, exec_lo
.LBB53_170:                             ;   in Loop: Header=BB53_4 Depth=1
	s_or_b32 exec_lo, exec_lo, s99
	s_delay_alu instid0(SALU_CYCLE_1)
	s_and_b32 s65, s65, exec_lo
.LBB53_171:                             ;   in Loop: Header=BB53_4 Depth=1
	s_or_b32 exec_lo, exec_lo, s98
	s_delay_alu instid0(SALU_CYCLE_1)
	s_and_b32 s65, s65, exec_lo
.LBB53_172:                             ;   in Loop: Header=BB53_4 Depth=1
	s_delay_alu instid0(VALU_DEP_1) | instskip(NEXT) | instid1(VALU_DEP_1)
	v_readlane_b32 s66, v9, 0
	s_or_b32 exec_lo, exec_lo, s66
	s_delay_alu instid0(SALU_CYCLE_1)
	s_and_b32 s65, s65, exec_lo
.LBB53_173:                             ;   in Loop: Header=BB53_4 Depth=1
	s_delay_alu instid0(VALU_DEP_1) | instskip(NEXT) | instid1(VALU_DEP_1)
	v_readlane_b32 s66, v10, 31
	s_or_b32 exec_lo, exec_lo, s66
	s_delay_alu instid0(SALU_CYCLE_1)
	s_and_b32 s65, s65, exec_lo
.LBB53_174:                             ;   in Loop: Header=BB53_4 Depth=1
	s_delay_alu instid0(VALU_DEP_1) | instskip(NEXT) | instid1(VALU_DEP_1)
	v_readlane_b32 s66, v10, 30
	s_or_b32 exec_lo, exec_lo, s66
	s_delay_alu instid0(SALU_CYCLE_1)
	s_and_b32 s65, s65, exec_lo
.LBB53_175:                             ;   in Loop: Header=BB53_4 Depth=1
	s_delay_alu instid0(VALU_DEP_1) | instskip(NEXT) | instid1(VALU_DEP_1)
	v_readlane_b32 s66, v10, 29
	s_or_b32 exec_lo, exec_lo, s66
	s_delay_alu instid0(SALU_CYCLE_1)
	s_and_b32 s65, s65, exec_lo
.LBB53_176:                             ;   in Loop: Header=BB53_4 Depth=1
	s_delay_alu instid0(VALU_DEP_1) | instskip(NEXT) | instid1(VALU_DEP_1)
	v_readlane_b32 s66, v10, 28
	s_or_b32 exec_lo, exec_lo, s66
	s_delay_alu instid0(SALU_CYCLE_1)
	s_and_b32 s65, s65, exec_lo
.LBB53_177:                             ;   in Loop: Header=BB53_4 Depth=1
	s_delay_alu instid0(VALU_DEP_1) | instskip(NEXT) | instid1(VALU_DEP_1)
	v_readlane_b32 s66, v10, 27
	s_or_b32 exec_lo, exec_lo, s66
	s_delay_alu instid0(SALU_CYCLE_1)
	s_and_b32 s65, s65, exec_lo
.LBB53_178:                             ;   in Loop: Header=BB53_4 Depth=1
	s_delay_alu instid0(VALU_DEP_1) | instskip(NEXT) | instid1(VALU_DEP_1)
	v_readlane_b32 s66, v10, 26
	s_or_b32 exec_lo, exec_lo, s66
	s_delay_alu instid0(SALU_CYCLE_1)
	s_and_b32 s65, s65, exec_lo
.LBB53_179:                             ;   in Loop: Header=BB53_4 Depth=1
	s_delay_alu instid0(VALU_DEP_1) | instskip(NEXT) | instid1(VALU_DEP_1)
	v_readlane_b32 s66, v10, 25
	s_or_b32 exec_lo, exec_lo, s66
	s_delay_alu instid0(SALU_CYCLE_1)
	s_and_b32 s65, s65, exec_lo
.LBB53_180:                             ;   in Loop: Header=BB53_4 Depth=1
	s_delay_alu instid0(VALU_DEP_1) | instskip(NEXT) | instid1(VALU_DEP_1)
	v_readlane_b32 s66, v10, 24
	s_or_b32 exec_lo, exec_lo, s66
	s_delay_alu instid0(SALU_CYCLE_1)
	s_and_b32 s65, s65, exec_lo
.LBB53_181:                             ;   in Loop: Header=BB53_4 Depth=1
	s_delay_alu instid0(VALU_DEP_1) | instskip(NEXT) | instid1(VALU_DEP_1)
	v_readlane_b32 s66, v10, 23
	s_or_b32 exec_lo, exec_lo, s66
	s_delay_alu instid0(SALU_CYCLE_1)
	s_and_b32 s65, s65, exec_lo
.LBB53_182:                             ;   in Loop: Header=BB53_4 Depth=1
	s_delay_alu instid0(VALU_DEP_1) | instskip(NEXT) | instid1(VALU_DEP_1)
	v_readlane_b32 s66, v10, 22
	s_or_b32 exec_lo, exec_lo, s66
	s_delay_alu instid0(SALU_CYCLE_1)
	s_and_b32 s65, s65, exec_lo
.LBB53_183:                             ;   in Loop: Header=BB53_4 Depth=1
	s_delay_alu instid0(VALU_DEP_1) | instskip(NEXT) | instid1(VALU_DEP_1)
	v_readlane_b32 s66, v10, 21
	s_or_b32 exec_lo, exec_lo, s66
	s_delay_alu instid0(SALU_CYCLE_1)
	s_and_b32 s65, s65, exec_lo
.LBB53_184:                             ;   in Loop: Header=BB53_4 Depth=1
	s_delay_alu instid0(VALU_DEP_1) | instskip(NEXT) | instid1(VALU_DEP_1)
	v_readlane_b32 s66, v10, 20
	s_or_b32 exec_lo, exec_lo, s66
	s_delay_alu instid0(SALU_CYCLE_1)
	s_and_b32 s65, s65, exec_lo
.LBB53_185:                             ;   in Loop: Header=BB53_4 Depth=1
	s_delay_alu instid0(VALU_DEP_1) | instskip(NEXT) | instid1(VALU_DEP_1)
	v_readlane_b32 s66, v10, 19
	s_or_b32 exec_lo, exec_lo, s66
	s_delay_alu instid0(SALU_CYCLE_1)
	s_and_b32 s65, s65, exec_lo
.LBB53_186:                             ;   in Loop: Header=BB53_4 Depth=1
	s_delay_alu instid0(VALU_DEP_1) | instskip(NEXT) | instid1(VALU_DEP_1)
	v_readlane_b32 s66, v10, 18
	s_or_b32 exec_lo, exec_lo, s66
	s_delay_alu instid0(SALU_CYCLE_1)
	s_and_b32 s65, s65, exec_lo
.LBB53_187:                             ;   in Loop: Header=BB53_4 Depth=1
	s_delay_alu instid0(VALU_DEP_1) | instskip(NEXT) | instid1(VALU_DEP_1)
	v_readlane_b32 s66, v10, 17
	s_or_b32 exec_lo, exec_lo, s66
	s_delay_alu instid0(SALU_CYCLE_1)
	s_and_b32 s65, s65, exec_lo
.LBB53_188:                             ;   in Loop: Header=BB53_4 Depth=1
	s_delay_alu instid0(VALU_DEP_1) | instskip(NEXT) | instid1(VALU_DEP_1)
	v_readlane_b32 s66, v10, 16
	s_or_b32 exec_lo, exec_lo, s66
	s_delay_alu instid0(SALU_CYCLE_1)
	s_and_b32 s65, s65, exec_lo
.LBB53_189:                             ;   in Loop: Header=BB53_4 Depth=1
	s_delay_alu instid0(VALU_DEP_1) | instskip(NEXT) | instid1(VALU_DEP_1)
	v_readlane_b32 s66, v10, 15
	s_or_b32 exec_lo, exec_lo, s66
	s_delay_alu instid0(SALU_CYCLE_1)
	s_and_b32 s65, s65, exec_lo
.LBB53_190:                             ;   in Loop: Header=BB53_4 Depth=1
	s_delay_alu instid0(VALU_DEP_1) | instskip(NEXT) | instid1(VALU_DEP_1)
	v_readlane_b32 s66, v10, 14
	s_or_b32 exec_lo, exec_lo, s66
	s_delay_alu instid0(SALU_CYCLE_1)
	s_and_b32 s65, s65, exec_lo
.LBB53_191:                             ;   in Loop: Header=BB53_4 Depth=1
	s_delay_alu instid0(VALU_DEP_1) | instskip(NEXT) | instid1(VALU_DEP_1)
	v_readlane_b32 s66, v10, 13
	s_or_b32 exec_lo, exec_lo, s66
	s_delay_alu instid0(SALU_CYCLE_1)
	s_and_b32 s65, s65, exec_lo
.LBB53_192:                             ;   in Loop: Header=BB53_4 Depth=1
	s_delay_alu instid0(VALU_DEP_1) | instskip(NEXT) | instid1(VALU_DEP_1)
	v_readlane_b32 s66, v10, 12
	s_or_b32 exec_lo, exec_lo, s66
	s_delay_alu instid0(SALU_CYCLE_1)
	s_and_b32 s65, s65, exec_lo
.LBB53_193:                             ;   in Loop: Header=BB53_4 Depth=1
	s_delay_alu instid0(VALU_DEP_1) | instskip(NEXT) | instid1(VALU_DEP_1)
	v_readlane_b32 s66, v10, 11
	s_or_b32 exec_lo, exec_lo, s66
	s_delay_alu instid0(SALU_CYCLE_1)
	s_and_b32 s65, s65, exec_lo
.LBB53_194:                             ;   in Loop: Header=BB53_4 Depth=1
	s_delay_alu instid0(VALU_DEP_1) | instskip(NEXT) | instid1(VALU_DEP_1)
	v_readlane_b32 s66, v10, 10
	s_or_b32 exec_lo, exec_lo, s66
	s_delay_alu instid0(SALU_CYCLE_1)
	s_and_b32 s65, s65, exec_lo
.LBB53_195:                             ;   in Loop: Header=BB53_4 Depth=1
	s_delay_alu instid0(VALU_DEP_1) | instskip(NEXT) | instid1(VALU_DEP_1)
	v_readlane_b32 s66, v10, 9
	s_or_b32 exec_lo, exec_lo, s66
	s_delay_alu instid0(SALU_CYCLE_1)
	s_and_b32 s65, s65, exec_lo
.LBB53_196:                             ;   in Loop: Header=BB53_4 Depth=1
	s_delay_alu instid0(VALU_DEP_1) | instskip(NEXT) | instid1(VALU_DEP_1)
	v_readlane_b32 s66, v10, 8
	s_or_b32 exec_lo, exec_lo, s66
	s_delay_alu instid0(SALU_CYCLE_1)
	s_and_b32 s65, s65, exec_lo
.LBB53_197:                             ;   in Loop: Header=BB53_4 Depth=1
	s_delay_alu instid0(VALU_DEP_1) | instskip(NEXT) | instid1(VALU_DEP_1)
	v_readlane_b32 s66, v10, 7
	s_or_b32 exec_lo, exec_lo, s66
	s_delay_alu instid0(SALU_CYCLE_1)
	s_and_b32 s65, s65, exec_lo
.LBB53_198:                             ;   in Loop: Header=BB53_4 Depth=1
	s_delay_alu instid0(VALU_DEP_1) | instskip(NEXT) | instid1(VALU_DEP_1)
	v_readlane_b32 s66, v10, 6
	s_or_b32 exec_lo, exec_lo, s66
	s_delay_alu instid0(SALU_CYCLE_1)
	s_and_b32 s65, s65, exec_lo
.LBB53_199:                             ;   in Loop: Header=BB53_4 Depth=1
	s_delay_alu instid0(VALU_DEP_1) | instskip(NEXT) | instid1(VALU_DEP_1)
	v_readlane_b32 s66, v10, 5
	s_or_b32 exec_lo, exec_lo, s66
	s_delay_alu instid0(SALU_CYCLE_1)
	s_and_b32 s65, s65, exec_lo
.LBB53_200:                             ;   in Loop: Header=BB53_4 Depth=1
	s_delay_alu instid0(VALU_DEP_1) | instskip(NEXT) | instid1(VALU_DEP_1)
	v_readlane_b32 s66, v10, 4
	s_or_b32 exec_lo, exec_lo, s66
	s_delay_alu instid0(SALU_CYCLE_1)
	s_and_b32 s65, s65, exec_lo
.LBB53_201:                             ;   in Loop: Header=BB53_4 Depth=1
	s_delay_alu instid0(VALU_DEP_1) | instskip(NEXT) | instid1(VALU_DEP_1)
	v_readlane_b32 s66, v10, 3
	s_or_b32 exec_lo, exec_lo, s66
	s_delay_alu instid0(SALU_CYCLE_1)
	s_and_b32 s65, s65, exec_lo
.LBB53_202:                             ;   in Loop: Header=BB53_4 Depth=1
	s_delay_alu instid0(VALU_DEP_1) | instskip(NEXT) | instid1(VALU_DEP_1)
	v_readlane_b32 s66, v10, 2
	s_or_b32 exec_lo, exec_lo, s66
	s_delay_alu instid0(SALU_CYCLE_1)
	s_and_b32 s65, s65, exec_lo
.LBB53_203:                             ;   in Loop: Header=BB53_4 Depth=1
	s_delay_alu instid0(VALU_DEP_1) | instskip(NEXT) | instid1(VALU_DEP_1)
	v_readlane_b32 s66, v10, 1
	s_or_b32 exec_lo, exec_lo, s66
	s_delay_alu instid0(SALU_CYCLE_1)
	s_and_b32 s65, s65, exec_lo
.LBB53_204:                             ;   in Loop: Header=BB53_4 Depth=1
	s_delay_alu instid0(VALU_DEP_1) | instskip(NEXT) | instid1(VALU_DEP_1)
	v_readlane_b32 s66, v10, 0
	s_or_b32 exec_lo, exec_lo, s66
	s_delay_alu instid0(SALU_CYCLE_1)
	s_and_b32 s65, s65, exec_lo
.LBB53_205:                             ;   in Loop: Header=BB53_4 Depth=1
	s_or_b32 exec_lo, exec_lo, s64
	s_delay_alu instid0(SALU_CYCLE_1)
	s_and_b32 s64, s65, exec_lo
.LBB53_206:                             ;   in Loop: Header=BB53_4 Depth=1
	s_or_b32 exec_lo, exec_lo, s63
	s_delay_alu instid0(SALU_CYCLE_1)
	s_and_b32 s63, s64, exec_lo
.LBB53_207:                             ;   in Loop: Header=BB53_4 Depth=1
	s_or_b32 exec_lo, exec_lo, s62
	s_delay_alu instid0(SALU_CYCLE_1)
	s_and_b32 s62, s63, exec_lo
.LBB53_208:                             ;   in Loop: Header=BB53_4 Depth=1
	s_or_b32 exec_lo, exec_lo, s61
	s_delay_alu instid0(SALU_CYCLE_1)
	s_and_b32 s61, s62, exec_lo
.LBB53_209:                             ;   in Loop: Header=BB53_4 Depth=1
	s_or_b32 exec_lo, exec_lo, s60
	s_delay_alu instid0(SALU_CYCLE_1)
	s_and_b32 s60, s61, exec_lo
.LBB53_210:                             ;   in Loop: Header=BB53_4 Depth=1
	s_or_b32 exec_lo, exec_lo, s59
	s_delay_alu instid0(SALU_CYCLE_1)
	s_and_b32 s59, s60, exec_lo
.LBB53_211:                             ;   in Loop: Header=BB53_4 Depth=1
	s_or_b32 exec_lo, exec_lo, s58
	s_delay_alu instid0(SALU_CYCLE_1)
	s_and_b32 s58, s59, exec_lo
.LBB53_212:                             ;   in Loop: Header=BB53_4 Depth=1
	s_or_b32 exec_lo, exec_lo, s57
	s_delay_alu instid0(SALU_CYCLE_1)
	s_and_b32 s57, s58, exec_lo
.LBB53_213:                             ;   in Loop: Header=BB53_4 Depth=1
	s_or_b32 exec_lo, exec_lo, s56
	s_delay_alu instid0(SALU_CYCLE_1)
	s_and_b32 s56, s57, exec_lo
.LBB53_214:                             ;   in Loop: Header=BB53_4 Depth=1
	s_or_b32 exec_lo, exec_lo, s55
	s_delay_alu instid0(SALU_CYCLE_1)
	s_and_b32 s55, s56, exec_lo
.LBB53_215:                             ;   in Loop: Header=BB53_4 Depth=1
	s_or_b32 exec_lo, exec_lo, s54
	s_delay_alu instid0(SALU_CYCLE_1)
	s_and_b32 s54, s55, exec_lo
.LBB53_216:                             ;   in Loop: Header=BB53_4 Depth=1
	s_or_b32 exec_lo, exec_lo, s53
	s_delay_alu instid0(SALU_CYCLE_1)
	s_and_b32 s53, s54, exec_lo
.LBB53_217:                             ;   in Loop: Header=BB53_4 Depth=1
	s_or_b32 exec_lo, exec_lo, s52
	s_delay_alu instid0(SALU_CYCLE_1)
	s_and_b32 s52, s53, exec_lo
.LBB53_218:                             ;   in Loop: Header=BB53_4 Depth=1
	s_or_b32 exec_lo, exec_lo, s51
	s_delay_alu instid0(SALU_CYCLE_1)
	s_and_b32 s51, s52, exec_lo
.LBB53_219:                             ;   in Loop: Header=BB53_4 Depth=1
	s_or_b32 exec_lo, exec_lo, s50
	s_delay_alu instid0(SALU_CYCLE_1)
	s_and_b32 s50, s51, exec_lo
.LBB53_220:                             ;   in Loop: Header=BB53_4 Depth=1
	s_or_b32 exec_lo, exec_lo, s49
	s_delay_alu instid0(SALU_CYCLE_1)
	s_and_b32 s49, s50, exec_lo
.LBB53_221:                             ;   in Loop: Header=BB53_4 Depth=1
	s_or_b32 exec_lo, exec_lo, s48
	s_delay_alu instid0(SALU_CYCLE_1)
	s_and_b32 s48, s49, exec_lo
.LBB53_222:                             ;   in Loop: Header=BB53_4 Depth=1
	s_or_b32 exec_lo, exec_lo, s47
	s_delay_alu instid0(SALU_CYCLE_1)
	s_and_b32 s47, s48, exec_lo
.LBB53_223:                             ;   in Loop: Header=BB53_4 Depth=1
	s_or_b32 exec_lo, exec_lo, s46
	s_delay_alu instid0(SALU_CYCLE_1)
	s_and_b32 s46, s47, exec_lo
.LBB53_224:                             ;   in Loop: Header=BB53_4 Depth=1
	s_or_b32 exec_lo, exec_lo, s45
	s_delay_alu instid0(SALU_CYCLE_1)
	s_and_b32 s45, s46, exec_lo
.LBB53_225:                             ;   in Loop: Header=BB53_4 Depth=1
	s_or_b32 exec_lo, exec_lo, s44
	s_delay_alu instid0(SALU_CYCLE_1)
	s_and_b32 s44, s45, exec_lo
.LBB53_226:                             ;   in Loop: Header=BB53_4 Depth=1
	s_or_b32 exec_lo, exec_lo, s43
	s_delay_alu instid0(SALU_CYCLE_1)
	s_and_b32 s43, s44, exec_lo
.LBB53_227:                             ;   in Loop: Header=BB53_4 Depth=1
	s_or_b32 exec_lo, exec_lo, s42
	s_delay_alu instid0(SALU_CYCLE_1)
	s_and_b32 s42, s43, exec_lo
.LBB53_228:                             ;   in Loop: Header=BB53_4 Depth=1
	s_or_b32 exec_lo, exec_lo, s41
	s_delay_alu instid0(SALU_CYCLE_1)
	s_and_b32 s41, s42, exec_lo
.LBB53_229:                             ;   in Loop: Header=BB53_4 Depth=1
	s_or_b32 exec_lo, exec_lo, s40
	s_delay_alu instid0(SALU_CYCLE_1)
	s_and_b32 s40, s41, exec_lo
.LBB53_230:                             ;   in Loop: Header=BB53_4 Depth=1
	s_or_b32 exec_lo, exec_lo, s39
	s_delay_alu instid0(SALU_CYCLE_1)
	s_and_b32 s39, s40, exec_lo
.LBB53_231:                             ;   in Loop: Header=BB53_4 Depth=1
	s_or_b32 exec_lo, exec_lo, s38
	s_delay_alu instid0(SALU_CYCLE_1)
	s_and_b32 s38, s39, exec_lo
.LBB53_232:                             ;   in Loop: Header=BB53_4 Depth=1
	s_or_b32 exec_lo, exec_lo, s37
	s_delay_alu instid0(SALU_CYCLE_1)
	s_and_b32 s37, s38, exec_lo
.LBB53_233:                             ;   in Loop: Header=BB53_4 Depth=1
	s_or_b32 exec_lo, exec_lo, s36
	s_delay_alu instid0(SALU_CYCLE_1)
	s_and_b32 s36, s37, exec_lo
.LBB53_234:                             ;   in Loop: Header=BB53_4 Depth=1
	s_or_b32 exec_lo, exec_lo, s35
	s_delay_alu instid0(SALU_CYCLE_1)
	s_and_b32 s35, s36, exec_lo
.LBB53_235:                             ;   in Loop: Header=BB53_4 Depth=1
	s_or_b32 exec_lo, exec_lo, s34
	s_delay_alu instid0(SALU_CYCLE_1)
	s_and_b32 s34, s35, exec_lo
.LBB53_236:                             ;   in Loop: Header=BB53_4 Depth=1
	s_or_b32 exec_lo, exec_lo, s33
	s_delay_alu instid0(SALU_CYCLE_1)
	s_and_b32 s33, s34, exec_lo
.LBB53_237:                             ;   in Loop: Header=BB53_4 Depth=1
	s_or_b32 exec_lo, exec_lo, s31
	s_delay_alu instid0(SALU_CYCLE_1)
	s_and_b32 s31, s33, exec_lo
.LBB53_238:                             ;   in Loop: Header=BB53_4 Depth=1
	s_or_b32 exec_lo, exec_lo, s30
	s_delay_alu instid0(SALU_CYCLE_1)
	s_and_b32 s30, s31, exec_lo
.LBB53_239:                             ;   in Loop: Header=BB53_4 Depth=1
	s_or_b32 exec_lo, exec_lo, s29
	s_delay_alu instid0(SALU_CYCLE_1)
	s_and_b32 s29, s30, exec_lo
.LBB53_240:                             ;   in Loop: Header=BB53_4 Depth=1
	s_or_b32 exec_lo, exec_lo, s28
	s_delay_alu instid0(SALU_CYCLE_1)
	s_and_b32 s28, s29, exec_lo
.LBB53_241:                             ;   in Loop: Header=BB53_4 Depth=1
	s_or_b32 exec_lo, exec_lo, s27
	s_delay_alu instid0(SALU_CYCLE_1)
	s_and_b32 s27, s28, exec_lo
.LBB53_242:                             ;   in Loop: Header=BB53_4 Depth=1
	s_or_b32 exec_lo, exec_lo, s26
	s_delay_alu instid0(SALU_CYCLE_1)
	s_and_b32 s26, s27, exec_lo
.LBB53_243:                             ;   in Loop: Header=BB53_4 Depth=1
	s_or_b32 exec_lo, exec_lo, s25
	s_delay_alu instid0(SALU_CYCLE_1)
	s_and_b32 s25, s26, exec_lo
.LBB53_244:                             ;   in Loop: Header=BB53_4 Depth=1
	s_or_b32 exec_lo, exec_lo, s24
	s_delay_alu instid0(SALU_CYCLE_1)
	s_and_b32 s24, s25, exec_lo
.LBB53_245:                             ;   in Loop: Header=BB53_4 Depth=1
	s_or_b32 exec_lo, exec_lo, s23
	s_delay_alu instid0(SALU_CYCLE_1)
	s_and_b32 s23, s24, exec_lo
.LBB53_246:                             ;   in Loop: Header=BB53_4 Depth=1
	s_or_b32 exec_lo, exec_lo, s22
	s_delay_alu instid0(SALU_CYCLE_1)
	s_and_b32 s22, s23, exec_lo
.LBB53_247:                             ;   in Loop: Header=BB53_4 Depth=1
	s_or_b32 exec_lo, exec_lo, s21
	s_delay_alu instid0(SALU_CYCLE_1)
	s_and_b32 s21, s22, exec_lo
.LBB53_248:                             ;   in Loop: Header=BB53_4 Depth=1
	s_or_b32 exec_lo, exec_lo, s20
	s_delay_alu instid0(SALU_CYCLE_1)
	s_and_b32 s20, s21, exec_lo
.LBB53_249:                             ;   in Loop: Header=BB53_4 Depth=1
	s_or_b32 exec_lo, exec_lo, s19
	s_delay_alu instid0(SALU_CYCLE_1)
	s_and_b32 s19, s20, exec_lo
.LBB53_250:                             ;   in Loop: Header=BB53_4 Depth=1
	s_or_b32 exec_lo, exec_lo, s18
	s_delay_alu instid0(SALU_CYCLE_1)
	s_and_b32 s18, s19, exec_lo
.LBB53_251:                             ;   in Loop: Header=BB53_4 Depth=1
	s_or_b32 exec_lo, exec_lo, s17
	s_delay_alu instid0(SALU_CYCLE_1)
	s_and_b32 s17, s18, exec_lo
.LBB53_252:                             ;   in Loop: Header=BB53_4 Depth=1
	s_or_b32 exec_lo, exec_lo, s16
	s_delay_alu instid0(SALU_CYCLE_1)
	s_and_b32 s16, s17, exec_lo
.LBB53_253:                             ;   in Loop: Header=BB53_4 Depth=1
	s_or_b32 exec_lo, exec_lo, s13
	s_delay_alu instid0(SALU_CYCLE_1)
	s_and_b32 s13, s16, exec_lo
.LBB53_254:                             ;   in Loop: Header=BB53_4 Depth=1
	s_or_b32 exec_lo, exec_lo, s12
	s_delay_alu instid0(SALU_CYCLE_1)
	s_and_b32 s12, s13, exec_lo
.LBB53_255:                             ;   in Loop: Header=BB53_4 Depth=1
	s_or_b32 exec_lo, exec_lo, s11
	s_delay_alu instid0(SALU_CYCLE_1)
	s_and_b32 s11, s12, exec_lo
.LBB53_256:                             ;   in Loop: Header=BB53_4 Depth=1
	s_or_b32 exec_lo, exec_lo, s10
	s_delay_alu instid0(SALU_CYCLE_1)
	s_and_b32 s10, s11, exec_lo
.LBB53_257:                             ;   in Loop: Header=BB53_4 Depth=1
	s_or_b32 exec_lo, exec_lo, s8
	v_cndmask_b32_e64 v1, 0, 1, s10
	;;#ASMSTART
	;;#ASMEND
	s_delay_alu instid0(VALU_DEP_1)
	v_cmp_ne_u32_e32 vcc_lo, 0, v1
	s_mov_b32 s8, exec_lo
	s_and_saveexec_b32 s10, s0
	s_cbranch_execz .LBB53_3
; %bb.258:                              ;   in Loop: Header=BB53_4 Depth=1
	s_cmp_eq_u32 vcc_lo, s8
	s_cselect_b32 s8, -1, 0
	s_delay_alu instid0(SALU_CYCLE_1)
	v_cndmask_b32_e64 v1, 0, 1, s8
	ds_store_b32 v5, v1
	s_branch .LBB53_3
.LBB53_259:                             ;   in Loop: Header=BB53_4 Depth=1
                                        ; implicit-def: $sgpr5
	s_cbranch_execz .LBB53_4
.LBB53_260:
	s_mov_b32 s0, exec_lo
	v_cmpx_eq_u32_e32 0, v0
	s_cbranch_execz .LBB53_262
; %bb.261:
	s_mul_i32 s0, s1, s15
	v_dual_mov_b32 v0, 0 :: v_dual_mov_b32 v1, s2
	s_add_i32 s0, s0, s14
	s_delay_alu instid0(SALU_CYCLE_1) | instskip(NEXT) | instid1(SALU_CYCLE_1)
	s_ashr_i32 s1, s0, 31
	s_lshl_b64 s[0:1], s[0:1], 2
	s_delay_alu instid0(SALU_CYCLE_1)
	s_add_u32 s0, s6, s0
	s_addc_u32 s1, s7, s1
	global_store_b32 v0, v1, s[0:1]
.LBB53_262:
	s_nop 0
	s_sendmsg sendmsg(MSG_DEALLOC_VGPRS)
	s_endpgm
	.section	.rodata,"a",@progbits
	.p2align	6, 0x0
	.amdhsa_kernel _ZL25flash_attn_mask_to_KV_maxILi64EEvPK7__half2Piiii
		.amdhsa_group_segment_fixed_size 128
		.amdhsa_private_segment_fixed_size 0
		.amdhsa_kernarg_size 288
		.amdhsa_user_sgpr_count 14
		.amdhsa_user_sgpr_dispatch_ptr 0
		.amdhsa_user_sgpr_queue_ptr 0
		.amdhsa_user_sgpr_kernarg_segment_ptr 1
		.amdhsa_user_sgpr_dispatch_id 0
		.amdhsa_user_sgpr_private_segment_size 0
		.amdhsa_wavefront_size32 1
		.amdhsa_uses_dynamic_stack 0
		.amdhsa_enable_private_segment 0
		.amdhsa_system_sgpr_workgroup_id_x 1
		.amdhsa_system_sgpr_workgroup_id_y 1
		.amdhsa_system_sgpr_workgroup_id_z 0
		.amdhsa_system_sgpr_workgroup_info 0
		.amdhsa_system_vgpr_workitem_id 0
		.amdhsa_next_free_vgpr 11
		.amdhsa_next_free_sgpr 105
		.amdhsa_reserve_vcc 1
		.amdhsa_float_round_mode_32 0
		.amdhsa_float_round_mode_16_64 0
		.amdhsa_float_denorm_mode_32 3
		.amdhsa_float_denorm_mode_16_64 3
		.amdhsa_dx10_clamp 1
		.amdhsa_ieee_mode 1
		.amdhsa_fp16_overflow 0
		.amdhsa_workgroup_processor_mode 1
		.amdhsa_memory_ordered 1
		.amdhsa_forward_progress 0
		.amdhsa_shared_vgpr_count 0
		.amdhsa_exception_fp_ieee_invalid_op 0
		.amdhsa_exception_fp_denorm_src 0
		.amdhsa_exception_fp_ieee_div_zero 0
		.amdhsa_exception_fp_ieee_overflow 0
		.amdhsa_exception_fp_ieee_underflow 0
		.amdhsa_exception_fp_ieee_inexact 0
		.amdhsa_exception_int_div_zero 0
	.end_amdhsa_kernel
	.section	.text._ZL25flash_attn_mask_to_KV_maxILi64EEvPK7__half2Piiii,"axG",@progbits,_ZL25flash_attn_mask_to_KV_maxILi64EEvPK7__half2Piiii,comdat
.Lfunc_end53:
	.size	_ZL25flash_attn_mask_to_KV_maxILi64EEvPK7__half2Piiii, .Lfunc_end53-_ZL25flash_attn_mask_to_KV_maxILi64EEvPK7__half2Piiii
                                        ; -- End function
	.section	.AMDGPU.csdata,"",@progbits
; Kernel info:
; codeLenInByte = 9596
; NumSgprs: 107
; NumVgprs: 11
; ScratchSize: 0
; MemoryBound: 0
; FloatMode: 240
; IeeeMode: 1
; LDSByteSize: 128 bytes/workgroup (compile time only)
; SGPRBlocks: 13
; VGPRBlocks: 1
; NumSGPRsForWavesPerEU: 107
; NumVGPRsForWavesPerEU: 11
; Occupancy: 16
; WaveLimiterHint : 0
; COMPUTE_PGM_RSRC2:SCRATCH_EN: 0
; COMPUTE_PGM_RSRC2:USER_SGPR: 14
; COMPUTE_PGM_RSRC2:TRAP_HANDLER: 0
; COMPUTE_PGM_RSRC2:TGID_X_EN: 1
; COMPUTE_PGM_RSRC2:TGID_Y_EN: 1
; COMPUTE_PGM_RSRC2:TGID_Z_EN: 0
; COMPUTE_PGM_RSRC2:TIDIG_COMP_CNT: 0
	.section	.text._ZL33flash_attn_stream_k_fixup_uniformILi40ELi64ELi1EEvPfPK15HIP_vector_typeIfLj2EEiiiiiiS1_IjLj3EES5_S5_,"axG",@progbits,_ZL33flash_attn_stream_k_fixup_uniformILi40ELi64ELi1EEvPfPK15HIP_vector_typeIfLj2EEiiiiiiS1_IjLj3EES5_S5_,comdat
	.globl	_ZL33flash_attn_stream_k_fixup_uniformILi40ELi64ELi1EEvPfPK15HIP_vector_typeIfLj2EEiiiiiiS1_IjLj3EES5_S5_ ; -- Begin function _ZL33flash_attn_stream_k_fixup_uniformILi40ELi64ELi1EEvPfPK15HIP_vector_typeIfLj2EEiiiiiiS1_IjLj3EES5_S5_
	.p2align	8
	.type	_ZL33flash_attn_stream_k_fixup_uniformILi40ELi64ELi1EEvPfPK15HIP_vector_typeIfLj2EEiiiiiiS1_IjLj3EES5_S5_,@function
_ZL33flash_attn_stream_k_fixup_uniformILi40ELi64ELi1EEvPfPK15HIP_vector_typeIfLj2EEiiiiiiS1_IjLj3EES5_S5_: ; @_ZL33flash_attn_stream_k_fixup_uniformILi40ELi64ELi1EEvPfPK15HIP_vector_typeIfLj2EEiiiiiiS1_IjLj3EES5_S5_
; %bb.0:
	s_clause 0x1
	s_load_b256 s[4:11], s[0:1], 0x1c
	s_load_b128 s[16:19], s[0:1], 0x3c
	s_waitcnt lgkmcnt(0)
	s_mul_hi_u32 s2, s7, s13
	s_delay_alu instid0(SALU_CYCLE_1) | instskip(NEXT) | instid1(SALU_CYCLE_1)
	s_add_i32 s2, s13, s2
	s_lshr_b32 s2, s2, s8
	s_delay_alu instid0(SALU_CYCLE_1) | instskip(SKIP_2) | instid1(SALU_CYCLE_1)
	s_mul_i32 s3, s2, s9
	s_load_b64 s[8:9], s[0:1], 0x10
	s_sub_i32 s3, s13, s3
	s_mul_hi_u32 s7, s3, s10
	s_delay_alu instid0(SALU_CYCLE_1) | instskip(NEXT) | instid1(SALU_CYCLE_1)
	s_add_i32 s7, s3, s7
	s_lshr_b32 s7, s7, s11
	s_delay_alu instid0(SALU_CYCLE_1) | instskip(NEXT) | instid1(SALU_CYCLE_1)
	s_mul_i32 s10, s7, s16
	s_sub_i32 s3, s3, s10
	s_delay_alu instid0(SALU_CYCLE_1) | instskip(NEXT) | instid1(SALU_CYCLE_1)
	s_mul_hi_u32 s10, s3, s17
	s_add_i32 s10, s3, s10
	s_delay_alu instid0(SALU_CYCLE_1) | instskip(NEXT) | instid1(SALU_CYCLE_1)
	s_lshr_b32 s11, s10, s18
	s_mul_i32 s10, s11, s19
	s_delay_alu instid0(SALU_CYCLE_1) | instskip(NEXT) | instid1(SALU_CYCLE_1)
	s_sub_i32 s10, s3, s10
	s_lshl_b32 s3, s10, 6
	s_delay_alu instid0(SALU_CYCLE_1) | instskip(SKIP_4) | instid1(SALU_CYCLE_1)
	s_add_i32 s3, s3, s14
	s_waitcnt lgkmcnt(0)
	s_cmp_lt_i32 s3, s8
	s_cselect_b32 s3, -1, 0
	s_add_i32 s11, s11, s15
	s_cmp_lt_i32 s11, s5
	s_cselect_b32 s12, -1, 0
	s_delay_alu instid0(SALU_CYCLE_1) | instskip(NEXT) | instid1(SALU_CYCLE_1)
	s_and_b32 s3, s3, s12
	s_and_not1_b32 vcc_lo, exec_lo, s3
	s_cbranch_vccnz .LBB54_6
; %bb.1:
	s_mul_i32 s8, s2, s8
	s_mul_i32 s7, s7, s5
	s_add_i32 s8, s8, s14
	s_add_i32 s5, s11, s7
	s_mul_i32 s8, s8, s9
	s_load_b128 s[0:3], s[0:1], 0x0
	s_mul_i32 s7, s9, s10
	s_add_i32 s5, s5, s8
	s_mulk_i32 s7, 0xa00
	s_mul_i32 s5, s5, 40
	s_add_i32 s10, s14, s15
	v_add3_u32 v1, s5, s7, v0
	s_mul_i32 s5, s13, s6
	s_delay_alu instid0(SALU_CYCLE_1) | instskip(NEXT) | instid1(VALU_DEP_1)
	s_add_i32 s9, s5, s6
	v_ashrrev_i32_e32 v2, 31, v1
	s_delay_alu instid0(VALU_DEP_1) | instskip(SKIP_1) | instid1(VALU_DEP_1)
	v_lshlrev_b64 v[1:2], 2, v[1:2]
	s_waitcnt lgkmcnt(0)
	v_add_co_u32 v1, vcc_lo, s0, v1
	s_delay_alu instid0(VALU_DEP_2) | instskip(SKIP_1) | instid1(SALU_CYCLE_1)
	v_add_co_ci_u32_e32 v2, vcc_lo, s1, v2, vcc_lo
	s_lshl_b32 s0, s9, 6
	s_add_i32 s0, s10, s0
	global_load_b32 v5, v[1:2], off
	s_sub_i32 s0, s0, 64
	s_delay_alu instid0(SALU_CYCLE_1) | instskip(NEXT) | instid1(SALU_CYCLE_1)
	s_ashr_i32 s1, s0, 31
	s_lshl_b64 s[0:1], s[0:1], 3
	s_delay_alu instid0(SALU_CYCLE_1)
	s_add_u32 s0, s2, s0
	s_addc_u32 s1, s3, s1
	s_add_i32 s7, s9, -2
	s_load_b32 s11, s[0:1], 0x4
	s_cmp_lt_i32 s7, s5
	s_cbranch_scc1 .LBB54_4
; %bb.2:
	s_load_b32 s12, s[0:1], 0x0
	s_lshl_b32 s0, s4, 8
	s_waitcnt lgkmcnt(0)
	v_mov_b32_e32 v6, s11
	s_ashr_i32 s1, s0, 31
	s_delay_alu instid0(SALU_CYCLE_1) | instskip(NEXT) | instid1(SALU_CYCLE_1)
	s_lshl_b64 s[0:1], s[0:1], 2
	s_add_u32 s7, s2, s0
	s_addc_u32 s8, s3, s1
	s_add_i32 s13, s13, 1
	s_mul_i32 s1, s10, 40
	s_mul_i32 s0, s6, s13
	s_delay_alu instid0(SALU_CYCLE_1)
	s_lshl_b32 s6, s0, 6
	s_mulk_i32 s0, 0xa00
	s_add_i32 s6, s10, s6
	s_add_i32 s1, s1, s0
	s_lshl_b32 s0, s4, 6
	v_add3_u32 v3, s1, v0, 0xffffec00
	s_add_i32 s0, s6, s0
	v_mov_b32_e32 v0, s12
	s_add_i32 s4, s9, -1
	s_addk_i32 s0, 0xff80
.LBB54_3:                               ; =>This Inner Loop Header: Depth=1
	s_delay_alu instid0(VALU_DEP_2) | instskip(SKIP_1) | instid1(SALU_CYCLE_1)
	v_ashrrev_i32_e32 v4, 31, v3
	s_ashr_i32 s1, s0, 31
	s_lshl_b64 s[10:11], s[0:1], 3
	s_delay_alu instid0(SALU_CYCLE_1) | instskip(NEXT) | instid1(VALU_DEP_1)
	s_add_u32 s10, s2, s10
	v_lshlrev_b64 v[7:8], 2, v[3:4]
	s_addc_u32 s11, s3, s11
	s_add_i32 s4, s4, -1
	s_sub_i32 s0, s0, 64
	s_cmp_le_i32 s4, s5
	s_load_b64 s[10:11], s[10:11], 0x0
	v_add_co_u32 v7, vcc_lo, s7, v7
	v_add_co_ci_u32_e32 v8, vcc_lo, s8, v8, vcc_lo
	global_load_b32 v4, v[7:8], off
	v_max_f32_e32 v7, v0, v0
	s_waitcnt lgkmcnt(0)
	v_max_f32_e64 v8, s10, s10
	s_delay_alu instid0(VALU_DEP_1) | instskip(NEXT) | instid1(VALU_DEP_1)
	v_max_f32_e32 v7, v7, v8
	v_sub_f32_e32 v8, s10, v7
	s_delay_alu instid0(VALU_DEP_1) | instskip(NEXT) | instid1(VALU_DEP_1)
	v_dual_sub_f32 v0, v0, v7 :: v_dual_mul_f32 v9, 0x3fb8aa3b, v8
	v_fma_f32 v10, 0x3fb8aa3b, v8, -v9
	v_rndne_f32_e32 v11, v9
	s_delay_alu instid0(VALU_DEP_3) | instskip(NEXT) | instid1(VALU_DEP_2)
	v_mul_f32_e32 v12, 0x3fb8aa3b, v0
	v_dual_fmac_f32 v10, 0x32a5705f, v8 :: v_dual_sub_f32 v9, v9, v11
	v_cvt_i32_f32_e32 v11, v11
	s_delay_alu instid0(VALU_DEP_3) | instskip(SKIP_1) | instid1(VALU_DEP_4)
	v_fma_f32 v13, 0x3fb8aa3b, v0, -v12
	v_rndne_f32_e32 v14, v12
	v_add_f32_e32 v9, v9, v10
	v_cmp_ngt_f32_e32 vcc_lo, 0xc2ce8ed0, v8
	s_delay_alu instid0(VALU_DEP_3) | instskip(NEXT) | instid1(VALU_DEP_3)
	v_sub_f32_e32 v10, v12, v14
	v_exp_f32_e32 v9, v9
	s_waitcnt_depctr 0xfff
	v_ldexp_f32 v9, v9, v11
	v_cvt_i32_f32_e32 v11, v14
	s_delay_alu instid0(VALU_DEP_2) | instskip(SKIP_1) | instid1(VALU_DEP_2)
	v_cndmask_b32_e32 v9, 0, v9, vcc_lo
	v_cmp_nlt_f32_e32 vcc_lo, 0x42b17218, v8
	v_cndmask_b32_e32 v9, 0x7f800000, v9, vcc_lo
	v_cmp_ngt_f32_e32 vcc_lo, 0xc2ce8ed0, v0
	v_fmac_f32_e32 v13, 0x32a5705f, v0
	s_delay_alu instid0(VALU_DEP_1) | instskip(NEXT) | instid1(VALU_DEP_1)
	v_add_f32_e32 v10, v10, v13
	v_exp_f32_e32 v10, v10
	s_waitcnt_depctr 0xfff
	v_ldexp_f32 v10, v10, v11
	s_delay_alu instid0(VALU_DEP_1)
	v_dual_mov_b32 v11, v6 :: v_dual_cndmask_b32 v10, 0, v10
	v_cmp_le_f32_e32 vcc_lo, 0xc1a00000, v8
	s_waitcnt vmcnt(1)
	v_dual_cndmask_b32 v8, 0, v9 :: v_dual_mov_b32 v9, v5
	v_cmp_nlt_f32_e32 vcc_lo, 0x42b17218, v0
	v_cndmask_b32_e32 v5, 0x7f800000, v10, vcc_lo
	s_delay_alu instid0(VALU_DEP_3) | instskip(SKIP_2) | instid1(VALU_DEP_3)
	v_mul_f32_e32 v10, s11, v8
	v_cmp_le_f32_e32 vcc_lo, 0xc1a00000, v0
	v_mov_b32_e32 v0, v7
	v_mov_b32_e32 v6, v10
	s_waitcnt vmcnt(0)
	v_dual_cndmask_b32 v12, 0, v5 :: v_dual_mul_f32 v5, v4, v8
	s_delay_alu instid0(VALU_DEP_1) | instskip(NEXT) | instid1(VALU_DEP_2)
	v_dual_fmac_f32 v6, v11, v12 :: v_dual_add_nc_u32 v3, 0xfffff600, v3
	v_fmac_f32_e32 v5, v9, v12
	s_cbranch_scc0 .LBB54_3
	s_branch .LBB54_5
.LBB54_4:
	s_waitcnt lgkmcnt(0)
	v_mov_b32_e32 v6, s11
.LBB54_5:
	s_waitcnt vmcnt(0)
	s_delay_alu instid0(VALU_DEP_1) | instskip(NEXT) | instid1(VALU_DEP_1)
	v_div_scale_f32 v0, null, v6, v6, v5
	v_rcp_f32_e32 v3, v0
	s_waitcnt_depctr 0xfff
	v_fma_f32 v4, -v0, v3, 1.0
	s_delay_alu instid0(VALU_DEP_1) | instskip(SKIP_1) | instid1(VALU_DEP_1)
	v_fmac_f32_e32 v3, v4, v3
	v_div_scale_f32 v4, vcc_lo, v5, v6, v5
	v_mul_f32_e32 v7, v4, v3
	s_delay_alu instid0(VALU_DEP_1) | instskip(NEXT) | instid1(VALU_DEP_1)
	v_fma_f32 v8, -v0, v7, v4
	v_fmac_f32_e32 v7, v8, v3
	s_delay_alu instid0(VALU_DEP_1) | instskip(NEXT) | instid1(VALU_DEP_1)
	v_fma_f32 v0, -v0, v7, v4
	v_div_fmas_f32 v0, v0, v3, v7
	s_delay_alu instid0(VALU_DEP_1)
	v_div_fixup_f32 v0, v0, v6, v5
	global_store_b32 v[1:2], v0, off
.LBB54_6:
	s_nop 0
	s_sendmsg sendmsg(MSG_DEALLOC_VGPRS)
	s_endpgm
	.section	.rodata,"a",@progbits
	.p2align	6, 0x0
	.amdhsa_kernel _ZL33flash_attn_stream_k_fixup_uniformILi40ELi64ELi1EEvPfPK15HIP_vector_typeIfLj2EEiiiiiiS1_IjLj3EES5_S5_
		.amdhsa_group_segment_fixed_size 0
		.amdhsa_private_segment_fixed_size 0
		.amdhsa_kernarg_size 76
		.amdhsa_user_sgpr_count 13
		.amdhsa_user_sgpr_dispatch_ptr 0
		.amdhsa_user_sgpr_queue_ptr 0
		.amdhsa_user_sgpr_kernarg_segment_ptr 1
		.amdhsa_user_sgpr_dispatch_id 0
		.amdhsa_user_sgpr_private_segment_size 0
		.amdhsa_wavefront_size32 1
		.amdhsa_uses_dynamic_stack 0
		.amdhsa_enable_private_segment 0
		.amdhsa_system_sgpr_workgroup_id_x 1
		.amdhsa_system_sgpr_workgroup_id_y 1
		.amdhsa_system_sgpr_workgroup_id_z 1
		.amdhsa_system_sgpr_workgroup_info 0
		.amdhsa_system_vgpr_workitem_id 0
		.amdhsa_next_free_vgpr 15
		.amdhsa_next_free_sgpr 20
		.amdhsa_reserve_vcc 1
		.amdhsa_float_round_mode_32 0
		.amdhsa_float_round_mode_16_64 0
		.amdhsa_float_denorm_mode_32 3
		.amdhsa_float_denorm_mode_16_64 3
		.amdhsa_dx10_clamp 1
		.amdhsa_ieee_mode 1
		.amdhsa_fp16_overflow 0
		.amdhsa_workgroup_processor_mode 1
		.amdhsa_memory_ordered 1
		.amdhsa_forward_progress 0
		.amdhsa_shared_vgpr_count 0
		.amdhsa_exception_fp_ieee_invalid_op 0
		.amdhsa_exception_fp_denorm_src 0
		.amdhsa_exception_fp_ieee_div_zero 0
		.amdhsa_exception_fp_ieee_overflow 0
		.amdhsa_exception_fp_ieee_underflow 0
		.amdhsa_exception_fp_ieee_inexact 0
		.amdhsa_exception_int_div_zero 0
	.end_amdhsa_kernel
	.section	.text._ZL33flash_attn_stream_k_fixup_uniformILi40ELi64ELi1EEvPfPK15HIP_vector_typeIfLj2EEiiiiiiS1_IjLj3EES5_S5_,"axG",@progbits,_ZL33flash_attn_stream_k_fixup_uniformILi40ELi64ELi1EEvPfPK15HIP_vector_typeIfLj2EEiiiiiiS1_IjLj3EES5_S5_,comdat
.Lfunc_end54:
	.size	_ZL33flash_attn_stream_k_fixup_uniformILi40ELi64ELi1EEvPfPK15HIP_vector_typeIfLj2EEiiiiiiS1_IjLj3EES5_S5_, .Lfunc_end54-_ZL33flash_attn_stream_k_fixup_uniformILi40ELi64ELi1EEvPfPK15HIP_vector_typeIfLj2EEiiiiiiS1_IjLj3EES5_S5_
                                        ; -- End function
	.section	.AMDGPU.csdata,"",@progbits
; Kernel info:
; codeLenInByte = 972
; NumSgprs: 22
; NumVgprs: 15
; ScratchSize: 0
; MemoryBound: 0
; FloatMode: 240
; IeeeMode: 1
; LDSByteSize: 0 bytes/workgroup (compile time only)
; SGPRBlocks: 2
; VGPRBlocks: 1
; NumSGPRsForWavesPerEU: 22
; NumVGPRsForWavesPerEU: 15
; Occupancy: 16
; WaveLimiterHint : 0
; COMPUTE_PGM_RSRC2:SCRATCH_EN: 0
; COMPUTE_PGM_RSRC2:USER_SGPR: 13
; COMPUTE_PGM_RSRC2:TRAP_HANDLER: 0
; COMPUTE_PGM_RSRC2:TGID_X_EN: 1
; COMPUTE_PGM_RSRC2:TGID_Y_EN: 1
; COMPUTE_PGM_RSRC2:TGID_Z_EN: 1
; COMPUTE_PGM_RSRC2:TIDIG_COMP_CNT: 0
	.section	.text._ZL33flash_attn_stream_k_fixup_generalILi40ELi64ELi1EEvPfPK15HIP_vector_typeIfLj2EEiiiiS1_IjLj3EES5_S5_S5_,"axG",@progbits,_ZL33flash_attn_stream_k_fixup_generalILi40ELi64ELi1EEvPfPK15HIP_vector_typeIfLj2EEiiiiS1_IjLj3EES5_S5_S5_,comdat
	.globl	_ZL33flash_attn_stream_k_fixup_generalILi40ELi64ELi1EEvPfPK15HIP_vector_typeIfLj2EEiiiiS1_IjLj3EES5_S5_S5_ ; -- Begin function _ZL33flash_attn_stream_k_fixup_generalILi40ELi64ELi1EEvPfPK15HIP_vector_typeIfLj2EEiiiiS1_IjLj3EES5_S5_S5_
	.p2align	8
	.type	_ZL33flash_attn_stream_k_fixup_generalILi40ELi64ELi1EEvPfPK15HIP_vector_typeIfLj2EEiiiiS1_IjLj3EES5_S5_S5_,@function
_ZL33flash_attn_stream_k_fixup_generalILi40ELi64ELi1EEvPfPK15HIP_vector_typeIfLj2EEiiiiS1_IjLj3EES5_S5_S5_: ; @_ZL33flash_attn_stream_k_fixup_generalILi40ELi64ELi1EEvPfPK15HIP_vector_typeIfLj2EEiiiiS1_IjLj3EES5_S5_S5_
; %bb.0:
	s_clause 0x1
	s_load_b128 s[4:7], s[0:1], 0x10
	s_load_b32 s20, s[0:1], 0x50
	s_mov_b32 s2, 0
	s_waitcnt lgkmcnt(0)
	s_mul_hi_i32 s3, s7, s13
	s_mul_i32 s12, s7, s13
	s_cmp_lg_u64 s[2:3], 0
	s_cbranch_scc0 .LBB55_21
; %bb.1:
	v_cvt_f32_ubyte0_e32 v1, 0
	v_cvt_f32_u32_e32 v2, s20
	s_sub_u32 s10, 0, s20
	s_subb_u32 s11, 0, 0
	s_delay_alu instid0(VALU_DEP_1) | instskip(NEXT) | instid1(VALU_DEP_1)
	v_fmamk_f32 v1, v1, 0x4f800000, v2
	v_rcp_f32_e32 v1, v1
	s_waitcnt_depctr 0xfff
	v_mul_f32_e32 v1, 0x5f7ffffc, v1
	s_delay_alu instid0(VALU_DEP_1) | instskip(NEXT) | instid1(VALU_DEP_1)
	v_mul_f32_e32 v2, 0x2f800000, v1
	v_trunc_f32_e32 v2, v2
	s_delay_alu instid0(VALU_DEP_1) | instskip(SKIP_1) | instid1(VALU_DEP_2)
	v_fmamk_f32 v1, v2, 0xcf800000, v1
	v_cvt_u32_f32_e32 v2, v2
	v_cvt_u32_f32_e32 v1, v1
	s_delay_alu instid0(VALU_DEP_2) | instskip(NEXT) | instid1(VALU_DEP_2)
	v_readfirstlane_b32 s8, v2
	v_readfirstlane_b32 s9, v1
	s_delay_alu instid0(VALU_DEP_2) | instskip(NEXT) | instid1(VALU_DEP_1)
	s_mul_i32 s16, s10, s8
	s_mul_hi_u32 s18, s10, s9
	s_mul_i32 s17, s11, s9
	s_add_i32 s16, s18, s16
	s_mul_i32 s19, s10, s9
	s_add_i32 s16, s16, s17
	s_mul_hi_u32 s18, s9, s19
	s_mul_hi_u32 s21, s8, s19
	s_mul_i32 s17, s8, s19
	s_mul_hi_u32 s19, s9, s16
	s_mul_i32 s9, s9, s16
	s_mul_hi_u32 s22, s8, s16
	s_add_u32 s9, s18, s9
	s_addc_u32 s18, 0, s19
	s_add_u32 s9, s9, s17
	s_mul_i32 s16, s8, s16
	s_addc_u32 s9, s18, s21
	s_addc_u32 s17, s22, 0
	s_add_u32 s9, s9, s16
	s_addc_u32 s16, 0, s17
	v_add_co_u32 v1, s9, v1, s9
	s_delay_alu instid0(VALU_DEP_1) | instskip(SKIP_1) | instid1(VALU_DEP_1)
	s_cmp_lg_u32 s9, 0
	s_addc_u32 s8, s8, s16
	v_readfirstlane_b32 s9, v1
	s_mul_i32 s16, s10, s8
	s_delay_alu instid0(VALU_DEP_1)
	s_mul_hi_u32 s17, s10, s9
	s_mul_i32 s11, s11, s9
	s_add_i32 s16, s17, s16
	s_mul_i32 s10, s10, s9
	s_add_i32 s16, s16, s11
	s_mul_hi_u32 s17, s8, s10
	s_mul_i32 s18, s8, s10
	s_mul_hi_u32 s10, s9, s10
	s_mul_hi_u32 s19, s9, s16
	s_mul_i32 s9, s9, s16
	s_mul_hi_u32 s11, s8, s16
	s_add_u32 s9, s10, s9
	s_addc_u32 s10, 0, s19
	s_add_u32 s9, s9, s18
	s_mul_i32 s16, s8, s16
	s_addc_u32 s9, s10, s17
	s_addc_u32 s10, s11, 0
	s_add_u32 s9, s9, s16
	s_addc_u32 s10, 0, s10
	v_add_co_u32 v1, s9, v1, s9
	s_delay_alu instid0(VALU_DEP_1) | instskip(SKIP_2) | instid1(SALU_CYCLE_1)
	s_cmp_lg_u32 s9, 0
	s_addc_u32 s16, s8, s10
	s_ashr_i32 s8, s3, 31
	s_add_u32 s10, s12, s8
	s_addc_u32 s11, s3, s8
	v_readfirstlane_b32 s3, v1
	s_mov_b32 s9, s8
	s_delay_alu instid0(SALU_CYCLE_1) | instskip(NEXT) | instid1(SALU_CYCLE_1)
	s_xor_b64 s[10:11], s[10:11], s[8:9]
	s_mul_i32 s18, s10, s16
	s_delay_alu instid0(VALU_DEP_1)
	s_mul_hi_u32 s19, s10, s3
	s_mul_hi_u32 s17, s10, s16
	;; [unrolled: 1-line block ×3, first 2 shown]
	s_mul_i32 s3, s11, s3
	s_add_u32 s18, s19, s18
	s_addc_u32 s17, 0, s17
	s_mul_hi_u32 s21, s11, s16
	s_add_u32 s3, s18, s3
	s_mul_i32 s16, s11, s16
	s_addc_u32 s3, s17, s22
	s_addc_u32 s17, s21, 0
	s_add_u32 s3, s3, s16
	s_addc_u32 s16, 0, s17
	s_mul_i32 s18, s20, s3
	s_add_u32 s17, s3, 1
	v_sub_co_u32 v1, s10, s10, s18
	s_mul_hi_u32 s18, s20, s3
	s_addc_u32 s19, s16, 0
	s_mul_i32 s21, s20, s16
	s_delay_alu instid0(VALU_DEP_1)
	v_sub_co_u32 v2, s22, v1, s20
	s_add_u32 s23, s3, 2
	s_addc_u32 s24, s16, 0
	s_add_i32 s18, s18, s21
	s_cmp_lg_u32 s10, 0
	v_readfirstlane_b32 s10, v2
	s_subb_u32 s11, s11, s18
	s_cmp_lg_u32 s22, 0
	s_subb_u32 s18, s11, 0
	s_delay_alu instid0(VALU_DEP_1) | instskip(SKIP_4) | instid1(SALU_CYCLE_1)
	s_cmp_ge_u32 s10, s20
	s_cselect_b32 s10, -1, 0
	s_cmp_eq_u32 s18, 0
	v_readfirstlane_b32 s18, v1
	s_cselect_b32 s10, s10, -1
	s_cmp_lg_u32 s10, 0
	s_cselect_b32 s10, s23, s17
	s_cselect_b32 s17, s24, s19
	s_cmp_ge_u32 s18, s20
	s_cselect_b32 s18, -1, 0
	s_cmp_eq_u32 s11, 0
	s_cselect_b32 s11, s18, -1
	s_delay_alu instid0(SALU_CYCLE_1) | instskip(SKIP_2) | instid1(SALU_CYCLE_1)
	s_cmp_lg_u32 s11, 0
	s_cselect_b32 s11, s17, s16
	s_cselect_b32 s10, s10, s3
	s_xor_b64 s[10:11], s[10:11], s[8:9]
	s_delay_alu instid0(SALU_CYCLE_1)
	s_sub_u32 s16, s10, s8
	s_load_b128 s[8:11], s[0:1], 0x44
	s_and_not1_b32 vcc_lo, exec_lo, s2
	s_cbranch_vccnz .LBB55_3
.LBB55_2:
	v_cvt_f32_u32_e32 v1, s20
	s_sub_i32 s3, 0, s20
	s_delay_alu instid0(VALU_DEP_1) | instskip(SKIP_2) | instid1(VALU_DEP_1)
	v_rcp_iflag_f32_e32 v1, v1
	s_waitcnt_depctr 0xfff
	v_mul_f32_e32 v1, 0x4f7ffffe, v1
	v_cvt_u32_f32_e32 v1, v1
	s_delay_alu instid0(VALU_DEP_1) | instskip(NEXT) | instid1(VALU_DEP_1)
	v_readfirstlane_b32 s2, v1
	s_mul_i32 s3, s3, s2
	s_delay_alu instid0(SALU_CYCLE_1) | instskip(NEXT) | instid1(SALU_CYCLE_1)
	s_mul_hi_u32 s3, s2, s3
	s_add_i32 s2, s2, s3
	s_delay_alu instid0(SALU_CYCLE_1) | instskip(NEXT) | instid1(SALU_CYCLE_1)
	s_mul_hi_u32 s2, s12, s2
	s_mul_i32 s3, s2, s20
	s_waitcnt lgkmcnt(0)
	s_add_i32 s11, s2, 1
	s_sub_i32 s3, s12, s3
	s_delay_alu instid0(SALU_CYCLE_1)
	s_sub_i32 s12, s3, s20
	s_cmp_ge_u32 s3, s20
	s_cselect_b32 s2, s11, s2
	s_cselect_b32 s3, s12, s3
	s_add_i32 s11, s2, 1
	s_cmp_ge_u32 s3, s20
	s_cselect_b32 s16, s11, s2
.LBB55_3:
	s_waitcnt lgkmcnt(0)
	s_add_i32 s11, s13, 1
	s_mov_b32 s2, 0
	s_mul_hi_i32 s3, s7, s11
	s_mul_i32 s11, s7, s11
	s_cmp_lg_u64 s[2:3], 0
	s_cbranch_scc0 .LBB55_22
; %bb.4:
	v_cvt_f32_ubyte0_e32 v1, 0
	v_cvt_f32_u32_e32 v2, s20
	s_sub_u32 s18, 0, s20
	s_subb_u32 s19, 0, 0
	s_delay_alu instid0(VALU_DEP_1) | instskip(NEXT) | instid1(VALU_DEP_1)
	v_fmamk_f32 v1, v1, 0x4f800000, v2
	v_rcp_f32_e32 v1, v1
	s_waitcnt_depctr 0xfff
	v_mul_f32_e32 v1, 0x5f7ffffc, v1
	s_delay_alu instid0(VALU_DEP_1) | instskip(NEXT) | instid1(VALU_DEP_1)
	v_mul_f32_e32 v2, 0x2f800000, v1
	v_trunc_f32_e32 v2, v2
	s_delay_alu instid0(VALU_DEP_1) | instskip(SKIP_1) | instid1(VALU_DEP_2)
	v_fmamk_f32 v1, v2, 0xcf800000, v1
	v_cvt_u32_f32_e32 v2, v2
	v_cvt_u32_f32_e32 v1, v1
	s_delay_alu instid0(VALU_DEP_2) | instskip(NEXT) | instid1(VALU_DEP_2)
	v_readfirstlane_b32 s12, v2
	v_readfirstlane_b32 s17, v1
	s_delay_alu instid0(VALU_DEP_2) | instskip(NEXT) | instid1(VALU_DEP_1)
	s_mul_i32 s21, s18, s12
	s_mul_hi_u32 s23, s18, s17
	s_mul_i32 s22, s19, s17
	s_add_i32 s21, s23, s21
	s_mul_i32 s24, s18, s17
	s_add_i32 s21, s21, s22
	s_mul_hi_u32 s23, s17, s24
	s_mul_hi_u32 s25, s12, s24
	s_mul_i32 s22, s12, s24
	s_mul_hi_u32 s24, s17, s21
	s_mul_i32 s17, s17, s21
	s_mul_hi_u32 s26, s12, s21
	s_add_u32 s17, s23, s17
	s_addc_u32 s23, 0, s24
	s_add_u32 s17, s17, s22
	s_mul_i32 s21, s12, s21
	s_addc_u32 s17, s23, s25
	s_addc_u32 s22, s26, 0
	s_add_u32 s17, s17, s21
	s_addc_u32 s21, 0, s22
	v_add_co_u32 v1, s17, v1, s17
	s_delay_alu instid0(VALU_DEP_1) | instskip(SKIP_1) | instid1(VALU_DEP_1)
	s_cmp_lg_u32 s17, 0
	s_addc_u32 s12, s12, s21
	v_readfirstlane_b32 s17, v1
	s_mul_i32 s21, s18, s12
	s_delay_alu instid0(VALU_DEP_1)
	s_mul_hi_u32 s22, s18, s17
	s_mul_i32 s19, s19, s17
	s_add_i32 s21, s22, s21
	s_mul_i32 s18, s18, s17
	s_add_i32 s21, s21, s19
	s_mul_hi_u32 s22, s12, s18
	s_mul_i32 s23, s12, s18
	s_mul_hi_u32 s18, s17, s18
	s_mul_hi_u32 s24, s17, s21
	s_mul_i32 s17, s17, s21
	s_mul_hi_u32 s19, s12, s21
	s_add_u32 s17, s18, s17
	s_addc_u32 s18, 0, s24
	s_add_u32 s17, s17, s23
	s_mul_i32 s21, s12, s21
	s_addc_u32 s17, s18, s22
	s_addc_u32 s18, s19, 0
	s_add_u32 s17, s17, s21
	s_addc_u32 s18, 0, s18
	v_add_co_u32 v1, s17, v1, s17
	s_delay_alu instid0(VALU_DEP_1) | instskip(SKIP_2) | instid1(SALU_CYCLE_1)
	s_cmp_lg_u32 s17, 0
	s_addc_u32 s12, s12, s18
	s_ashr_i32 s18, s3, 31
	s_add_u32 s22, s11, s18
	s_addc_u32 s23, s3, s18
	v_readfirstlane_b32 s3, v1
	s_mov_b32 s19, s18
	s_delay_alu instid0(SALU_CYCLE_1) | instskip(NEXT) | instid1(SALU_CYCLE_1)
	s_xor_b64 s[22:23], s[22:23], s[18:19]
	s_mul_i32 s21, s22, s12
	s_delay_alu instid0(VALU_DEP_1)
	s_mul_hi_u32 s24, s22, s3
	s_mul_hi_u32 s17, s22, s12
	;; [unrolled: 1-line block ×3, first 2 shown]
	s_mul_i32 s3, s23, s3
	s_add_u32 s21, s24, s21
	s_addc_u32 s17, 0, s17
	s_mul_hi_u32 s25, s23, s12
	s_add_u32 s3, s21, s3
	s_mul_i32 s12, s23, s12
	s_addc_u32 s3, s17, s26
	s_addc_u32 s17, s25, 0
	s_add_u32 s3, s3, s12
	s_addc_u32 s12, 0, s17
	s_mul_i32 s21, s20, s3
	s_add_u32 s17, s3, 1
	v_sub_co_u32 v1, s21, s22, s21
	s_mul_hi_u32 s22, s20, s3
	s_addc_u32 s24, s12, 0
	s_mul_i32 s25, s20, s12
	s_delay_alu instid0(VALU_DEP_1)
	v_sub_co_u32 v2, s26, v1, s20
	s_add_u32 s27, s3, 2
	s_addc_u32 s28, s12, 0
	s_add_i32 s22, s22, s25
	s_cmp_lg_u32 s21, 0
	v_readfirstlane_b32 s21, v2
	s_subb_u32 s22, s23, s22
	s_cmp_lg_u32 s26, 0
	s_subb_u32 s23, s22, 0
	s_delay_alu instid0(VALU_DEP_1) | instskip(SKIP_4) | instid1(SALU_CYCLE_1)
	s_cmp_ge_u32 s21, s20
	s_cselect_b32 s21, -1, 0
	s_cmp_eq_u32 s23, 0
	v_readfirstlane_b32 s23, v1
	s_cselect_b32 s21, s21, -1
	s_cmp_lg_u32 s21, 0
	s_cselect_b32 s17, s27, s17
	s_cselect_b32 s21, s28, s24
	s_cmp_ge_u32 s23, s20
	s_cselect_b32 s23, -1, 0
	s_cmp_eq_u32 s22, 0
	s_cselect_b32 s22, s23, -1
	s_delay_alu instid0(SALU_CYCLE_1) | instskip(SKIP_2) | instid1(SALU_CYCLE_1)
	s_cmp_lg_u32 s22, 0
	s_cselect_b32 s23, s21, s12
	s_cselect_b32 s22, s17, s3
	s_xor_b64 s[22:23], s[22:23], s[18:19]
	s_delay_alu instid0(SALU_CYCLE_1)
	s_sub_u32 s18, s22, s18
	s_and_not1_b32 vcc_lo, exec_lo, s2
	s_cbranch_vccnz .LBB55_6
.LBB55_5:
	v_cvt_f32_u32_e32 v1, s20
	s_sub_i32 s3, 0, s20
	s_delay_alu instid0(VALU_DEP_1) | instskip(SKIP_2) | instid1(VALU_DEP_1)
	v_rcp_iflag_f32_e32 v1, v1
	s_waitcnt_depctr 0xfff
	v_mul_f32_e32 v1, 0x4f7ffffe, v1
	v_cvt_u32_f32_e32 v1, v1
	s_delay_alu instid0(VALU_DEP_1) | instskip(NEXT) | instid1(VALU_DEP_1)
	v_readfirstlane_b32 s2, v1
	s_mul_i32 s3, s3, s2
	s_delay_alu instid0(SALU_CYCLE_1) | instskip(NEXT) | instid1(SALU_CYCLE_1)
	s_mul_hi_u32 s3, s2, s3
	s_add_i32 s2, s2, s3
	s_delay_alu instid0(SALU_CYCLE_1) | instskip(NEXT) | instid1(SALU_CYCLE_1)
	s_mul_hi_u32 s2, s11, s2
	s_mul_i32 s3, s2, s20
	s_delay_alu instid0(SALU_CYCLE_1)
	s_sub_i32 s3, s11, s3
	s_add_i32 s11, s2, 1
	s_sub_i32 s12, s3, s20
	s_cmp_ge_u32 s3, s20
	s_cselect_b32 s2, s11, s2
	s_cselect_b32 s3, s12, s3
	s_add_i32 s11, s2, 1
	s_cmp_ge_u32 s3, s20
	s_cselect_b32 s18, s11, s2
.LBB55_6:
	s_delay_alu instid0(SALU_CYCLE_1) | instskip(SKIP_3) | instid1(SALU_CYCLE_1)
	s_cmp_eq_u32 s16, s18
	s_mul_hi_u32 s2, s16, s8
	s_cselect_b32 s3, -1, 0
	s_add_i32 s2, s2, s16
	s_lshr_b32 s11, s2, s9
	s_delay_alu instid0(SALU_CYCLE_1) | instskip(NEXT) | instid1(SALU_CYCLE_1)
	s_mul_i32 s2, s11, s10
	s_cmp_eq_u32 s2, s16
	s_mul_hi_u32 s2, s18, s8
	s_cselect_b32 s12, -1, 0
	s_add_i32 s2, s2, s18
	s_delay_alu instid0(SALU_CYCLE_1) | instskip(NEXT) | instid1(SALU_CYCLE_1)
	s_lshr_b32 s2, s2, s9
	s_cmp_eq_u32 s11, s2
	s_mul_i32 s2, s2, s10
	s_cselect_b32 s17, -1, 0
	s_cmp_lg_u32 s2, s18
	s_cselect_b32 s2, -1, 0
	s_or_b32 s3, s3, s12
	s_and_b32 s2, s17, s2
	s_delay_alu instid0(SALU_CYCLE_1) | instskip(NEXT) | instid1(SALU_CYCLE_1)
	s_or_b32 s2, s3, s2
	s_and_b32 vcc_lo, exec_lo, s2
	s_cbranch_vccnz .LBB55_24
; %bb.7:
	s_load_b256 s[24:31], s[0:1], 0x20
	s_waitcnt lgkmcnt(0)
	s_mul_hi_u32 s2, s16, s24
	s_delay_alu instid0(SALU_CYCLE_1) | instskip(NEXT) | instid1(SALU_CYCLE_1)
	s_add_i32 s2, s2, s16
	s_lshr_b32 s17, s2, s25
	s_load_b32 s2, s[0:1], 0x40
	s_mul_i32 s3, s17, s26
	s_delay_alu instid0(SALU_CYCLE_1) | instskip(NEXT) | instid1(SALU_CYCLE_1)
	s_sub_i32 s3, s16, s3
	s_mul_hi_u32 s12, s3, s27
	s_delay_alu instid0(SALU_CYCLE_1) | instskip(NEXT) | instid1(SALU_CYCLE_1)
	s_add_i32 s12, s3, s12
	s_lshr_b32 s19, s12, s28
	s_delay_alu instid0(SALU_CYCLE_1) | instskip(NEXT) | instid1(SALU_CYCLE_1)
	s_mul_i32 s12, s19, s29
	s_sub_i32 s3, s3, s12
	s_delay_alu instid0(SALU_CYCLE_1) | instskip(NEXT) | instid1(SALU_CYCLE_1)
	s_mul_hi_u32 s12, s3, s30
	s_add_i32 s12, s3, s12
	s_delay_alu instid0(SALU_CYCLE_1) | instskip(SKIP_3) | instid1(SALU_CYCLE_1)
	s_lshr_b32 s21, s12, s31
	s_mov_b32 s12, 0
	s_waitcnt lgkmcnt(0)
	s_mul_i32 s2, s21, s2
	s_sub_i32 s2, s3, s2
	s_delay_alu instid0(SALU_CYCLE_1) | instskip(NEXT) | instid1(SALU_CYCLE_1)
	s_mul_hi_u32 s3, s2, s8
	s_add_i32 s2, s2, s3
	s_delay_alu instid0(SALU_CYCLE_1) | instskip(NEXT) | instid1(SALU_CYCLE_1)
	s_lshr_b32 s18, s2, s9
	s_lshl_b32 s2, s18, 6
	s_delay_alu instid0(SALU_CYCLE_1) | instskip(NEXT) | instid1(SALU_CYCLE_1)
	s_add_i32 s2, s2, s14
	s_cmp_lt_i32 s2, s4
	s_cselect_b32 s2, -1, 0
	s_add_i32 s21, s21, s15
	s_delay_alu instid0(SALU_CYCLE_1) | instskip(SKIP_1) | instid1(SALU_CYCLE_1)
	s_cmp_lt_i32 s21, s6
	s_cselect_b32 s3, -1, 0
	s_and_b32 s2, s2, s3
	s_delay_alu instid0(SALU_CYCLE_1)
	s_and_not1_b32 vcc_lo, exec_lo, s2
	s_cbranch_vccnz .LBB55_24
; %bb.8:
	s_load_b128 s[0:3], s[0:1], 0x0
	s_lshl_b32 s22, s20, 8
	s_mov_b32 s23, s12
	s_add_i32 s15, s14, s15
	s_lshl_b64 s[22:23], s[22:23], 2
	s_mul_i32 s4, s17, s4
	s_mul_i32 s19, s19, s6
	v_cvt_f32_ubyte0_e32 v3, 0
	v_cvt_f32_u32_e32 v4, s20
	s_waitcnt lgkmcnt(0)
	s_add_u32 s6, s2, s22
	s_addc_u32 s17, s3, s23
	s_add_i32 s4, s4, s14
	s_add_i32 s14, s21, s19
	s_mul_i32 s4, s4, s5
	s_mul_i32 s5, s5, s18
	s_add_i32 s4, s14, s4
	s_mulk_i32 s5, 0xa00
	s_mul_i32 s4, s4, 40
	s_delay_alu instid0(SALU_CYCLE_1) | instskip(NEXT) | instid1(VALU_DEP_1)
	v_add3_u32 v1, s5, s4, v0
	v_ashrrev_i32_e32 v2, 31, v1
	s_delay_alu instid0(VALU_DEP_1) | instskip(NEXT) | instid1(VALU_DEP_1)
	v_lshlrev_b64 v[1:2], 2, v[1:2]
	v_add_co_u32 v1, vcc_lo, s0, v1
	s_delay_alu instid0(VALU_DEP_2) | instskip(SKIP_1) | instid1(SALU_CYCLE_1)
	v_add_co_ci_u32_e32 v2, vcc_lo, s1, v2, vcc_lo
	s_lshl_b32 s0, s13, 6
	s_add_i32 s0, s0, s15
	global_load_b32 v5, v[1:2], off
	s_ashr_i32 s1, s0, 31
	s_delay_alu instid0(SALU_CYCLE_1) | instskip(NEXT) | instid1(SALU_CYCLE_1)
	s_lshl_b64 s[0:1], s[0:1], 3
	s_add_u32 s0, s2, s0
	s_addc_u32 s1, s3, s1
	s_add_i32 s18, s13, -1
	s_load_b64 s[0:1], s[0:1], 0x0
	v_fmac_f32_e32 v4, 0x4f800000, v3
	s_sub_i32 s14, 0, s20
	s_delay_alu instid0(VALU_DEP_1)
	v_rcp_f32_e32 v3, v4
	s_waitcnt_depctr 0xfff
	v_mul_f32_e32 v6, 0x5f7ffffc, v3
	v_cvt_f32_u32_e32 v3, s20
	s_waitcnt lgkmcnt(0)
	v_mov_b32_e32 v8, s0
	s_delay_alu instid0(VALU_DEP_3) | instskip(NEXT) | instid1(VALU_DEP_3)
	v_mul_f32_e32 v4, 0x2f800000, v6
	v_rcp_iflag_f32_e32 v7, v3
	s_delay_alu instid0(VALU_DEP_1) | instskip(SKIP_1) | instid1(VALU_DEP_2)
	v_trunc_f32_e32 v9, v4
	v_mad_u64_u32 v[3:4], null, s15, 40, v[0:1]
	v_fmac_f32_e32 v6, 0xcf800000, v9
	s_waitcnt_depctr 0xfff
	v_dual_mul_f32 v10, 0x4f7ffffe, v7 :: v_dual_mov_b32 v7, s1
	v_cvt_u32_f32_e32 v4, v9
	v_cvt_u32_f32_e32 v0, v6
	s_delay_alu instid0(VALU_DEP_3)
	v_cvt_u32_f32_e32 v6, v10
.LBB55_9:                               ; =>This Inner Loop Header: Depth=1
	s_mul_hi_i32 s13, s18, s7
	s_mul_i32 s4, s18, s7
	s_cmp_lg_u64 s[12:13], 0
	s_mov_b32 s5, -1
                                        ; implicit-def: $sgpr0_sgpr1
	s_cbranch_scc0 .LBB55_11
; %bb.10:                               ;   in Loop: Header=BB55_9 Depth=1
	v_readfirstlane_b32 s0, v0
	v_readfirstlane_b32 s1, v4
	s_sub_u32 s5, 0, s20
	s_subb_u32 s19, 0, 0
	s_delay_alu instid0(VALU_DEP_2) | instskip(NEXT) | instid1(VALU_DEP_1)
	s_mul_hi_u32 s21, s5, s0
	s_mul_i32 s22, s5, s1
	s_mul_i32 s23, s19, s0
	s_add_i32 s21, s21, s22
	s_mul_i32 s22, s5, s0
	s_add_i32 s21, s21, s23
	s_mul_hi_u32 s23, s0, s22
	s_mul_i32 s24, s0, s21
	s_mul_hi_u32 s0, s0, s21
	s_add_u32 s23, s23, s24
	s_mul_i32 s25, s1, s22
	s_addc_u32 s0, 0, s0
	s_mul_hi_u32 s22, s1, s22
	s_mul_hi_u32 s24, s1, s21
	s_add_u32 s23, s23, s25
	s_addc_u32 s0, s0, s22
	s_mul_i32 s21, s1, s21
	s_addc_u32 s22, s24, 0
	s_add_u32 s0, s0, s21
	s_addc_u32 s21, 0, s22
	v_add_co_u32 v9, s0, v0, s0
	s_delay_alu instid0(VALU_DEP_1) | instskip(SKIP_1) | instid1(VALU_DEP_1)
	s_cmp_lg_u32 s0, 0
	s_addc_u32 s1, s1, s21
	v_readfirstlane_b32 s0, v9
	s_mul_i32 s21, s5, s1
	s_delay_alu instid0(VALU_DEP_1)
	s_mul_hi_u32 s22, s5, s0
	s_mul_i32 s19, s19, s0
	s_add_i32 s21, s22, s21
	s_mul_i32 s5, s5, s0
	s_add_i32 s21, s21, s19
	s_mul_hi_u32 s19, s1, s5
	s_mul_i32 s23, s1, s5
	s_mul_i32 s24, s0, s21
	s_mul_hi_u32 s5, s0, s5
	s_mul_hi_u32 s0, s0, s21
	s_add_u32 s5, s5, s24
	s_addc_u32 s0, 0, s0
	s_mul_hi_u32 s22, s1, s21
	s_add_u32 s5, s5, s23
	s_addc_u32 s0, s0, s19
	s_mul_i32 s5, s1, s21
	s_addc_u32 s19, s22, 0
	s_add_u32 s0, s0, s5
	s_addc_u32 s5, 0, s19
	v_add_co_u32 v9, s0, v9, s0
	s_delay_alu instid0(VALU_DEP_1) | instskip(SKIP_2) | instid1(SALU_CYCLE_1)
	s_cmp_lg_u32 s0, 0
	s_addc_u32 s5, s1, s5
	s_ashr_i32 s0, s13, 31
	s_add_u32 s22, s4, s0
	s_addc_u32 s23, s13, s0
	v_readfirstlane_b32 s13, v9
	s_mov_b32 s1, s0
	s_delay_alu instid0(SALU_CYCLE_1) | instskip(NEXT) | instid1(SALU_CYCLE_1)
	s_xor_b64 s[22:23], s[22:23], s[0:1]
	s_mul_i32 s19, s22, s5
	s_delay_alu instid0(VALU_DEP_1)
	s_mul_hi_u32 s21, s22, s13
	s_mul_hi_u32 s24, s22, s5
	s_add_u32 s19, s21, s19
	s_mul_i32 s25, s23, s13
	s_addc_u32 s21, 0, s24
	s_mul_hi_u32 s13, s23, s13
	s_mul_hi_u32 s24, s23, s5
	s_add_u32 s19, s19, s25
	s_addc_u32 s13, s21, s13
	s_mul_i32 s5, s23, s5
	s_addc_u32 s19, s24, 0
	s_add_u32 s5, s13, s5
	s_addc_u32 s13, 0, s19
	s_mul_i32 s21, s20, s5
	s_add_u32 s19, s5, 1
	v_sub_co_u32 v9, s21, s22, s21
	s_addc_u32 s22, s13, 0
	s_mul_i32 s25, s20, s13
	s_mul_hi_u32 s27, s20, s5
	s_delay_alu instid0(VALU_DEP_1)
	v_sub_co_u32 v10, s26, v9, s20
	s_add_u32 s24, s5, 2
	s_addc_u32 s28, s13, 0
	s_add_i32 s27, s27, s25
	s_cmp_lg_u32 s21, 0
	v_readfirstlane_b32 s21, v10
	s_subb_u32 s23, s23, s27
	s_cmp_lg_u32 s26, 0
	s_subb_u32 s25, s23, 0
	s_delay_alu instid0(VALU_DEP_1) | instskip(SKIP_4) | instid1(SALU_CYCLE_1)
	s_cmp_ge_u32 s21, s20
	s_cselect_b32 s21, -1, 0
	s_cmp_eq_u32 s25, 0
	v_readfirstlane_b32 s25, v9
	s_cselect_b32 s21, s21, -1
	s_cmp_lg_u32 s21, 0
	s_cselect_b32 s19, s24, s19
	s_cselect_b32 s21, s28, s22
	s_cmp_ge_u32 s25, s20
	s_cselect_b32 s22, -1, 0
	s_cmp_eq_u32 s23, 0
	s_cselect_b32 s22, s22, -1
	s_delay_alu instid0(SALU_CYCLE_1) | instskip(SKIP_4) | instid1(SALU_CYCLE_1)
	s_cmp_lg_u32 s22, 0
	s_cselect_b32 s23, s21, s13
	s_cselect_b32 s22, s19, s5
	s_mov_b32 s5, 0
	s_xor_b64 s[22:23], s[22:23], s[0:1]
	s_sub_u32 s0, s22, s0
.LBB55_11:                              ;   in Loop: Header=BB55_9 Depth=1
	s_and_not1_b32 vcc_lo, exec_lo, s5
	s_cbranch_vccnz .LBB55_13
; %bb.12:                               ;   in Loop: Header=BB55_9 Depth=1
	v_readfirstlane_b32 s0, v6
	s_delay_alu instid0(VALU_DEP_1) | instskip(NEXT) | instid1(SALU_CYCLE_1)
	s_mul_i32 s1, s14, s0
	s_mul_hi_u32 s1, s0, s1
	s_delay_alu instid0(SALU_CYCLE_1) | instskip(NEXT) | instid1(SALU_CYCLE_1)
	s_add_i32 s0, s0, s1
	s_mul_hi_u32 s0, s4, s0
	s_delay_alu instid0(SALU_CYCLE_1) | instskip(NEXT) | instid1(SALU_CYCLE_1)
	s_mul_i32 s1, s0, s20
	s_sub_i32 s1, s4, s1
	s_add_i32 s4, s0, 1
	s_sub_i32 s5, s1, s20
	s_cmp_ge_u32 s1, s20
	s_cselect_b32 s0, s4, s0
	s_cselect_b32 s1, s5, s1
	s_add_i32 s4, s0, 1
	s_cmp_ge_u32 s1, s20
	s_cselect_b32 s0, s4, s0
.LBB55_13:                              ;   in Loop: Header=BB55_9 Depth=1
	s_delay_alu instid0(SALU_CYCLE_1)
	s_cmp_lg_u32 s16, s0
	s_cbranch_scc0 .LBB55_17
; %bb.14:                               ;   in Loop: Header=BB55_9 Depth=1
	s_add_i32 s1, s18, s20
	s_mov_b32 s5, s12
	s_lshl_b32 s1, s1, 6
	s_mov_b32 s19, s16
	s_add_i32 s4, s1, s15
	s_mul_hi_u32 s1, s0, s8
	s_lshl_b64 s[4:5], s[4:5], 3
	s_delay_alu instid0(SALU_CYCLE_1) | instskip(SKIP_2) | instid1(SALU_CYCLE_1)
	s_add_u32 s4, s2, s4
	s_addc_u32 s5, s3, s5
	s_add_i32 s1, s1, s0
	s_lshr_b32 s1, s1, s9
	s_delay_alu instid0(SALU_CYCLE_1) | instskip(NEXT) | instid1(SALU_CYCLE_1)
	s_mul_i32 s13, s1, s10
	s_cmp_eq_u32 s13, s0
	s_cselect_b32 s13, -1, 0
	s_cmp_lt_u32 s1, s11
	s_cselect_b32 s1, -1, 0
	s_delay_alu instid0(SALU_CYCLE_1)
	s_or_b32 s1, s1, s13
	s_mov_b32 s13, -1
	s_and_b32 vcc_lo, exec_lo, s1
	s_mov_b32 s1, s18
	s_cbranch_vccnz .LBB55_16
; %bb.15:                               ;   in Loop: Header=BB55_9 Depth=1
	s_add_i32 s1, s18, -1
	s_mov_b32 s13, 0
	s_mov_b32 s19, s0
.LBB55_16:                              ;   in Loop: Header=BB55_9 Depth=1
	v_mad_u64_u32 v[9:10], null, 0xa00, s18, v[3:4]
	s_load_b64 s[4:5], s[4:5], 0x0
	s_delay_alu instid0(VALU_DEP_1) | instskip(NEXT) | instid1(VALU_DEP_1)
	v_ashrrev_i32_e32 v10, 31, v9
	v_lshlrev_b64 v[9:10], 2, v[9:10]
	s_delay_alu instid0(VALU_DEP_1) | instskip(NEXT) | instid1(VALU_DEP_2)
	v_add_co_u32 v9, vcc_lo, s6, v9
	v_add_co_ci_u32_e32 v10, vcc_lo, s17, v10, vcc_lo
	s_waitcnt lgkmcnt(0)
	v_max_f32_e64 v11, s4, s4
	global_load_b32 v10, v[9:10], off
	v_max_f32_e32 v9, v8, v8
	s_delay_alu instid0(VALU_DEP_1) | instskip(NEXT) | instid1(VALU_DEP_1)
	v_max_f32_e32 v9, v9, v11
	v_sub_f32_e32 v12, v8, v9
	s_delay_alu instid0(VALU_DEP_1) | instskip(NEXT) | instid1(VALU_DEP_1)
	v_dual_mul_f32 v14, 0x3fb8aa3b, v12 :: v_dual_sub_f32 v11, s4, v9
	v_rndne_f32_e32 v18, v14
	s_delay_alu instid0(VALU_DEP_2) | instskip(SKIP_2) | instid1(VALU_DEP_4)
	v_mul_f32_e32 v13, 0x3fb8aa3b, v11
	v_fma_f32 v17, 0x3fb8aa3b, v12, -v14
	v_cmp_ngt_f32_e32 vcc_lo, 0xc2ce8ed0, v11
	v_sub_f32_e32 v14, v14, v18
	s_delay_alu instid0(VALU_DEP_4) | instskip(SKIP_2) | instid1(VALU_DEP_3)
	v_fma_f32 v15, 0x3fb8aa3b, v11, -v13
	v_rndne_f32_e32 v16, v13
	v_fmac_f32_e32 v17, 0x32a5705f, v12
	v_fmac_f32_e32 v15, 0x32a5705f, v11
	s_delay_alu instid0(VALU_DEP_2) | instskip(NEXT) | instid1(VALU_DEP_1)
	v_dual_sub_f32 v13, v13, v16 :: v_dual_add_f32 v14, v14, v17
	v_add_f32_e32 v13, v13, v15
	s_delay_alu instid0(VALU_DEP_2) | instskip(SKIP_2) | instid1(VALU_DEP_3)
	v_exp_f32_e32 v14, v14
	v_cvt_i32_f32_e32 v15, v16
	v_cvt_i32_f32_e32 v16, v18
	v_exp_f32_e32 v13, v13
	s_waitcnt_depctr 0xfff
	v_ldexp_f32 v14, v14, v16
	v_ldexp_f32 v13, v13, v15
	s_delay_alu instid0(VALU_DEP_1) | instskip(SKIP_1) | instid1(VALU_DEP_4)
	v_cndmask_b32_e32 v13, 0, v13, vcc_lo
	v_cmp_ngt_f32_e32 vcc_lo, 0xc2ce8ed0, v12
	v_cndmask_b32_e32 v14, 0, v14, vcc_lo
	v_cmp_nlt_f32_e32 vcc_lo, 0x42b17218, v11
	s_delay_alu instid0(VALU_DEP_4) | instskip(SKIP_1) | instid1(VALU_DEP_4)
	v_cndmask_b32_e32 v13, 0x7f800000, v13, vcc_lo
	v_cmp_nlt_f32_e32 vcc_lo, 0x42b17218, v12
	v_cndmask_b32_e32 v14, 0x7f800000, v14, vcc_lo
	v_cmp_le_f32_e32 vcc_lo, 0xc1a00000, v11
	s_delay_alu instid0(VALU_DEP_4) | instskip(SKIP_1) | instid1(VALU_DEP_4)
	v_cndmask_b32_e32 v11, 0, v13, vcc_lo
	v_cmp_le_f32_e32 vcc_lo, 0xc1a00000, v12
	v_cndmask_b32_e32 v12, 0, v14, vcc_lo
	s_waitcnt vmcnt(0)
	s_delay_alu instid0(VALU_DEP_3) | instskip(NEXT) | instid1(VALU_DEP_1)
	v_mul_f32_e32 v10, v10, v11
	v_dual_mul_f32 v11, s5, v11 :: v_dual_fmac_f32 v10, v5, v12
	s_delay_alu instid0(VALU_DEP_1)
	v_fmac_f32_e32 v11, v7, v12
	s_cbranch_execz .LBB55_18
	s_branch .LBB55_19
.LBB55_17:                              ;   in Loop: Header=BB55_9 Depth=1
                                        ; implicit-def: $sgpr13
                                        ; implicit-def: $vgpr10
                                        ; implicit-def: $vgpr9
                                        ; implicit-def: $vgpr11
                                        ; implicit-def: $sgpr1
                                        ; implicit-def: $sgpr19
.LBB55_18:                              ;   in Loop: Header=BB55_9 Depth=1
	s_waitcnt vmcnt(0)
	v_dual_mov_b32 v11, v7 :: v_dual_mov_b32 v10, v5
	v_mov_b32_e32 v9, v8
	s_add_i32 s1, s18, -1
	s_mov_b32 s13, 0
	s_mov_b32 s19, s16
.LBB55_19:                              ;   in Loop: Header=BB55_9 Depth=1
	s_and_not1_b32 vcc_lo, exec_lo, s13
	s_cbranch_vccz .LBB55_23
; %bb.20:                               ;   in Loop: Header=BB55_9 Depth=1
	v_dual_mov_b32 v7, v11 :: v_dual_mov_b32 v8, v9
	s_waitcnt vmcnt(0)
	v_mov_b32_e32 v5, v10
	s_mov_b32 s16, s19
	s_mov_b32 s18, s1
	s_branch .LBB55_9
.LBB55_21:
                                        ; implicit-def: $sgpr16_sgpr17
	s_load_b128 s[8:11], s[0:1], 0x44
	s_branch .LBB55_2
.LBB55_22:
                                        ; implicit-def: $sgpr18_sgpr19
	s_branch .LBB55_5
.LBB55_23:
	v_div_scale_f32 v0, null, v11, v11, v10
	s_delay_alu instid0(VALU_DEP_1) | instskip(SKIP_2) | instid1(VALU_DEP_1)
	v_rcp_f32_e32 v3, v0
	s_waitcnt_depctr 0xfff
	v_fma_f32 v4, -v0, v3, 1.0
	v_fmac_f32_e32 v3, v4, v3
	v_div_scale_f32 v4, vcc_lo, v10, v11, v10
	s_waitcnt vmcnt(0)
	s_delay_alu instid0(VALU_DEP_1) | instskip(NEXT) | instid1(VALU_DEP_1)
	v_mul_f32_e32 v5, v4, v3
	v_fma_f32 v6, -v0, v5, v4
	s_delay_alu instid0(VALU_DEP_1) | instskip(NEXT) | instid1(VALU_DEP_1)
	v_fmac_f32_e32 v5, v6, v3
	v_fma_f32 v0, -v0, v5, v4
	s_delay_alu instid0(VALU_DEP_1) | instskip(NEXT) | instid1(VALU_DEP_1)
	v_div_fmas_f32 v0, v0, v3, v5
	v_div_fixup_f32 v0, v0, v11, v10
	global_store_b32 v[1:2], v0, off
.LBB55_24:
	s_nop 0
	s_sendmsg sendmsg(MSG_DEALLOC_VGPRS)
	s_endpgm
	.section	.rodata,"a",@progbits
	.p2align	6, 0x0
	.amdhsa_kernel _ZL33flash_attn_stream_k_fixup_generalILi40ELi64ELi1EEvPfPK15HIP_vector_typeIfLj2EEiiiiS1_IjLj3EES5_S5_S5_
		.amdhsa_group_segment_fixed_size 0
		.amdhsa_private_segment_fixed_size 0
		.amdhsa_kernarg_size 336
		.amdhsa_user_sgpr_count 13
		.amdhsa_user_sgpr_dispatch_ptr 0
		.amdhsa_user_sgpr_queue_ptr 0
		.amdhsa_user_sgpr_kernarg_segment_ptr 1
		.amdhsa_user_sgpr_dispatch_id 0
		.amdhsa_user_sgpr_private_segment_size 0
		.amdhsa_wavefront_size32 1
		.amdhsa_uses_dynamic_stack 0
		.amdhsa_enable_private_segment 0
		.amdhsa_system_sgpr_workgroup_id_x 1
		.amdhsa_system_sgpr_workgroup_id_y 1
		.amdhsa_system_sgpr_workgroup_id_z 1
		.amdhsa_system_sgpr_workgroup_info 0
		.amdhsa_system_vgpr_workitem_id 0
		.amdhsa_next_free_vgpr 19
		.amdhsa_next_free_sgpr 32
		.amdhsa_reserve_vcc 1
		.amdhsa_float_round_mode_32 0
		.amdhsa_float_round_mode_16_64 0
		.amdhsa_float_denorm_mode_32 3
		.amdhsa_float_denorm_mode_16_64 3
		.amdhsa_dx10_clamp 1
		.amdhsa_ieee_mode 1
		.amdhsa_fp16_overflow 0
		.amdhsa_workgroup_processor_mode 1
		.amdhsa_memory_ordered 1
		.amdhsa_forward_progress 0
		.amdhsa_shared_vgpr_count 0
		.amdhsa_exception_fp_ieee_invalid_op 0
		.amdhsa_exception_fp_denorm_src 0
		.amdhsa_exception_fp_ieee_div_zero 0
		.amdhsa_exception_fp_ieee_overflow 0
		.amdhsa_exception_fp_ieee_underflow 0
		.amdhsa_exception_fp_ieee_inexact 0
		.amdhsa_exception_int_div_zero 0
	.end_amdhsa_kernel
	.section	.text._ZL33flash_attn_stream_k_fixup_generalILi40ELi64ELi1EEvPfPK15HIP_vector_typeIfLj2EEiiiiS1_IjLj3EES5_S5_S5_,"axG",@progbits,_ZL33flash_attn_stream_k_fixup_generalILi40ELi64ELi1EEvPfPK15HIP_vector_typeIfLj2EEiiiiS1_IjLj3EES5_S5_S5_,comdat
.Lfunc_end55:
	.size	_ZL33flash_attn_stream_k_fixup_generalILi40ELi64ELi1EEvPfPK15HIP_vector_typeIfLj2EEiiiiS1_IjLj3EES5_S5_S5_, .Lfunc_end55-_ZL33flash_attn_stream_k_fixup_generalILi40ELi64ELi1EEvPfPK15HIP_vector_typeIfLj2EEiiiiS1_IjLj3EES5_S5_S5_
                                        ; -- End function
	.section	.AMDGPU.csdata,"",@progbits
; Kernel info:
; codeLenInByte = 3216
; NumSgprs: 34
; NumVgprs: 19
; ScratchSize: 0
; MemoryBound: 0
; FloatMode: 240
; IeeeMode: 1
; LDSByteSize: 0 bytes/workgroup (compile time only)
; SGPRBlocks: 4
; VGPRBlocks: 2
; NumSGPRsForWavesPerEU: 34
; NumVGPRsForWavesPerEU: 19
; Occupancy: 16
; WaveLimiterHint : 0
; COMPUTE_PGM_RSRC2:SCRATCH_EN: 0
; COMPUTE_PGM_RSRC2:USER_SGPR: 13
; COMPUTE_PGM_RSRC2:TRAP_HANDLER: 0
; COMPUTE_PGM_RSRC2:TGID_X_EN: 1
; COMPUTE_PGM_RSRC2:TGID_Y_EN: 1
; COMPUTE_PGM_RSRC2:TGID_Z_EN: 1
; COMPUTE_PGM_RSRC2:TIDIG_COMP_CNT: 0
	.section	.text._ZL15flash_attn_tileILi40ELi40ELi32ELi1ELb0EEvPKcS1_S1_S1_S1_PKiPfP15HIP_vector_typeIfLj2EEffffjfiS5_IjLj3EEiiiiiiiiiiiliiliiiiil,"axG",@progbits,_ZL15flash_attn_tileILi40ELi40ELi32ELi1ELb0EEvPKcS1_S1_S1_S1_PKiPfP15HIP_vector_typeIfLj2EEffffjfiS5_IjLj3EEiiiiiiiiiiiliiliiiiil,comdat
	.globl	_ZL15flash_attn_tileILi40ELi40ELi32ELi1ELb0EEvPKcS1_S1_S1_S1_PKiPfP15HIP_vector_typeIfLj2EEffffjfiS5_IjLj3EEiiiiiiiiiiiliiliiiiil ; -- Begin function _ZL15flash_attn_tileILi40ELi40ELi32ELi1ELb0EEvPKcS1_S1_S1_S1_PKiPfP15HIP_vector_typeIfLj2EEffffjfiS5_IjLj3EEiiiiiiiiiiiliiliiiiil
	.p2align	8
	.type	_ZL15flash_attn_tileILi40ELi40ELi32ELi1ELb0EEvPKcS1_S1_S1_S1_PKiPfP15HIP_vector_typeIfLj2EEffffjfiS5_IjLj3EEiiiiiiiiiiiliiliiiiil,@function
_ZL15flash_attn_tileILi40ELi40ELi32ELi1ELb0EEvPKcS1_S1_S1_S1_PKiPfP15HIP_vector_typeIfLj2EEffffjfiS5_IjLj3EEiiiiiiiiiiiliiliiiiil: ; @_ZL15flash_attn_tileILi40ELi40ELi32ELi1ELb0EEvPKcS1_S1_S1_S1_PKiPfP15HIP_vector_typeIfLj2EEffffjfiS5_IjLj3EEiiiiiiiiiiiliiliiiiil
; %bb.0:
	s_clause 0x1
	s_load_b128 s[36:39], s[2:3], 0x5c
	s_load_b64 s[40:41], s[2:3], 0x80
	s_mov_b64 s[34:35], 0
	s_waitcnt lgkmcnt(0)
	v_cvt_f32_u32_e32 v1, s39
	s_sub_i32 s5, 0, s39
	s_delay_alu instid0(VALU_DEP_1) | instskip(SKIP_2) | instid1(VALU_DEP_1)
	v_rcp_iflag_f32_e32 v1, v1
	s_waitcnt_depctr 0xfff
	v_mul_f32_e32 v1, 0x4f7ffffe, v1
	v_cvt_u32_f32_e32 v1, v1
	s_delay_alu instid0(VALU_DEP_1) | instskip(NEXT) | instid1(VALU_DEP_1)
	v_readfirstlane_b32 s4, v1
	s_mul_i32 s5, s5, s4
	s_delay_alu instid0(SALU_CYCLE_1) | instskip(NEXT) | instid1(SALU_CYCLE_1)
	s_mul_hi_u32 s5, s4, s5
	s_add_i32 s4, s4, s5
	s_delay_alu instid0(SALU_CYCLE_1) | instskip(NEXT) | instid1(SALU_CYCLE_1)
	s_mul_hi_u32 s4, s15, s4
	s_mul_i32 s5, s4, s39
	s_add_i32 s6, s4, 1
	s_sub_i32 s5, s15, s5
	s_delay_alu instid0(SALU_CYCLE_1)
	s_sub_i32 s7, s5, s39
	s_cmp_ge_u32 s5, s39
	s_cselect_b32 s4, s6, s4
	s_cselect_b32 s5, s7, s5
	s_add_i32 s6, s4, 1
	s_cmp_ge_u32 s5, s39
	s_cselect_b32 s33, s6, s4
	s_abs_i32 s4, s41
	s_abs_i32 s7, s39
	v_cvt_f32_u32_e32 v1, s4
	s_sub_i32 s6, 0, s4
	s_delay_alu instid0(VALU_DEP_1) | instskip(SKIP_2) | instid1(VALU_DEP_1)
	v_rcp_iflag_f32_e32 v1, v1
	s_waitcnt_depctr 0xfff
	v_mul_f32_e32 v1, 0x4f7ffffe, v1
	v_cvt_u32_f32_e32 v1, v1
	s_delay_alu instid0(VALU_DEP_1) | instskip(NEXT) | instid1(VALU_DEP_1)
	v_readfirstlane_b32 s5, v1
	s_mul_i32 s6, s6, s5
	s_delay_alu instid0(SALU_CYCLE_1) | instskip(NEXT) | instid1(SALU_CYCLE_1)
	s_mul_hi_u32 s6, s5, s6
	s_add_i32 s5, s5, s6
	s_xor_b32 s6, s39, s41
	s_mul_hi_u32 s5, s7, s5
	s_ashr_i32 s6, s6, 31
	s_mul_i32 s8, s5, s4
	s_delay_alu instid0(SALU_CYCLE_1)
	s_sub_i32 s7, s7, s8
	s_add_i32 s8, s5, 1
	s_sub_i32 s9, s7, s4
	s_cmp_ge_u32 s7, s4
	s_cselect_b32 s5, s8, s5
	s_cselect_b32 s7, s9, s7
	s_add_i32 s8, s5, 1
	s_cmp_ge_u32 s7, s4
	s_cselect_b32 s4, s8, s5
	s_delay_alu instid0(SALU_CYCLE_1) | instskip(NEXT) | instid1(SALU_CYCLE_1)
	s_xor_b32 s4, s4, s6
	s_sub_i32 s42, s4, s6
	s_clause 0x1
	s_load_b512 s[16:31], s[2:3], 0x0
	s_load_b64 s[6:7], s[2:3], 0xb8
	s_abs_i32 s12, s42
	s_mul_i32 s4, s33, s39
	v_cvt_f32_u32_e32 v1, s12
	s_delay_alu instid0(VALU_DEP_1) | instskip(SKIP_4) | instid1(VALU_DEP_1)
	v_rcp_iflag_f32_e32 v1, v1
	s_waitcnt_depctr 0xfff
	v_mul_f32_e32 v1, 0x4f7ffffe, v1
	s_waitcnt lgkmcnt(0)
	s_cmp_eq_u64 s[22:23], 0
	v_cvt_u32_f32_e32 v1, v1
	s_delay_alu instid0(VALU_DEP_1)
	v_readfirstlane_b32 s43, v1
	s_cbranch_scc1 .LBB56_2
; %bb.1:
	s_abs_i32 s5, s6
	s_abs_i32 s10, s33
	v_cvt_f32_u32_e32 v1, s5
	s_sub_i32 s8, 0, s5
	s_delay_alu instid0(VALU_DEP_1) | instskip(SKIP_2) | instid1(VALU_DEP_1)
	v_rcp_iflag_f32_e32 v1, v1
	s_waitcnt_depctr 0xfff
	v_mul_f32_e32 v1, 0x4f7ffffe, v1
	v_cvt_u32_f32_e32 v1, v1
	s_delay_alu instid0(VALU_DEP_1) | instskip(NEXT) | instid1(VALU_DEP_1)
	v_readfirstlane_b32 s6, v1
	s_mul_i32 s8, s8, s6
	s_delay_alu instid0(SALU_CYCLE_1) | instskip(NEXT) | instid1(SALU_CYCLE_1)
	s_mul_hi_u32 s8, s6, s8
	s_add_i32 s6, s6, s8
	s_load_b64 s[8:9], s[2:3], 0xc8
	s_mul_hi_u32 s6, s10, s6
	s_delay_alu instid0(SALU_CYCLE_1) | instskip(NEXT) | instid1(SALU_CYCLE_1)
	s_mul_i32 s6, s6, s5
	s_sub_i32 s6, s10, s6
	s_ashr_i32 s10, s33, 31
	s_sub_i32 s11, s6, s5
	s_cmp_ge_u32 s6, s5
	s_cselect_b32 s6, s11, s6
	s_delay_alu instid0(SALU_CYCLE_1) | instskip(SKIP_2) | instid1(SALU_CYCLE_1)
	s_sub_i32 s11, s6, s5
	s_cmp_ge_u32 s6, s5
	s_cselect_b32 s5, s11, s6
	s_xor_b32 s5, s5, s10
	s_delay_alu instid0(SALU_CYCLE_1)
	s_sub_i32 s5, s5, s10
	s_waitcnt lgkmcnt(0)
	s_mul_i32 s6, s5, s9
	s_mul_hi_u32 s9, s5, s8
	s_ashr_i32 s10, s5, 31
	s_add_i32 s6, s9, s6
	s_mul_i32 s10, s10, s8
	s_mul_i32 s5, s5, s8
	s_add_i32 s6, s6, s10
	s_add_u32 s34, s22, s5
	s_addc_u32 s35, s23, s6
.LBB56_2:
	s_clause 0x1
	s_load_b128 s[8:11], s[2:3], 0x40
	s_load_b32 s5, s[2:3], 0x50
	v_mov_b32_e32 v29, 1.0
	s_sub_i32 s22, s15, s4
	s_waitcnt lgkmcnt(0)
	v_cmp_le_f32_e64 s6, s9, 0
	s_sub_i32 s9, 0, s12
	s_delay_alu instid0(VALU_DEP_1)
	s_and_b32 vcc_lo, exec_lo, s6
	s_cbranch_vccnz .LBB56_4
; %bb.3:
	s_sub_i32 s4, s22, s5
	s_add_i32 s6, s22, 1
	s_lshl_b32 s4, s4, 1
	v_mov_b32_e32 v1, s10
	s_or_b32 s4, s4, 1
	s_cmp_lt_u32 s22, s5
	s_cselect_b32 vcc_lo, -1, 0
	s_delay_alu instid0(VALU_DEP_1)
	v_cndmask_b32_e32 v3, s11, v1, vcc_lo
	s_and_b32 s5, vcc_lo, exec_lo
	s_cselect_b32 s4, s6, s4
	s_mov_b32 s5, 0x3e76c4e1
	v_cvt_f32_i32_e32 v1, s4
	v_cmp_neq_f32_e32 vcc_lo, 1.0, v3
	s_delay_alu instid0(VALU_DEP_2) | instskip(NEXT) | instid1(VALU_DEP_1)
	v_cndmask_b32_e32 v4, 1.0, v1, vcc_lo
	v_cmp_eq_f32_e32 vcc_lo, 0, v4
	v_cndmask_b32_e64 v5, |v3|, 1.0, vcc_lo
	s_delay_alu instid0(VALU_DEP_1) | instskip(NEXT) | instid1(VALU_DEP_1)
	v_frexp_mant_f32_e32 v1, v5
	v_cmp_gt_f32_e64 s4, 0x3f2aaaab, v1
	s_delay_alu instid0(VALU_DEP_1) | instskip(NEXT) | instid1(VALU_DEP_1)
	v_cndmask_b32_e64 v2, 1.0, 2.0, s4
	v_mul_f32_e32 v1, v1, v2
	s_delay_alu instid0(VALU_DEP_1) | instskip(SKIP_1) | instid1(VALU_DEP_2)
	v_add_f32_e32 v2, 1.0, v1
	v_add_f32_e32 v7, -1.0, v1
	v_rcp_f32_e32 v6, v2
	s_waitcnt_depctr 0xfff
	v_mul_f32_e32 v8, v7, v6
	s_delay_alu instid0(VALU_DEP_1) | instskip(NEXT) | instid1(VALU_DEP_1)
	v_dual_add_f32 v9, -1.0, v2 :: v_dual_mul_f32 v10, v2, v8
	v_sub_f32_e32 v1, v1, v9
	v_cndmask_b32_e64 v3, v3, 1.0, vcc_lo
	s_delay_alu instid0(VALU_DEP_3) | instskip(NEXT) | instid1(VALU_DEP_2)
	v_fma_f32 v2, v8, v2, -v10
	v_cmp_eq_f32_e64 s6, 0, v3
	s_delay_alu instid0(VALU_DEP_2) | instskip(NEXT) | instid1(VALU_DEP_1)
	v_fmac_f32_e32 v2, v8, v1
	v_add_f32_e32 v1, v10, v2
	s_delay_alu instid0(VALU_DEP_1) | instskip(NEXT) | instid1(VALU_DEP_1)
	v_dual_sub_f32 v10, v1, v10 :: v_dual_sub_f32 v9, v7, v1
	v_dual_sub_f32 v2, v10, v2 :: v_dual_sub_f32 v7, v7, v9
	s_delay_alu instid0(VALU_DEP_1) | instskip(NEXT) | instid1(VALU_DEP_1)
	v_sub_f32_e32 v1, v7, v1
	v_add_f32_e32 v1, v2, v1
	s_delay_alu instid0(VALU_DEP_1) | instskip(NEXT) | instid1(VALU_DEP_1)
	v_add_f32_e32 v1, v9, v1
	v_mul_f32_e32 v1, v6, v1
	s_delay_alu instid0(VALU_DEP_1) | instskip(NEXT) | instid1(VALU_DEP_1)
	v_add_f32_e32 v6, v8, v1
	v_sub_f32_e32 v2, v6, v8
	v_mul_f32_e32 v7, v6, v6
	s_delay_alu instid0(VALU_DEP_2) | instskip(NEXT) | instid1(VALU_DEP_2)
	v_sub_f32_e32 v8, v1, v2
	v_fma_f32 v9, v6, v6, -v7
	s_delay_alu instid0(VALU_DEP_2) | instskip(NEXT) | instid1(VALU_DEP_1)
	v_add_f32_e32 v1, v8, v8
	v_fmac_f32_e32 v9, v6, v1
	v_cvt_f64_f32_e32 v[1:2], v5
	s_delay_alu instid0(VALU_DEP_2) | instskip(NEXT) | instid1(VALU_DEP_1)
	v_add_f32_e32 v10, v7, v9
	v_fmaak_f32 v11, s5, v10, 0x3e91f4c4
	v_sub_f32_e32 v7, v10, v7
	v_mul_f32_e32 v14, v6, v10
	s_delay_alu instid0(VALU_DEP_3) | instskip(NEXT) | instid1(VALU_DEP_3)
	v_fmaak_f32 v11, v10, v11, 0x3ecccdef
	v_sub_f32_e32 v7, v9, v7
	s_delay_alu instid0(VALU_DEP_2) | instskip(NEXT) | instid1(VALU_DEP_1)
	v_mul_f32_e32 v12, v10, v11
	v_fma_f32 v9, v10, v11, -v12
	s_delay_alu instid0(VALU_DEP_1) | instskip(NEXT) | instid1(VALU_DEP_1)
	v_fmac_f32_e32 v9, v7, v11
	v_add_f32_e32 v11, v12, v9
	v_frexp_exp_i32_f64_e32 v1, v[1:2]
	s_delay_alu instid0(VALU_DEP_2) | instskip(NEXT) | instid1(VALU_DEP_1)
	v_sub_f32_e32 v12, v11, v12
	v_sub_f32_e32 v2, v9, v12
	v_fma_f32 v12, v10, v6, -v14
	s_delay_alu instid0(VALU_DEP_2) | instskip(NEXT) | instid1(VALU_DEP_2)
	v_add_f32_e32 v2, 0x31739010, v2
	v_dual_add_f32 v13, 0x3f2aaaaa, v11 :: v_dual_fmac_f32 v12, v10, v8
	v_ldexp_f32 v8, v8, 1
	s_delay_alu instid0(VALU_DEP_2) | instskip(NEXT) | instid1(VALU_DEP_1)
	v_dual_add_f32 v9, 0xbf2aaaaa, v13 :: v_dual_fmac_f32 v12, v7, v6
	v_sub_f32_e32 v9, v11, v9
	s_delay_alu instid0(VALU_DEP_1) | instskip(NEXT) | instid1(VALU_DEP_3)
	v_add_f32_e32 v2, v2, v9
	v_add_f32_e32 v9, v14, v12
	s_delay_alu instid0(VALU_DEP_2) | instskip(NEXT) | instid1(VALU_DEP_1)
	v_add_f32_e32 v7, v13, v2
	v_sub_f32_e32 v10, v13, v7
	s_delay_alu instid0(VALU_DEP_3) | instskip(SKIP_2) | instid1(VALU_DEP_4)
	v_mul_f32_e32 v11, v9, v7
	v_sub_f32_e32 v13, v9, v14
	v_subrev_co_ci_u32_e64 v1, s4, 0, v1, s4
	v_add_f32_e32 v2, v2, v10
	s_delay_alu instid0(VALU_DEP_4) | instskip(NEXT) | instid1(VALU_DEP_4)
	v_fma_f32 v10, v9, v7, -v11
	v_sub_f32_e32 v12, v12, v13
	s_delay_alu instid0(VALU_DEP_4) | instskip(NEXT) | instid1(VALU_DEP_3)
	v_cvt_f32_i32_e32 v1, v1
	v_fmac_f32_e32 v10, v9, v2
	v_ldexp_f32 v2, v6, 1
	s_delay_alu instid0(VALU_DEP_2) | instskip(NEXT) | instid1(VALU_DEP_1)
	v_fmac_f32_e32 v10, v12, v7
	v_add_f32_e32 v6, v11, v10
	s_delay_alu instid0(VALU_DEP_1) | instskip(NEXT) | instid1(VALU_DEP_1)
	v_add_f32_e32 v7, v2, v6
	v_dual_sub_f32 v2, v7, v2 :: v_dual_sub_f32 v9, v6, v11
	s_delay_alu instid0(VALU_DEP_1) | instskip(NEXT) | instid1(VALU_DEP_2)
	v_sub_f32_e32 v2, v6, v2
	v_sub_f32_e32 v9, v10, v9
	s_delay_alu instid0(VALU_DEP_1) | instskip(NEXT) | instid1(VALU_DEP_1)
	v_add_f32_e32 v6, v8, v9
	v_dual_mul_f32 v11, 0x3f317218, v1 :: v_dual_add_f32 v2, v6, v2
	s_delay_alu instid0(VALU_DEP_1) | instskip(NEXT) | instid1(VALU_DEP_2)
	v_fma_f32 v10, 0x3f317218, v1, -v11
	v_add_f32_e32 v8, v7, v2
	s_delay_alu instid0(VALU_DEP_1) | instskip(NEXT) | instid1(VALU_DEP_1)
	v_sub_f32_e32 v7, v8, v7
	v_dual_fmamk_f32 v1, v1, 0xb102e308, v10 :: v_dual_sub_f32 v2, v2, v7
	s_delay_alu instid0(VALU_DEP_1) | instskip(NEXT) | instid1(VALU_DEP_1)
	v_add_f32_e32 v6, v11, v1
	v_add_f32_e32 v9, v6, v8
	s_delay_alu instid0(VALU_DEP_1) | instskip(NEXT) | instid1(VALU_DEP_1)
	v_dual_sub_f32 v11, v6, v11 :: v_dual_sub_f32 v10, v9, v6
	v_sub_f32_e32 v12, v9, v10
	s_delay_alu instid0(VALU_DEP_2) | instskip(NEXT) | instid1(VALU_DEP_2)
	v_sub_f32_e32 v1, v1, v11
	v_dual_sub_f32 v7, v8, v10 :: v_dual_sub_f32 v6, v6, v12
	s_delay_alu instid0(VALU_DEP_2) | instskip(NEXT) | instid1(VALU_DEP_2)
	v_add_f32_e32 v8, v1, v2
	v_add_f32_e32 v6, v7, v6
	s_delay_alu instid0(VALU_DEP_1) | instskip(NEXT) | instid1(VALU_DEP_1)
	v_add_f32_e32 v6, v8, v6
	v_dual_sub_f32 v7, v8, v1 :: v_dual_add_f32 v10, v9, v6
	s_delay_alu instid0(VALU_DEP_1) | instskip(SKIP_1) | instid1(VALU_DEP_3)
	v_sub_f32_e32 v8, v8, v7
	v_sub_f32_e32 v2, v2, v7
	;; [unrolled: 1-line block ×3, first 2 shown]
	s_delay_alu instid0(VALU_DEP_3) | instskip(NEXT) | instid1(VALU_DEP_1)
	v_sub_f32_e32 v1, v1, v8
	v_add_f32_e32 v1, v2, v1
	s_delay_alu instid0(VALU_DEP_3) | instskip(NEXT) | instid1(VALU_DEP_1)
	v_sub_f32_e32 v2, v6, v7
	v_add_f32_e32 v1, v1, v2
	s_delay_alu instid0(VALU_DEP_1) | instskip(NEXT) | instid1(VALU_DEP_1)
	v_add_f32_e32 v2, v10, v1
	v_mul_f32_e32 v7, v4, v2
	v_sub_f32_e32 v6, v2, v10
	s_delay_alu instid0(VALU_DEP_2) | instskip(NEXT) | instid1(VALU_DEP_2)
	v_fma_f32 v2, v4, v2, -v7
	v_sub_f32_e32 v1, v1, v6
	v_cmp_class_f32_e64 s4, v7, 0x204
	s_delay_alu instid0(VALU_DEP_2) | instskip(NEXT) | instid1(VALU_DEP_1)
	v_fmac_f32_e32 v2, v4, v1
	v_add_f32_e32 v1, v7, v2
	s_delay_alu instid0(VALU_DEP_1) | instskip(NEXT) | instid1(VALU_DEP_1)
	v_cndmask_b32_e64 v6, v1, v7, s4
	v_cmp_eq_f32_e64 s4, 0x42b17218, v6
	s_delay_alu instid0(VALU_DEP_1) | instskip(SKIP_1) | instid1(VALU_DEP_2)
	v_cndmask_b32_e64 v8, 0, 0x37000000, s4
	v_cmp_neq_f32_e64 s4, 0x7f800000, |v6|
	v_sub_f32_e32 v9, v6, v8
	v_trunc_f32_e32 v6, v4
	s_delay_alu instid0(VALU_DEP_2) | instskip(NEXT) | instid1(VALU_DEP_1)
	v_mul_f32_e32 v10, 0x3fb8aa3b, v9
	v_fma_f32 v11, 0x3fb8aa3b, v9, -v10
	v_rndne_f32_e32 v12, v10
	s_delay_alu instid0(VALU_DEP_1) | instskip(NEXT) | instid1(VALU_DEP_1)
	v_dual_fmamk_f32 v11, v9, 0x32a5705f, v11 :: v_dual_sub_f32 v10, v10, v12
	v_add_f32_e32 v10, v10, v11
	v_sub_f32_e32 v1, v1, v7
	v_cvt_i32_f32_e32 v7, v12
	s_delay_alu instid0(VALU_DEP_3) | instskip(NEXT) | instid1(VALU_DEP_2)
	v_exp_f32_e32 v10, v10
	v_sub_f32_e32 v1, v2, v1
	s_delay_alu instid0(VALU_DEP_1)
	v_cndmask_b32_e64 v1, 0, v1, s4
	v_cmp_ngt_f32_e64 s4, 0xc2ce8ed0, v9
	s_waitcnt_depctr 0xfff
	v_ldexp_f32 v2, v10, v7
	v_mul_f32_e32 v7, 0.5, v4
	v_add_f32_e32 v1, v8, v1
	s_delay_alu instid0(VALU_DEP_3) | instskip(NEXT) | instid1(VALU_DEP_3)
	v_cndmask_b32_e64 v2, 0, v2, s4
	v_trunc_f32_e32 v10, v7
	v_cmp_nlt_f32_e64 s4, 0x42b17218, v9
	s_delay_alu instid0(VALU_DEP_2) | instskip(NEXT) | instid1(VALU_DEP_2)
	v_cmp_neq_f32_e64 s5, v10, v7
	v_cndmask_b32_e64 v2, 0x7f800000, v2, s4
	v_cmp_eq_f32_e64 s4, v6, v4
	s_delay_alu instid0(VALU_DEP_2) | instskip(NEXT) | instid1(VALU_DEP_2)
	v_fma_f32 v1, v2, v1, v2
	s_and_b32 vcc_lo, s4, s5
	v_cmp_class_f32_e64 s5, v2, 0x204
	v_cndmask_b32_e32 v6, 1.0, v3, vcc_lo
	s_delay_alu instid0(VALU_DEP_2) | instskip(SKIP_1) | instid1(VALU_DEP_2)
	v_cndmask_b32_e64 v1, v1, v2, s5
	v_cmp_gt_f32_e64 s5, 0, v4
	v_bfi_b32 v1, 0x7fffffff, v1, v6
	v_cndmask_b32_e32 v6, 0, v3, vcc_lo
	s_delay_alu instid0(VALU_DEP_3)
	s_xor_b32 s5, s5, s6
	v_cmp_eq_f32_e32 vcc_lo, 0x7f800000, v5
	v_cndmask_b32_e64 v2, 0x7f800000, 0, s5
	v_cndmask_b32_e64 v4, 0x7fc00000, v1, s4
	v_cmp_gt_f32_e64 s4, 0, v3
	s_or_b32 vcc_lo, vcc_lo, s6
	s_delay_alu instid0(VALU_DEP_3) | instskip(NEXT) | instid1(VALU_DEP_2)
	v_bfi_b32 v2, 0x7fffffff, v2, v6
	v_cndmask_b32_e64 v1, v1, v4, s4
	s_delay_alu instid0(VALU_DEP_1) | instskip(SKIP_1) | instid1(VALU_DEP_2)
	v_cndmask_b32_e32 v1, v1, v2, vcc_lo
	v_cmp_o_f32_e32 vcc_lo, v3, v3
	v_cndmask_b32_e32 v29, 0x7fc00000, v1, vcc_lo
.LBB56_4:
	s_load_b128 s[44:47], s[2:3], 0x70
	v_and_b32_e32 v18, 0x3ff, v0
	v_bfe_u32 v28, v0, 10, 10
	s_lshl_b32 s41, s13, 5
	s_mul_i32 s9, s9, s43
	s_delay_alu instid0(VALU_DEP_2) | instskip(NEXT) | instid1(VALU_DEP_2)
	v_lshlrev_b32_e32 v9, 3, v18
	v_lshlrev_b32_e32 v14, 2, v28
	v_cmp_gt_u32_e64 s4, 20, v18
	s_delay_alu instid0(VALU_DEP_2)
	v_add_nc_u32_e32 v15, s41, v14
	s_waitcnt lgkmcnt(0)
	s_mul_i32 s5, s33, s46
	s_mul_i32 s6, s22, s45
	s_ashr_i32 s10, s5, 31
	s_add_u32 s5, s16, s5
	s_addc_u32 s10, s17, s10
	s_ashr_i32 s11, s6, 31
	s_add_u32 s5, s5, s6
	s_addc_u32 s6, s10, s11
	v_add_co_u32 v1, s5, s5, v9
	s_delay_alu instid0(VALU_DEP_1) | instskip(SKIP_1) | instid1(SALU_CYCLE_1)
	v_add_co_ci_u32_e64 v2, null, s6, 0, s5
	s_ashr_i32 s45, s44, 31
	s_lshr_b64 s[10:11], s[44:45], 2
	s_and_saveexec_b32 s5, s4
	s_cbranch_execz .LBB56_6
; %bb.5:
	v_mul_hi_u32 v3, v15, s36
	s_delay_alu instid0(VALU_DEP_1) | instskip(NEXT) | instid1(VALU_DEP_1)
	v_add_nc_u32_e32 v3, v15, v3
	v_lshrrev_b32_e32 v3, s37, v3
	s_delay_alu instid0(VALU_DEP_1) | instskip(NEXT) | instid1(VALU_DEP_1)
	v_mul_lo_u32 v3, v3, s38
	v_sub_nc_u32_e32 v7, v15, v3
	s_delay_alu instid0(VALU_DEP_1) | instskip(NEXT) | instid1(VALU_DEP_1)
	v_mad_u64_u32 v[3:4], null, s10, v7, 0
	v_mad_u64_u32 v[5:6], null, s11, v7, v[4:5]
	s_delay_alu instid0(VALU_DEP_1) | instskip(SKIP_1) | instid1(VALU_DEP_2)
	v_mov_b32_e32 v4, v5
	v_mul_u32_u24_e32 v5, 0x50, v28
	v_lshlrev_b64 v[3:4], 2, v[3:4]
	s_delay_alu instid0(VALU_DEP_1) | instskip(NEXT) | instid1(VALU_DEP_2)
	v_add_co_u32 v3, vcc_lo, v1, v3
	v_add_co_ci_u32_e32 v4, vcc_lo, v2, v4, vcc_lo
	global_load_b64 v[3:4], v[3:4], off
	s_waitcnt vmcnt(0)
	v_fma_mixlo_f16 v3, v3, s8, 0
	s_delay_alu instid0(VALU_DEP_1)
	v_fma_mixhi_f16 v3, v4, s8, 0
	v_add_lshl_u32 v4, v5, v18, 2
	ds_store_b32 v4, v3 offset:3168
.LBB56_6:
	s_or_b32 exec_lo, exec_lo, s5
	v_or_b32_e32 v19, 1, v14
	s_mul_hi_u32 s6, s43, s9
	s_delay_alu instid0(VALU_DEP_1)
	v_add_nc_u32_e32 v20, s41, v19
	s_and_saveexec_b32 s5, s4
	s_cbranch_execz .LBB56_8
; %bb.7:
	s_delay_alu instid0(VALU_DEP_1) | instskip(NEXT) | instid1(VALU_DEP_1)
	v_mul_hi_u32 v3, v20, s36
	v_add_nc_u32_e32 v3, v20, v3
	s_delay_alu instid0(VALU_DEP_1) | instskip(NEXT) | instid1(VALU_DEP_1)
	v_lshrrev_b32_e32 v3, s37, v3
	v_mul_lo_u32 v3, v3, s38
	s_delay_alu instid0(VALU_DEP_1) | instskip(NEXT) | instid1(VALU_DEP_1)
	v_sub_nc_u32_e32 v7, v20, v3
	v_mad_u64_u32 v[3:4], null, s10, v7, 0
	s_delay_alu instid0(VALU_DEP_1) | instskip(NEXT) | instid1(VALU_DEP_1)
	v_mad_u64_u32 v[5:6], null, s11, v7, v[4:5]
	v_mov_b32_e32 v4, v5
	v_mul_u32_u24_e32 v5, 20, v19
	s_delay_alu instid0(VALU_DEP_2) | instskip(NEXT) | instid1(VALU_DEP_1)
	v_lshlrev_b64 v[3:4], 2, v[3:4]
	v_add_co_u32 v3, vcc_lo, v1, v3
	s_delay_alu instid0(VALU_DEP_2) | instskip(SKIP_3) | instid1(VALU_DEP_1)
	v_add_co_ci_u32_e32 v4, vcc_lo, v2, v4, vcc_lo
	global_load_b64 v[3:4], v[3:4], off
	s_waitcnt vmcnt(0)
	v_fma_mixlo_f16 v3, v3, s8, 0
	v_fma_mixhi_f16 v3, v4, s8, 0
	v_add_lshl_u32 v4, v5, v18, 2
	ds_store_b32 v4, v3 offset:3168
.LBB56_8:
	s_or_b32 exec_lo, exec_lo, s5
	v_or_b32_e32 v17, 2, v14
	s_abs_i32 s5, s22
	s_add_i32 s43, s43, s6
	s_and_saveexec_b32 s6, s4
	s_cbranch_execz .LBB56_10
; %bb.9:
	v_add_nc_u32_e32 v3, s41, v17
	s_delay_alu instid0(VALU_DEP_1) | instskip(NEXT) | instid1(VALU_DEP_1)
	v_mul_hi_u32 v4, v3, s36
	v_add_nc_u32_e32 v4, v3, v4
	s_delay_alu instid0(VALU_DEP_1) | instskip(NEXT) | instid1(VALU_DEP_1)
	v_lshrrev_b32_e32 v4, s37, v4
	v_mul_lo_u32 v4, v4, s38
	s_delay_alu instid0(VALU_DEP_1) | instskip(NEXT) | instid1(VALU_DEP_1)
	v_sub_nc_u32_e32 v7, v3, v4
	v_mad_u64_u32 v[3:4], null, s10, v7, 0
	s_delay_alu instid0(VALU_DEP_1) | instskip(NEXT) | instid1(VALU_DEP_1)
	v_mad_u64_u32 v[5:6], null, s11, v7, v[4:5]
	v_mov_b32_e32 v4, v5
	v_mul_u32_u24_e32 v5, 20, v17
	s_delay_alu instid0(VALU_DEP_2) | instskip(NEXT) | instid1(VALU_DEP_1)
	v_lshlrev_b64 v[3:4], 2, v[3:4]
	v_add_co_u32 v3, vcc_lo, v1, v3
	s_delay_alu instid0(VALU_DEP_2) | instskip(SKIP_3) | instid1(VALU_DEP_1)
	v_add_co_ci_u32_e32 v4, vcc_lo, v2, v4, vcc_lo
	global_load_b64 v[3:4], v[3:4], off
	s_waitcnt vmcnt(0)
	v_fma_mixlo_f16 v3, v3, s8, 0
	v_fma_mixhi_f16 v3, v4, s8, 0
	v_add_lshl_u32 v4, v5, v18, 2
	ds_store_b32 v4, v3 offset:3168
.LBB56_10:
	s_or_b32 exec_lo, exec_lo, s6
	v_or_b32_e32 v16, 3, v14
	s_mul_hi_u32 s6, s5, s43
	s_and_saveexec_b32 s9, s4
	s_cbranch_execz .LBB56_12
; %bb.11:
	s_delay_alu instid0(VALU_DEP_1) | instskip(NEXT) | instid1(VALU_DEP_1)
	v_add_nc_u32_e32 v3, s41, v16
	v_mul_hi_u32 v4, v3, s36
	s_delay_alu instid0(VALU_DEP_1) | instskip(NEXT) | instid1(VALU_DEP_1)
	v_add_nc_u32_e32 v4, v3, v4
	v_lshrrev_b32_e32 v4, s37, v4
	s_delay_alu instid0(VALU_DEP_1) | instskip(NEXT) | instid1(VALU_DEP_1)
	v_mul_lo_u32 v4, v4, s38
	v_sub_nc_u32_e32 v7, v3, v4
	s_delay_alu instid0(VALU_DEP_1) | instskip(NEXT) | instid1(VALU_DEP_1)
	v_mad_u64_u32 v[3:4], null, s10, v7, 0
	v_mad_u64_u32 v[5:6], null, s11, v7, v[4:5]
	s_delay_alu instid0(VALU_DEP_1) | instskip(NEXT) | instid1(VALU_DEP_1)
	v_mov_b32_e32 v4, v5
	v_lshlrev_b64 v[3:4], 2, v[3:4]
	s_delay_alu instid0(VALU_DEP_1) | instskip(NEXT) | instid1(VALU_DEP_2)
	v_add_co_u32 v1, vcc_lo, v1, v3
	v_add_co_ci_u32_e32 v2, vcc_lo, v2, v4, vcc_lo
	v_mul_u32_u24_e32 v3, 20, v16
	global_load_b64 v[1:2], v[1:2], off
	s_waitcnt vmcnt(0)
	v_fma_mixlo_f16 v1, v1, s8, 0
	s_delay_alu instid0(VALU_DEP_1)
	v_fma_mixhi_f16 v1, v2, s8, 0
	v_add_lshl_u32 v2, v3, v18, 2
	ds_store_b32 v2, v1 offset:3168
.LBB56_12:
	s_or_b32 exec_lo, exec_lo, s9
	s_ashr_i32 s23, s22, 31
	s_ashr_i32 s15, s42, 31
	s_cmp_eq_u64 s[26:27], 0
	s_waitcnt lgkmcnt(0)
	s_barrier
	buffer_gl0_inv
	s_cbranch_scc1 .LBB56_14
; %bb.13:
	s_load_b32 s8, s[2:3], 0xd0
	s_mov_b32 s9, 0
	s_waitcnt lgkmcnt(0)
	s_mul_i32 s8, s8, s33
	s_delay_alu instid0(SALU_CYCLE_1) | instskip(NEXT) | instid1(SALU_CYCLE_1)
	s_add_i32 s8, s8, s13
	s_lshl_b64 s[8:9], s[8:9], 2
	s_delay_alu instid0(SALU_CYCLE_1)
	s_add_u32 s8, s26, s8
	s_addc_u32 s9, s27, s9
	s_load_b32 s40, s[8:9], 0x0
.LBB56_14:
	s_clause 0x2
	s_load_b64 s[16:17], s[2:3], 0x8c
	s_load_b128 s[8:11], s[2:3], 0x98
	s_load_b64 s[48:49], s[2:3], 0xa8
	s_ashr_i32 s27, s7, 1
	s_ashr_i32 s7, s33, 31
	s_mul_i32 s13, s6, s12
	s_mov_b32 s44, 0xfeffffff
	v_lshl_add_u32 v30, v28, 5, v18
	s_mov_b32 s45, s44
	s_mov_b32 s46, s44
	;; [unrolled: 1-line block ×3, first 2 shown]
	v_dual_mov_b32 v1, s44 :: v_dual_lshlrev_b32 v26, 2, v18
	v_dual_mov_b32 v31, 0 :: v_dual_mov_b32 v2, s45
	v_dual_mov_b32 v27, 0 :: v_dual_mov_b32 v4, s47
	v_mov_b32_e32 v3, s46
	v_lshrrev_b32_e32 v37, 2, v18
	v_mul_u32_u24_e32 v36, 0x60, v18
	s_waitcnt lgkmcnt(0)
	s_ashr_i32 s42, s16, 2
	s_ashr_i32 s26, s10, 2
	s_mul_i32 s9, s33, s9
	s_mul_hi_u32 s10, s33, s8
	s_mul_i32 s16, s7, s8
	s_add_i32 s9, s10, s9
	s_mul_i32 s8, s33, s8
	s_add_i32 s9, s9, s16
	s_add_u32 s8, s18, s8
	s_addc_u32 s9, s19, s9
	s_sub_i32 s5, s5, s13
	s_xor_b32 s10, s23, s15
	s_add_i32 s13, s6, 1
	s_sub_i32 s15, s5, s12
	s_cmp_ge_u32 s5, s12
	s_mul_i32 s7, s7, s48
	s_cselect_b32 s6, s13, s6
	s_cselect_b32 s5, s15, s5
	s_add_i32 s13, s6, 1
	s_cmp_ge_u32 s5, s12
	s_mul_hi_u32 s12, s33, s48
	s_cselect_b32 s5, s13, s6
	s_mul_i32 s6, s33, s49
	s_xor_b32 s5, s5, s10
	s_mul_i32 s13, s33, s48
	s_sub_i32 s5, s5, s10
	v_mul_u32_u24_e32 v35, 0x140, v28
	s_mul_i32 s10, s5, s17
	s_mul_i32 s5, s5, s11
	s_ashr_i32 s15, s10, 31
	s_add_u32 s43, s8, s10
	s_addc_u32 s44, s9, s15
	s_add_i32 s6, s12, s6
	v_lshl_add_u32 v24, v28, 8, 0x1660
	s_add_i32 s6, s6, s7
	s_add_u32 s7, s20, s13
	s_addc_u32 s6, s21, s6
	s_ashr_i32 s8, s5, 31
	s_add_u32 s18, s7, s5
	v_mbcnt_lo_u32_b32 v23, -1, 0
	s_addc_u32 s19, s6, s8
	s_lshl_b32 s20, s14, 5
	s_sub_i32 s21, s40, 32
	s_delay_alu instid0(SALU_CYCLE_1)
	s_cmp_ge_i32 s20, s21
	s_cbranch_scc1 .LBB56_34
; %bb.15:
	v_or_b32_e32 v8, 3, v15
	v_or_b32_e32 v6, 1, v15
	;; [unrolled: 1-line block ×3, first 2 shown]
	v_mul_hi_u32 v2, s36, v15
	v_dual_mov_b32 v21, 0 :: v_dual_and_b32 v22, 12, v26
	v_mul_hi_u32 v10, s36, v8
	v_mul_hi_u32 v3, s36, v6
	;; [unrolled: 1-line block ×3, first 2 shown]
	s_delay_alu instid0(VALU_DEP_4)
	v_dual_mov_b32 v53, 0xfeffffff :: v_dual_lshlrev_b32 v12, 2, v22
	v_add_nc_u32_e32 v2, v15, v2
	v_dual_mov_b32 v51, 0 :: v_dual_lshlrev_b32 v46, 2, v22
	v_dual_mov_b32 v55, 0xfeffffff :: v_dual_add_nc_u32 v10, v8, v10
	v_dual_mov_b32 v22, 0 :: v_dual_add_nc_u32 v11, v6, v3
	v_add_nc_u32_e32 v4, v7, v4
	s_delay_alu instid0(VALU_DEP_3) | instskip(SKIP_1) | instid1(VALU_DEP_4)
	v_lshrrev_b32_e32 v10, s37, v10
	v_lshrrev_b32_e32 v2, s37, v2
	;; [unrolled: 1-line block ×3, first 2 shown]
	v_lshl_add_u32 v5, v28, 3, v37
	v_lshrrev_b32_e32 v4, s37, v4
	v_mul_lo_u32 v31, v10, s38
	v_mul_lo_u32 v25, v2, s38
	;; [unrolled: 1-line block ×7, first 2 shown]
	v_cmp_gt_u32_e64 s6, 32, v5
	v_sub_nc_u32_e32 v8, v8, v31
	v_mul_lo_u32 v31, s26, v5
	v_sub_nc_u32_e32 v25, v15, v25
	v_sub_nc_u32_e32 v6, v6, v11
	;; [unrolled: 1-line block ×3, first 2 shown]
	v_mov_b32_e32 v27, 0
	v_ashrrev_i32_e32 v2, 31, v1
	v_ashrrev_i32_e32 v4, 31, v3
	;; [unrolled: 1-line block ×4, first 2 shown]
	v_mul_lo_u32 v39, v25, s27
	v_mul_lo_u32 v40, v6, s27
	;; [unrolled: 1-line block ×4, first 2 shown]
	v_mad_u32_u24 v13, 0x60, v5, v12
	v_mad_u32_u24 v44, 0x50, v5, v12
	v_lshlrev_b64 v[5:6], 2, v[3:4]
	v_lshlrev_b64 v[7:8], 2, v[1:2]
	v_dual_mov_b32 v54, 0xfeffffff :: v_dual_add_nc_u32 v45, v24, v9
	v_lshlrev_b64 v[9:10], 2, v[10:11]
	v_lshlrev_b64 v[11:12], 2, v[31:32]
	v_cmp_gt_u32_e64 s5, 32, v30
	v_mad_u32_u24 v38, 0x60, v30, 64
	s_cmp_lg_u64 s[34:35], 0
	v_mad_u32_u24 v43, 0x50, v30, 64
	v_mbcnt_lo_u32_b32 v47, -1, 0
	v_dual_mov_b32 v25, 0 :: v_dual_mov_b32 v52, 0xfeffffff
	v_dual_mov_b32 v49, 0 :: v_dual_mov_b32 v50, 0
	v_mov_b32_e32 v48, 0
	s_cselect_b32 s45, -1, 0
	s_add_u32 s16, s2, 0xd0
	s_addc_u32 s17, s3, 0
.LBB56_16:                              ; =>This Inner Loop Header: Depth=1
	s_mul_hi_i32 s9, s20, s42
	s_mul_i32 s8, s20, s42
	s_delay_alu instid0(SALU_CYCLE_1) | instskip(NEXT) | instid1(SALU_CYCLE_1)
	s_lshl_b64 s[8:9], s[8:9], 2
	s_add_u32 s7, s43, s8
	s_addc_u32 s8, s44, s9
	s_and_saveexec_b32 s9, s5
	s_cbranch_execz .LBB56_18
; %bb.17:                               ;   in Loop: Header=BB56_16 Depth=1
	v_add_co_u32 v1, vcc_lo, s7, v5
	v_add_co_ci_u32_e32 v2, vcc_lo, s8, v6, vcc_lo
	global_load_b128 v[1:4], v[1:2], off offset:64
	s_waitcnt vmcnt(0)
	ds_store_b128 v38, v[1:4]
.LBB56_18:                              ;   in Loop: Header=BB56_16 Depth=1
	s_or_b32 exec_lo, exec_lo, s9
	s_and_saveexec_b32 s9, s6
	s_cbranch_execz .LBB56_20
; %bb.19:                               ;   in Loop: Header=BB56_16 Depth=1
	v_add_co_u32 v1, vcc_lo, s7, v7
	v_add_co_ci_u32_e32 v2, vcc_lo, s8, v8, vcc_lo
	s_delay_alu instid0(VALU_DEP_2) | instskip(NEXT) | instid1(VALU_DEP_2)
	v_add_co_u32 v1, vcc_lo, v1, v46
	v_add_co_ci_u32_e32 v2, vcc_lo, 0, v2, vcc_lo
	global_load_b128 v[1:4], v[1:2], off
	s_waitcnt vmcnt(0)
	ds_store_b128 v13, v[1:4]
.LBB56_20:                              ;   in Loop: Header=BB56_16 Depth=1
	s_or_b32 exec_lo, exec_lo, s9
	s_waitcnt lgkmcnt(0)
	s_barrier
	buffer_gl0_inv
	ds_load_b128 v[31:34], v36
	ds_load_b128 v[56:59], v35 offset:3168
	ds_load_b128 v[60:63], v35 offset:3248
	;; [unrolled: 1-line block ×4, first 2 shown]
	v_dual_mov_b32 v4, 0 :: v_dual_mov_b32 v3, 0
	v_dual_mov_b32 v2, 0 :: v_dual_mov_b32 v1, 0
	s_and_not1_b32 vcc_lo, exec_lo, s45
	s_waitcnt lgkmcnt(3)
	;;#ASMSTART
	v_dot2_f32_f16 v4, v31, v56, v4
	;;#ASMEND
	;;#ASMSTART
	v_dot2_f32_f16 v4, v32, v57, v4
	;;#ASMEND
	;;#ASMSTART
	v_dot2_f32_f16 v4, v33, v58, v4
	;;#ASMEND
	;;#ASMSTART
	v_dot2_f32_f16 v4, v34, v59, v4
	;;#ASMEND
	s_waitcnt lgkmcnt(2)
	;;#ASMSTART
	v_dot2_f32_f16 v3, v31, v60, v3
	;;#ASMEND
	;;#ASMSTART
	v_dot2_f32_f16 v3, v32, v61, v3
	;;#ASMEND
	;;#ASMSTART
	v_dot2_f32_f16 v3, v33, v62, v3
	;;#ASMEND
	;;#ASMSTART
	v_dot2_f32_f16 v3, v34, v63, v3
	;;#ASMEND
	s_waitcnt lgkmcnt(1)
	;;#ASMSTART
	v_dot2_f32_f16 v2, v31, v64, v2
	;;#ASMEND
	;;#ASMSTART
	v_dot2_f32_f16 v2, v32, v65, v2
	;;#ASMEND
	;;#ASMSTART
	v_dot2_f32_f16 v2, v33, v66, v2
	;;#ASMEND
	;;#ASMSTART
	v_dot2_f32_f16 v2, v34, v67, v2
	;;#ASMEND
	s_waitcnt lgkmcnt(0)
	;;#ASMSTART
	v_dot2_f32_f16 v1, v31, v68, v1
	;;#ASMEND
	;;#ASMSTART
	v_dot2_f32_f16 v1, v32, v69, v1
	;;#ASMEND
	;;#ASMSTART
	v_dot2_f32_f16 v1, v33, v70, v1
	;;#ASMEND
	;;#ASMSTART
	v_dot2_f32_f16 v1, v34, v71, v1
	;;#ASMEND
	ds_load_b128 v[31:34], v36 offset:16
	ds_load_b128 v[56:59], v35 offset:3184
	ds_load_b128 v[60:63], v35 offset:3264
	ds_load_b128 v[64:67], v35 offset:3344
	ds_load_b128 v[68:71], v35 offset:3424
	s_waitcnt lgkmcnt(3)
	;;#ASMSTART
	v_dot2_f32_f16 v4, v31, v56, v4
	;;#ASMEND
	;;#ASMSTART
	v_dot2_f32_f16 v4, v32, v57, v4
	;;#ASMEND
	;;#ASMSTART
	v_dot2_f32_f16 v4, v33, v58, v4
	;;#ASMEND
	;;#ASMSTART
	v_dot2_f32_f16 v4, v34, v59, v4
	;;#ASMEND
	s_waitcnt lgkmcnt(2)
	;;#ASMSTART
	v_dot2_f32_f16 v3, v31, v60, v3
	;;#ASMEND
	;;#ASMSTART
	v_dot2_f32_f16 v3, v32, v61, v3
	;;#ASMEND
	;;#ASMSTART
	v_dot2_f32_f16 v3, v33, v62, v3
	;;#ASMEND
	;;#ASMSTART
	v_dot2_f32_f16 v3, v34, v63, v3
	;;#ASMEND
	s_waitcnt lgkmcnt(1)
	;;#ASMSTART
	v_dot2_f32_f16 v2, v31, v64, v2
	;;#ASMEND
	;;#ASMSTART
	v_dot2_f32_f16 v2, v32, v65, v2
	;;#ASMEND
	;;#ASMSTART
	v_dot2_f32_f16 v2, v33, v66, v2
	;;#ASMEND
	;;#ASMSTART
	v_dot2_f32_f16 v2, v34, v67, v2
	;;#ASMEND
	s_waitcnt lgkmcnt(0)
	;;#ASMSTART
	v_dot2_f32_f16 v1, v31, v68, v1
	;;#ASMEND
	;;#ASMSTART
	v_dot2_f32_f16 v1, v32, v69, v1
	;;#ASMEND
	;;#ASMSTART
	v_dot2_f32_f16 v1, v33, v70, v1
	;;#ASMEND
	;;#ASMSTART
	v_dot2_f32_f16 v1, v34, v71, v1
	;;#ASMEND
	ds_load_b128 v[31:34], v36 offset:32
	ds_load_b128 v[56:59], v35 offset:3200
	ds_load_b128 v[60:63], v35 offset:3280
	ds_load_b128 v[64:67], v35 offset:3360
	ds_load_b128 v[68:71], v35 offset:3440
	;; [unrolled: 57-line block ×4, first 2 shown]
	s_waitcnt lgkmcnt(3)
	;;#ASMSTART
	v_dot2_f32_f16 v4, v56, v60, v4
	;;#ASMEND
	;;#ASMSTART
	v_dot2_f32_f16 v4, v57, v61, v4
	;;#ASMEND
	;; [unrolled: 3-line block ×4, first 2 shown]
	s_waitcnt lgkmcnt(2)
	;;#ASMSTART
	v_dot2_f32_f16 v3, v56, v64, v3
	;;#ASMEND
	;;#ASMSTART
	v_dot2_f32_f16 v3, v57, v65, v3
	;;#ASMEND
	;; [unrolled: 3-line block ×4, first 2 shown]
	s_waitcnt lgkmcnt(1)
	;;#ASMSTART
	v_dot2_f32_f16 v2, v56, v68, v2
	;;#ASMEND
	v_dual_mov_b32 v31, 0 :: v_dual_add_nc_u32 v32, s20, v18
	v_mov_b32_e32 v33, 0
	;;#ASMSTART
	v_dot2_f32_f16 v2, v57, v69, v2
	;;#ASMEND
	;;#ASMSTART
	v_dot2_f32_f16 v2, v58, v70, v2
	;;#ASMEND
	;; [unrolled: 3-line block ×3, first 2 shown]
	s_waitcnt lgkmcnt(0)
	;;#ASMSTART
	v_dot2_f32_f16 v1, v56, v72, v1
	;;#ASMEND
	;;#ASMSTART
	v_dot2_f32_f16 v1, v57, v73, v1
	;;#ASMEND
	;; [unrolled: 3-line block ×4, first 2 shown]
	s_cbranch_vccnz .LBB56_22
; %bb.21:                               ;   in Loop: Header=BB56_16 Depth=1
	v_add_nc_u32_e32 v33, v32, v39
	s_delay_alu instid0(VALU_DEP_1) | instskip(NEXT) | instid1(VALU_DEP_1)
	v_ashrrev_i32_e32 v34, 31, v33
	v_lshlrev_b64 v[33:34], 1, v[33:34]
	s_delay_alu instid0(VALU_DEP_1) | instskip(NEXT) | instid1(VALU_DEP_2)
	v_add_co_u32 v33, vcc_lo, s34, v33
	v_add_co_ci_u32_e32 v34, vcc_lo, s35, v34, vcc_lo
	flat_load_u16 v33, v[33:34]
	s_waitcnt vmcnt(0) lgkmcnt(0)
	v_cvt_f32_f16_e32 v33, v33
	s_delay_alu instid0(VALU_DEP_1)
	v_mul_f32_e32 v33, v29, v33
.LBB56_22:                              ;   in Loop: Header=BB56_16 Depth=1
	v_xor_b32_e32 v34, 16, v47
	s_delay_alu instid0(VALU_DEP_2) | instskip(SKIP_1) | instid1(VALU_DEP_3)
	v_add_f32_e32 v4, v4, v33
	v_xor_b32_e32 v57, 8, v47
	v_cmp_gt_i32_e32 vcc_lo, 32, v34
	v_dual_max_f32 v33, v53, v53 :: v_dual_cndmask_b32 v34, v47, v34
	s_delay_alu instid0(VALU_DEP_3) | instskip(SKIP_1) | instid1(VALU_DEP_3)
	v_cmp_gt_i32_e32 vcc_lo, 32, v57
	v_add_f32_e32 v56, 0x40051340, v4
	v_dual_cndmask_b32 v57, v47, v57 :: v_dual_lshlrev_b32 v34, 2, v34
	s_delay_alu instid0(VALU_DEP_2) | instskip(SKIP_3) | instid1(VALU_DEP_1)
	v_max_f32_e32 v33, v33, v56
	ds_bpermute_b32 v56, v34, v33
	s_waitcnt lgkmcnt(0)
	v_max_f32_e32 v58, v56, v56
	v_dual_max_f32 v33, v33, v58 :: v_dual_lshlrev_b32 v56, 2, v57
	v_xor_b32_e32 v58, 4, v47
	ds_bpermute_b32 v57, v56, v33
	v_cmp_gt_i32_e32 vcc_lo, 32, v58
	s_waitcnt lgkmcnt(0)
	v_max_f32_e32 v59, v57, v57
	s_delay_alu instid0(VALU_DEP_1) | instskip(SKIP_1) | instid1(VALU_DEP_2)
	v_dual_max_f32 v33, v33, v59 :: v_dual_cndmask_b32 v58, v47, v58
	v_xor_b32_e32 v59, 2, v47
	v_lshlrev_b32_e32 v57, 2, v58
	s_delay_alu instid0(VALU_DEP_2) | instskip(SKIP_3) | instid1(VALU_DEP_1)
	v_cmp_gt_i32_e32 vcc_lo, 32, v59
	ds_bpermute_b32 v58, v57, v33
	s_waitcnt lgkmcnt(0)
	v_dual_cndmask_b32 v59, v47, v59 :: v_dual_max_f32 v60, v58, v58
	v_dual_max_f32 v33, v33, v60 :: v_dual_lshlrev_b32 v58, 2, v59
	v_xor_b32_e32 v60, 1, v47
	ds_bpermute_b32 v59, v58, v33
	v_cmp_gt_i32_e32 vcc_lo, 32, v60
	v_cndmask_b32_e32 v60, v47, v60, vcc_lo
	s_and_not1_b32 vcc_lo, exec_lo, s45
	s_delay_alu instid0(VALU_DEP_1) | instskip(SKIP_2) | instid1(VALU_DEP_1)
	v_lshlrev_b32_e32 v61, 2, v60
	s_waitcnt lgkmcnt(0)
	v_max_f32_e32 v59, v59, v59
	v_max_f32_e32 v59, v33, v59
	ds_bpermute_b32 v60, v61, v59
	s_cbranch_vccnz .LBB56_24
; %bb.23:                               ;   in Loop: Header=BB56_16 Depth=1
	v_add_nc_u32_e32 v62, v32, v40
	s_delay_alu instid0(VALU_DEP_1) | instskip(NEXT) | instid1(VALU_DEP_1)
	v_ashrrev_i32_e32 v63, 31, v62
	v_lshlrev_b64 v[62:63], 1, v[62:63]
	s_delay_alu instid0(VALU_DEP_1) | instskip(NEXT) | instid1(VALU_DEP_2)
	v_add_co_u32 v62, vcc_lo, s34, v62
	v_add_co_ci_u32_e32 v63, vcc_lo, s35, v63, vcc_lo
	flat_load_u16 v31, v[62:63]
	s_waitcnt vmcnt(0) lgkmcnt(0)
	v_cvt_f32_f16_e32 v31, v31
	s_delay_alu instid0(VALU_DEP_1)
	v_mul_f32_e32 v31, v29, v31
.LBB56_24:                              ;   in Loop: Header=BB56_16 Depth=1
	s_delay_alu instid0(VALU_DEP_1) | instskip(SKIP_3) | instid1(VALU_DEP_3)
	v_add_f32_e32 v31, v3, v31
	v_max_f32_e32 v33, v54, v54
	v_mov_b32_e32 v63, 0
	s_and_not1_b32 vcc_lo, exec_lo, s45
	v_add_f32_e32 v3, 0x40051340, v31
	s_delay_alu instid0(VALU_DEP_1) | instskip(SKIP_3) | instid1(VALU_DEP_1)
	v_max_f32_e32 v3, v33, v3
	ds_bpermute_b32 v33, v34, v3
	s_waitcnt lgkmcnt(0)
	v_max_f32_e32 v33, v33, v33
	v_max_f32_e32 v3, v3, v33
	ds_bpermute_b32 v33, v56, v3
	s_waitcnt lgkmcnt(0)
	v_max_f32_e32 v33, v33, v33
	s_delay_alu instid0(VALU_DEP_1) | instskip(SKIP_3) | instid1(VALU_DEP_1)
	v_max_f32_e32 v3, v3, v33
	ds_bpermute_b32 v33, v57, v3
	s_waitcnt lgkmcnt(0)
	v_max_f32_e32 v33, v33, v33
	v_max_f32_e32 v3, v3, v33
	ds_bpermute_b32 v33, v58, v3
	s_waitcnt lgkmcnt(0)
	v_max_f32_e32 v33, v33, v33
	s_delay_alu instid0(VALU_DEP_1)
	v_max_f32_e32 v3, v3, v33
	v_mov_b32_e32 v33, 0
	ds_bpermute_b32 v62, v61, v3
	s_cbranch_vccnz .LBB56_26
; %bb.25:                               ;   in Loop: Header=BB56_16 Depth=1
	v_add_nc_u32_e32 v64, v32, v41
	s_delay_alu instid0(VALU_DEP_1) | instskip(NEXT) | instid1(VALU_DEP_1)
	v_ashrrev_i32_e32 v65, 31, v64
	v_lshlrev_b64 v[64:65], 1, v[64:65]
	s_delay_alu instid0(VALU_DEP_1) | instskip(NEXT) | instid1(VALU_DEP_2)
	v_add_co_u32 v64, vcc_lo, s34, v64
	v_add_co_ci_u32_e32 v65, vcc_lo, s35, v65, vcc_lo
	flat_load_u16 v33, v[64:65]
	s_waitcnt vmcnt(0) lgkmcnt(0)
	v_cvt_f32_f16_e32 v33, v33
	s_delay_alu instid0(VALU_DEP_1)
	v_mul_f32_e32 v33, v29, v33
.LBB56_26:                              ;   in Loop: Header=BB56_16 Depth=1
	s_delay_alu instid0(VALU_DEP_1) | instskip(SKIP_1) | instid1(VALU_DEP_1)
	v_dual_add_f32 v33, v2, v33 :: v_dual_max_f32 v64, v55, v55
	s_and_not1_b32 vcc_lo, exec_lo, s45
	v_add_f32_e32 v2, 0x40051340, v33
	s_delay_alu instid0(VALU_DEP_1) | instskip(SKIP_3) | instid1(VALU_DEP_1)
	v_max_f32_e32 v2, v64, v2
	ds_bpermute_b32 v64, v34, v2
	s_waitcnt lgkmcnt(0)
	v_max_f32_e32 v64, v64, v64
	v_max_f32_e32 v2, v2, v64
	ds_bpermute_b32 v64, v56, v2
	s_waitcnt lgkmcnt(0)
	v_max_f32_e32 v64, v64, v64
	s_delay_alu instid0(VALU_DEP_1) | instskip(SKIP_3) | instid1(VALU_DEP_1)
	v_max_f32_e32 v2, v2, v64
	ds_bpermute_b32 v64, v57, v2
	s_waitcnt lgkmcnt(0)
	v_max_f32_e32 v64, v64, v64
	v_max_f32_e32 v2, v2, v64
	ds_bpermute_b32 v64, v58, v2
	s_waitcnt lgkmcnt(0)
	v_max_f32_e32 v64, v64, v64
	s_delay_alu instid0(VALU_DEP_1)
	v_max_f32_e32 v2, v2, v64
	ds_bpermute_b32 v64, v61, v2
	s_cbranch_vccnz .LBB56_28
; %bb.27:                               ;   in Loop: Header=BB56_16 Depth=1
	v_add_nc_u32_e32 v65, v32, v42
	s_delay_alu instid0(VALU_DEP_1) | instskip(NEXT) | instid1(VALU_DEP_1)
	v_ashrrev_i32_e32 v66, 31, v65
	v_lshlrev_b64 v[65:66], 1, v[65:66]
	s_delay_alu instid0(VALU_DEP_1) | instskip(NEXT) | instid1(VALU_DEP_2)
	v_add_co_u32 v65, vcc_lo, s34, v65
	v_add_co_ci_u32_e32 v66, vcc_lo, s35, v66, vcc_lo
	flat_load_u16 v32, v[65:66]
	s_waitcnt vmcnt(0) lgkmcnt(0)
	v_cvt_f32_f16_e32 v32, v32
	s_delay_alu instid0(VALU_DEP_1)
	v_mul_f32_e32 v63, v29, v32
.LBB56_28:                              ;   in Loop: Header=BB56_16 Depth=1
	s_delay_alu instid0(VALU_DEP_1) | instskip(SKIP_3) | instid1(VALU_DEP_2)
	v_dual_add_f32 v32, v1, v63 :: v_dual_max_f32 v1, v52, v52
	v_max_f32_e32 v3, v3, v3
	s_mul_hi_i32 s47, s20, s26
	s_mul_i32 s46, s20, s26
	v_add_f32_e32 v63, 0x40051340, v32
	s_lshl_b64 s[46:47], s[46:47], 2
	s_waitcnt lgkmcnt(0)
	s_add_u32 s46, s18, s46
	s_addc_u32 s47, s19, s47
	v_max_f32_e32 v1, v1, v63
	s_barrier
	buffer_gl0_inv
	ds_bpermute_b32 v34, v34, v1
	s_waitcnt lgkmcnt(0)
	v_max_f32_e32 v34, v34, v34
	s_delay_alu instid0(VALU_DEP_1) | instskip(SKIP_4) | instid1(VALU_DEP_1)
	v_max_f32_e32 v1, v1, v34
	ds_bpermute_b32 v34, v56, v1
	v_max_f32_e32 v56, v64, v64
	s_waitcnt lgkmcnt(0)
	v_max_f32_e32 v34, v34, v34
	v_max_f32_e32 v1, v1, v34
	ds_bpermute_b32 v34, v57, v1
	s_waitcnt lgkmcnt(0)
	v_max_f32_e32 v34, v34, v34
	s_delay_alu instid0(VALU_DEP_1)
	v_max_f32_e32 v1, v1, v34
	ds_bpermute_b32 v34, v58, v1
	v_max_f32_e32 v58, v2, v2
	v_max_f32_e32 v2, v59, v59
	s_waitcnt lgkmcnt(0)
	v_max_f32_e32 v34, v34, v34
	s_delay_alu instid0(VALU_DEP_1) | instskip(NEXT) | instid1(VALU_DEP_1)
	v_dual_max_f32 v34, v1, v34 :: v_dual_max_f32 v1, v60, v60
	v_max_f32_e32 v1, v2, v1
	ds_bpermute_b32 v57, v61, v34
	v_max_f32_e32 v59, v62, v62
	s_delay_alu instid0(VALU_DEP_1) | instskip(SKIP_2) | instid1(VALU_DEP_2)
	v_dual_max_f32 v2, v3, v59 :: v_dual_max_f32 v3, v58, v56
	v_sub_f32_e32 v58, v4, v1
	v_sub_f32_e32 v56, v53, v1
	v_cmp_ngt_f32_e64 s11, 0xc2ce8ed0, v58
	s_delay_alu instid0(VALU_DEP_2)
	v_cmp_ngt_f32_e64 s7, 0xc2ce8ed0, v56
	v_cmp_nlt_f32_e32 vcc_lo, 0x42b17218, v56
	s_waitcnt lgkmcnt(0)
	v_dual_max_f32 v4, v57, v57 :: v_dual_sub_f32 v59, v31, v2
	v_sub_f32_e32 v31, v33, v3
	v_mul_f32_e32 v33, 0x3fb8aa3b, v58
	v_sub_f32_e32 v54, v54, v2
	s_delay_alu instid0(VALU_DEP_4)
	v_max_f32_e32 v4, v34, v4
	v_mul_f32_e32 v34, 0x3fb8aa3b, v59
	v_sub_f32_e32 v53, v55, v3
	v_mul_f32_e32 v55, 0x3fb8aa3b, v31
	v_fma_f32 v57, 0x3fb8aa3b, v58, -v33
	v_sub_f32_e32 v61, v32, v4
	v_fma_f32 v32, 0x3fb8aa3b, v59, -v34
	v_rndne_f32_e32 v62, v34
	v_rndne_f32_e32 v60, v33
	v_fma_f32 v63, 0x3fb8aa3b, v31, -v55
	v_rndne_f32_e32 v64, v55
	v_fmac_f32_e32 v32, 0x32a5705f, v59
	v_dual_mul_f32 v65, 0x3fb8aa3b, v61 :: v_dual_sub_f32 v34, v34, v62
	s_delay_alu instid0(VALU_DEP_4) | instskip(NEXT) | instid1(VALU_DEP_4)
	v_fmac_f32_e32 v63, 0x32a5705f, v31
	v_sub_f32_e32 v55, v55, v64
	v_cmp_ngt_f32_e64 s8, 0xc2ce8ed0, v54
	s_delay_alu instid0(VALU_DEP_4) | instskip(SKIP_1) | instid1(VALU_DEP_4)
	v_fma_f32 v66, 0x3fb8aa3b, v61, -v65
	v_dual_add_f32 v32, v34, v32 :: v_dual_fmac_f32 v57, 0x32a5705f, v58
	v_dual_sub_f32 v33, v33, v60 :: v_dual_add_f32 v34, v55, v63
	v_rndne_f32_e32 v67, v65
	s_delay_alu instid0(VALU_DEP_4) | instskip(NEXT) | instid1(VALU_DEP_3)
	v_fmac_f32_e32 v66, 0x32a5705f, v61
	v_dual_sub_f32 v52, v52, v4 :: v_dual_add_f32 v33, v33, v57
	v_exp_f32_e32 v32, v32
	s_delay_alu instid0(VALU_DEP_3)
	v_sub_f32_e32 v57, v65, v67
	v_exp_f32_e32 v34, v34
	v_cmp_nlt_f32_e64 s9, 0x42b17218, v54
	v_exp_f32_e32 v33, v33
	v_cmp_ngt_f32_e64 s10, 0xc2ce8ed0, v53
	v_add_f32_e32 v55, v57, v66
	v_cvt_i32_f32_e32 v57, v60
	v_cvt_i32_f32_e32 v60, v62
	;; [unrolled: 1-line block ×3, first 2 shown]
	v_cmp_ngt_f32_e64 s13, 0xc2ce8ed0, v52
	v_exp_f32_e32 v55, v55
	v_cmp_nlt_f32_e64 s12, 0x42b17218, v52
	v_ldexp_f32 v32, v32, v60
	v_ldexp_f32 v33, v33, v57
	v_cvt_i32_f32_e32 v57, v67
	v_ldexp_f32 v34, v34, v62
	s_delay_alu instid0(VALU_DEP_3)
	v_cndmask_b32_e64 v33, 0, v33, s11
	v_cmp_ngt_f32_e64 s11, 0xc2ce8ed0, v59
	s_delay_alu instid0(TRANS32_DEP_1) | instid1(VALU_DEP_4)
	v_ldexp_f32 v55, v55, v57
	s_delay_alu instid0(VALU_DEP_2) | instskip(SKIP_1) | instid1(VALU_DEP_1)
	v_cndmask_b32_e64 v57, 0, v32, s11
	v_cmp_ngt_f32_e64 s11, 0xc2ce8ed0, v31
	v_cndmask_b32_e64 v32, 0, v34, s11
	v_cmp_ngt_f32_e64 s11, 0xc2ce8ed0, v61
	s_delay_alu instid0(VALU_DEP_1) | instskip(SKIP_1) | instid1(VALU_DEP_1)
	v_cndmask_b32_e64 v55, 0, v55, s11
	v_cmp_nlt_f32_e64 s11, 0x42b17218, v58
	v_cndmask_b32_e64 v34, 0x7f800000, v33, s11
	v_cmp_nlt_f32_e64 s11, 0x42b17218, v31
	s_delay_alu instid0(VALU_DEP_1) | instskip(SKIP_1) | instid1(VALU_DEP_1)
	v_cndmask_b32_e64 v32, 0x7f800000, v32, s11
	v_cmp_nlt_f32_e64 s11, 0x42b17218, v61
	v_cndmask_b32_e64 v31, 0x7f800000, v55, s11
	v_cmp_nlt_f32_e64 s11, 0x42b17218, v59
	v_cvt_f16_f32_e32 v55, v34
	s_delay_alu instid0(VALU_DEP_3) | instskip(NEXT) | instid1(VALU_DEP_3)
	v_cvt_f16_f32_e32 v58, v31
	v_cndmask_b32_e64 v33, 0x7f800000, v57, s11
	v_cvt_f16_f32_e32 v57, v32
	v_cmp_nlt_f32_e64 s11, 0x42b17218, v53
	s_delay_alu instid0(VALU_DEP_3) | instskip(NEXT) | instid1(VALU_DEP_3)
	v_cvt_f16_f32_e32 v59, v33
	v_pack_b32_f16 v58, v57, v58
	s_delay_alu instid0(VALU_DEP_2)
	v_pack_b32_f16 v57, v55, v59
	ds_store_b64 v45, v[57:58]
	s_and_saveexec_b32 s48, s5
	s_cbranch_execz .LBB56_30
; %bb.29:                               ;   in Loop: Header=BB56_16 Depth=1
	v_add_co_u32 v57, s15, s46, v9
	s_delay_alu instid0(VALU_DEP_1)
	v_add_co_ci_u32_e64 v58, s15, s47, v10, s15
	global_load_b128 v[57:60], v[57:58], off offset:64
	s_waitcnt vmcnt(0)
	ds_store_b128 v43, v[57:60]
.LBB56_30:                              ;   in Loop: Header=BB56_16 Depth=1
	s_or_b32 exec_lo, exec_lo, s48
	s_and_saveexec_b32 s48, s6
	s_cbranch_execz .LBB56_32
; %bb.31:                               ;   in Loop: Header=BB56_16 Depth=1
	v_add_co_u32 v55, s15, s46, v11
	s_delay_alu instid0(VALU_DEP_1) | instskip(NEXT) | instid1(VALU_DEP_2)
	v_add_co_ci_u32_e64 v58, s15, s47, v12, s15
	v_add_co_u32 v57, s15, v55, v46
	s_delay_alu instid0(VALU_DEP_1)
	v_add_co_ci_u32_e64 v58, s15, 0, v58, s15
	global_load_b128 v[57:60], v[57:58], off
	s_waitcnt vmcnt(0)
	ds_store_b128 v44, v[57:60]
.LBB56_32:                              ;   in Loop: Header=BB56_16 Depth=1
	s_or_b32 exec_lo, exec_lo, s48
	v_dual_mul_f32 v55, 0x3fb8aa3b, v56 :: v_dual_mul_f32 v58, 0x3fb8aa3b, v53
	v_mul_f32_e32 v59, 0x3fb8aa3b, v52
	s_waitcnt lgkmcnt(0)
	s_barrier
	s_delay_alu instid0(VALU_DEP_2) | instskip(SKIP_4) | instid1(VALU_DEP_4)
	v_fma_f32 v60, 0x3fb8aa3b, v56, -v55
	v_rndne_f32_e32 v61, v55
	v_fma_f32 v64, 0x3fb8aa3b, v53, -v58
	v_fma_f32 v65, 0x3fb8aa3b, v52, -v59
	v_rndne_f32_e32 v66, v59
	v_dual_fmac_f32 v60, 0x32a5705f, v56 :: v_dual_sub_f32 v55, v55, v61
	v_rndne_f32_e32 v56, v58
	v_fmac_f32_e32 v64, 0x32a5705f, v53
	v_mul_f32_e32 v57, 0x3fb8aa3b, v54
	v_dual_fmac_f32 v65, 0x32a5705f, v52 :: v_dual_sub_f32 v52, v59, v66
	s_delay_alu instid0(VALU_DEP_4) | instskip(SKIP_1) | instid1(VALU_DEP_4)
	v_sub_f32_e32 v53, v58, v56
	v_cvt_i32_f32_e32 v58, v61
	v_fma_f32 v62, 0x3fb8aa3b, v54, -v57
	v_cvt_i32_f32_e32 v56, v56
	s_delay_alu instid0(VALU_DEP_4)
	v_dual_add_f32 v52, v52, v65 :: v_dual_add_f32 v53, v53, v64
	buffer_gl0_inv
	v_fmac_f32_e32 v62, 0x32a5705f, v54
	v_add_f32_e32 v54, v55, v60
	v_rndne_f32_e32 v63, v57
	v_exp_f32_e32 v61, v53
	s_delay_alu instid0(VALU_DEP_1) | instskip(NEXT) | instid1(VALU_DEP_3)
	v_sub_f32_e32 v55, v57, v63
	v_exp_f32_e32 v57, v54
	v_cvt_i32_f32_e32 v60, v63
	v_cvt_i32_f32_e32 v63, v66
	s_waitcnt_depctr 0xfff
	v_ldexp_f32 v56, v61, v56
	v_ldexp_f32 v57, v57, v58
	s_delay_alu instid0(VALU_DEP_2) | instskip(NEXT) | instid1(VALU_DEP_2)
	v_cndmask_b32_e64 v56, 0, v56, s10
	v_cndmask_b32_e64 v57, 0, v57, s7
	s_delay_alu instid0(VALU_DEP_2) | instskip(SKIP_2) | instid1(VALU_DEP_2)
	v_cndmask_b32_e64 v76, 0x7f800000, v56, s11
	v_add_f32_e32 v55, v55, v62
	v_exp_f32_e32 v62, v52
	v_dual_cndmask_b32 v73, 0x7f800000, v57 :: v_dual_fmac_f32 v32, v49, v76
	s_delay_alu instid0(VALU_DEP_2)
	v_exp_f32_e32 v59, v55
	ds_load_2addr_b32 v[67:68], v26 offset1:20
	ds_load_b128 v[52:55], v24
	v_cvt_f16_f32_e32 v64, v76
	v_fmac_f32_e32 v34, v51, v73
	v_ldexp_f32 v58, v59, v60
	v_ldexp_f32 v59, v62, v63
	v_cvt_f16_f32_e32 v60, v73
	s_delay_alu instid0(VALU_DEP_3) | instskip(NEXT) | instid1(VALU_DEP_3)
	v_cndmask_b32_e64 v58, 0, v58, s8
	v_cndmask_b32_e64 v59, 0, v59, s13
	s_delay_alu instid0(VALU_DEP_2) | instskip(NEXT) | instid1(VALU_DEP_2)
	v_cndmask_b32_e64 v74, 0x7f800000, v58, s9
	v_cndmask_b32_e64 v75, 0x7f800000, v59, s12
	ds_load_b128 v[56:59], v24 offset:16
	ds_load_2addr_b32 v[69:70], v26 offset0:40 offset1:60
	s_waitcnt lgkmcnt(2)
	v_pk_mul_f16 v62, v67, v52 op_sel_hi:[1,0]
	v_pk_mul_f16 v52, v67, v52 op_sel:[0,1]
	v_cvt_f16_f32_e32 v63, v74
	v_cvt_f16_f32_e32 v61, v75
	v_pk_mul_f16 v65, v67, v53 op_sel_hi:[1,0]
	v_pk_fma_f16 v27, v60, v27, v62 op_sel_hi:[0,1,1]
	v_fmac_f32_e32 v33, v50, v74
	v_pk_fma_f16 v25, v63, v25, v52 op_sel_hi:[0,1,1]
	v_pk_mul_f16 v21, v61, v21 op_sel_hi:[0,1]
	ds_load_2addr_b32 v[71:72], v26 offset0:80 offset1:100
	ds_load_b128 v[60:63], v24 offset:32
	v_pk_fma_f16 v22, v64, v22, v65 op_sel_hi:[0,1,1]
	v_pk_fma_f16 v27, v68, v54, v27 op_sel_hi:[1,0,1]
	v_pk_fma_f16 v25, v68, v54, v25 op_sel:[0,1,0]
	v_pk_fma_f16 v21, v67, v53, v21 op_sel:[0,1,0]
	ds_load_b128 v[64:67], v24 offset:48
	v_pk_fma_f16 v52, v68, v55, v22 op_sel_hi:[1,0,1]
	v_fmac_f32_e32 v31, v48, v75
	v_pk_fma_f16 v53, v68, v55, v21 op_sel:[0,1,0]
	s_waitcnt lgkmcnt(3)
	v_pk_fma_f16 v27, v69, v56, v27 op_sel_hi:[1,0,1]
	v_pk_fma_f16 v25, v69, v56, v25 op_sel:[0,1,0]
	ds_load_2addr_b32 v[21:22], v26 offset0:120 offset1:140
	v_pk_fma_f16 v52, v69, v57, v52 op_sel_hi:[1,0,1]
	v_pk_fma_f16 v53, v69, v57, v53 op_sel:[0,1,0]
	v_pk_fma_f16 v27, v70, v58, v27 op_sel_hi:[1,0,1]
	v_pk_fma_f16 v25, v70, v58, v25 op_sel:[0,1,0]
	s_delay_alu instid0(VALU_DEP_4) | instskip(NEXT) | instid1(VALU_DEP_4)
	v_pk_fma_f16 v56, v70, v59, v52 op_sel_hi:[1,0,1]
	v_pk_fma_f16 v57, v70, v59, v53 op_sel:[0,1,0]
	s_waitcnt lgkmcnt(2)
	v_pk_fma_f16 v27, v71, v60, v27 op_sel_hi:[1,0,1]
	v_pk_fma_f16 v25, v71, v60, v25 op_sel:[0,1,0]
	ds_load_2addr_b32 v[68:69], v26 offset0:160 offset1:180
	ds_load_b128 v[52:55], v24 offset:64
	v_pk_fma_f16 v56, v71, v61, v56 op_sel_hi:[1,0,1]
	v_pk_fma_f16 v57, v71, v61, v57 op_sel:[0,1,0]
	v_pk_fma_f16 v27, v72, v62, v27 op_sel_hi:[1,0,1]
	v_pk_fma_f16 v25, v72, v62, v25 op_sel:[0,1,0]
	s_delay_alu instid0(VALU_DEP_4) | instskip(NEXT) | instid1(VALU_DEP_4)
	v_pk_fma_f16 v60, v72, v63, v56 op_sel_hi:[1,0,1]
	v_pk_fma_f16 v61, v72, v63, v57 op_sel:[0,1,0]
	ds_load_2addr_b32 v[70:71], v26 offset0:200 offset1:220
	ds_load_b128 v[56:59], v24 offset:80
	s_waitcnt lgkmcnt(4)
	v_pk_fma_f16 v27, v21, v64, v27 op_sel_hi:[1,0,1]
	v_pk_fma_f16 v25, v21, v64, v25 op_sel:[0,1,0]
	v_pk_fma_f16 v60, v21, v65, v60 op_sel_hi:[1,0,1]
	v_pk_fma_f16 v21, v21, v65, v61 op_sel:[0,1,0]
	v_add_nc_u32_e32 v61, 0x200, v26
	v_pk_fma_f16 v27, v22, v66, v27 op_sel_hi:[1,0,1]
	v_pk_fma_f16 v25, v22, v66, v25 op_sel:[0,1,0]
	v_pk_fma_f16 v64, v22, v67, v60 op_sel_hi:[1,0,1]
	v_pk_fma_f16 v65, v22, v67, v21 op_sel:[0,1,0]
	ds_load_2addr_b32 v[21:22], v61 offset0:112 offset1:132
	ds_load_b128 v[60:63], v24 offset:96
	s_waitcnt lgkmcnt(4)
	v_pk_fma_f16 v27, v68, v52, v27 op_sel_hi:[1,0,1]
	v_pk_fma_f16 v25, v68, v52, v25 op_sel:[0,1,0]
	v_pk_fma_f16 v52, v68, v53, v64 op_sel_hi:[1,0,1]
	v_pk_fma_f16 v53, v68, v53, v65 op_sel:[0,1,0]
	v_add_nc_u32_e32 v68, 0x400, v26
	v_pk_fma_f16 v27, v69, v54, v27 op_sel_hi:[1,0,1]
	v_pk_fma_f16 v25, v69, v54, v25 op_sel:[0,1,0]
	v_pk_fma_f16 v66, v69, v55, v52 op_sel_hi:[1,0,1]
	v_pk_fma_f16 v67, v69, v55, v53 op_sel:[0,1,0]
	ds_load_2addr_b32 v[64:65], v68 offset0:24 offset1:44
	ds_load_b128 v[52:55], v24 offset:112
	s_waitcnt lgkmcnt(4)
	v_pk_fma_f16 v27, v70, v56, v27 op_sel_hi:[1,0,1]
	v_pk_fma_f16 v25, v70, v56, v25 op_sel:[0,1,0]
	v_pk_fma_f16 v56, v70, v57, v66 op_sel_hi:[1,0,1]
	v_pk_fma_f16 v57, v70, v57, v67 op_sel:[0,1,0]
	s_delay_alu instid0(VALU_DEP_4) | instskip(NEXT) | instid1(VALU_DEP_4)
	v_pk_fma_f16 v27, v71, v58, v27 op_sel_hi:[1,0,1]
	v_pk_fma_f16 v25, v71, v58, v25 op_sel:[0,1,0]
	s_delay_alu instid0(VALU_DEP_4) | instskip(NEXT) | instid1(VALU_DEP_4)
	v_pk_fma_f16 v69, v71, v59, v56 op_sel_hi:[1,0,1]
	v_pk_fma_f16 v70, v71, v59, v57 op_sel:[0,1,0]
	ds_load_2addr_b32 v[66:67], v68 offset0:64 offset1:84
	ds_load_b128 v[56:59], v24 offset:128
	s_waitcnt lgkmcnt(4)
	v_pk_fma_f16 v27, v21, v60, v27 op_sel_hi:[1,0,1]
	v_pk_fma_f16 v25, v21, v60, v25 op_sel:[0,1,0]
	v_pk_fma_f16 v60, v21, v61, v69 op_sel_hi:[1,0,1]
	v_pk_fma_f16 v21, v21, v61, v70 op_sel:[0,1,0]
	s_delay_alu instid0(VALU_DEP_4) | instskip(NEXT) | instid1(VALU_DEP_4)
	v_pk_fma_f16 v27, v22, v62, v27 op_sel_hi:[1,0,1]
	v_pk_fma_f16 v25, v22, v62, v25 op_sel:[0,1,0]
	s_delay_alu instid0(VALU_DEP_4) | instskip(NEXT) | instid1(VALU_DEP_4)
	;; [unrolled: 13-line block ×5, first 2 shown]
	v_pk_fma_f16 v69, v22, v63, v60 op_sel_hi:[1,0,1]
	v_pk_fma_f16 v70, v22, v63, v21 op_sel:[0,1,0]
	ds_load_2addr_b32 v[21:22], v68 offset0:224 offset1:244
	ds_load_b128 v[60:63], v24 offset:192
	s_waitcnt lgkmcnt(4)
	v_pk_fma_f16 v27, v64, v52, v27 op_sel_hi:[1,0,1]
	v_pk_fma_f16 v25, v64, v52, v25 op_sel:[0,1,0]
	v_pk_fma_f16 v52, v64, v53, v69 op_sel_hi:[1,0,1]
	v_pk_fma_f16 v53, v64, v53, v70 op_sel:[0,1,0]
	v_add_nc_u32_e32 v68, 0x800, v26
	v_pk_fma_f16 v27, v65, v54, v27 op_sel_hi:[1,0,1]
	v_pk_fma_f16 v25, v65, v54, v25 op_sel:[0,1,0]
	v_pk_fma_f16 v69, v65, v55, v52 op_sel_hi:[1,0,1]
	v_pk_fma_f16 v70, v65, v55, v53 op_sel:[0,1,0]
	ds_load_2addr_b32 v[64:65], v68 offset0:8 offset1:28
	ds_load_b128 v[52:55], v24 offset:208
	s_waitcnt lgkmcnt(4)
	v_pk_fma_f16 v27, v66, v56, v27 op_sel_hi:[1,0,1]
	v_pk_fma_f16 v25, v66, v56, v25 op_sel:[0,1,0]
	v_pk_fma_f16 v56, v66, v57, v69 op_sel_hi:[1,0,1]
	v_pk_fma_f16 v57, v66, v57, v70 op_sel:[0,1,0]
	s_delay_alu instid0(VALU_DEP_4) | instskip(NEXT) | instid1(VALU_DEP_4)
	v_pk_fma_f16 v27, v67, v58, v27 op_sel_hi:[1,0,1]
	v_pk_fma_f16 v25, v67, v58, v25 op_sel:[0,1,0]
	s_delay_alu instid0(VALU_DEP_4) | instskip(NEXT) | instid1(VALU_DEP_4)
	v_pk_fma_f16 v56, v67, v59, v56 op_sel_hi:[1,0,1]
	v_pk_fma_f16 v57, v67, v59, v57 op_sel:[0,1,0]
	s_waitcnt lgkmcnt(2)
	v_pk_fma_f16 v27, v21, v60, v27 op_sel_hi:[1,0,1]
	v_pk_fma_f16 v25, v21, v60, v25 op_sel:[0,1,0]
	v_pk_fma_f16 v60, v21, v61, v56 op_sel_hi:[1,0,1]
	v_pk_fma_f16 v21, v21, v61, v57 op_sel:[0,1,0]
	ds_load_2addr_b32 v[66:67], v68 offset0:48 offset1:68
	ds_load_b128 v[56:59], v24 offset:224
	v_pk_fma_f16 v27, v22, v62, v27 op_sel_hi:[1,0,1]
	v_pk_fma_f16 v25, v22, v62, v25 op_sel:[0,1,0]
	v_pk_fma_f16 v60, v22, v63, v60 op_sel_hi:[1,0,1]
	v_pk_fma_f16 v21, v22, v63, v21 op_sel:[0,1,0]
	s_waitcnt lgkmcnt(2)
	v_pk_fma_f16 v22, v64, v52, v27 op_sel_hi:[1,0,1]
	v_pk_fma_f16 v25, v64, v52, v25 op_sel:[0,1,0]
	v_pk_fma_f16 v27, v64, v53, v60 op_sel_hi:[1,0,1]
	ds_load_2addr_b32 v[51:52], v68 offset0:88 offset1:108
	ds_load_b128 v[60:63], v24 offset:240
	v_pk_fma_f16 v21, v64, v53, v21 op_sel:[0,1,0]
	s_waitcnt lgkmcnt(0)
	s_barrier
	buffer_gl0_inv
	s_load_b32 s7, s[16:17], 0x4
	v_pk_fma_f16 v22, v65, v54, v22 op_sel_hi:[1,0,1]
	v_pk_fma_f16 v25, v65, v54, v25 op_sel:[0,1,0]
	v_pk_fma_f16 v27, v65, v55, v27 op_sel_hi:[1,0,1]
	v_pk_fma_f16 v21, v65, v55, v21 op_sel:[0,1,0]
	s_delay_alu instid0(VALU_DEP_4) | instskip(NEXT) | instid1(VALU_DEP_4)
	v_pk_fma_f16 v22, v66, v56, v22 op_sel_hi:[1,0,1]
	v_pk_fma_f16 v25, v66, v56, v25 op_sel:[0,1,0]
	s_delay_alu instid0(VALU_DEP_4) | instskip(NEXT) | instid1(VALU_DEP_4)
	;; [unrolled: 3-line block ×6, first 2 shown]
	v_pk_fma_f16 v49, v51, v61, v27 op_sel_hi:[1,0,1]
	v_pk_fma_f16 v21, v51, v61, v21 op_sel:[0,1,0]
	s_waitcnt lgkmcnt(0)
	s_lshl_b32 s7, s7, 5
	v_pk_fma_f16 v27, v52, v62, v22 op_sel_hi:[1,0,1]
	v_pk_fma_f16 v25, v52, v62, v25 op_sel:[0,1,0]
	v_pk_fma_f16 v22, v52, v63, v49 op_sel_hi:[1,0,1]
	v_pk_fma_f16 v21, v52, v63, v21 op_sel:[0,1,0]
	s_add_i32 s20, s7, s20
	s_delay_alu instid0(SALU_CYCLE_1)
	s_cmp_lt_i32 s20, s21
	s_cbranch_scc0 .LBB56_35
; %bb.33:                               ;   in Loop: Header=BB56_16 Depth=1
	v_dual_mov_b32 v53, v1 :: v_dual_mov_b32 v54, v2
	v_dual_mov_b32 v55, v3 :: v_dual_mov_b32 v52, v4
	;; [unrolled: 1-line block ×4, first 2 shown]
	s_branch .LBB56_16
.LBB56_34:
	v_dual_mov_b32 v32, 0 :: v_dual_mov_b32 v33, 0
	v_dual_mov_b32 v34, 0 :: v_dual_mov_b32 v25, 0
	;; [unrolled: 1-line block ×3, first 2 shown]
.LBB56_35:
	v_lshlrev_b32_e32 v13, 1, v18
	s_cmp_gt_i32 s40, s20
	s_cbranch_scc1 .LBB56_37
; %bb.36:
	v_mbcnt_lo_u32_b32 v5, -1, 0
	v_mov_b32_e32 v11, 32
	s_delay_alu instid0(VALU_DEP_2)
	v_xor_b32_e32 v41, 16, v5
	v_xor_b32_e32 v40, 8, v5
	;; [unrolled: 1-line block ×5, first 2 shown]
	s_cbranch_execz .LBB56_38
	s_branch .LBB56_67
.LBB56_37:
                                        ; implicit-def: $vgpr5
                                        ; implicit-def: $vgpr11
                                        ; implicit-def: $vgpr41
                                        ; implicit-def: $vgpr40
                                        ; implicit-def: $vgpr39
                                        ; implicit-def: $vgpr38
                                        ; implicit-def: $vgpr12
.LBB56_38:
	s_mul_hi_i32 s7, s20, s42
	s_mul_i32 s6, s20, s42
	s_sub_i32 s10, s40, s20
	s_lshl_b64 s[12:13], s[6:7], 2
	v_cmp_gt_u32_e64 s7, 32, v30
	v_cmp_gt_i32_e64 s5, s10, v30
	s_add_u32 s9, s43, s12
	s_addc_u32 s11, s44, s13
	s_delay_alu instid0(VALU_DEP_2)
	s_and_saveexec_b32 s6, s7
	s_cbranch_execz .LBB56_40
; %bb.39:
	v_mul_lo_u32 v5, s42, v30
	s_mov_b64 s[12:13], src_private_base
	s_delay_alu instid0(VALU_DEP_1) | instskip(NEXT) | instid1(VALU_DEP_1)
	v_ashrrev_i32_e32 v6, 31, v5
	v_lshlrev_b64 v[5:6], 2, v[5:6]
	s_delay_alu instid0(VALU_DEP_1) | instskip(NEXT) | instid1(VALU_DEP_2)
	v_add_co_u32 v7, vcc_lo, s9, v5
	v_add_co_ci_u32_e32 v6, vcc_lo, s11, v6, vcc_lo
	v_mov_b32_e32 v5, 0
	s_delay_alu instid0(VALU_DEP_3) | instskip(NEXT) | instid1(VALU_DEP_3)
	v_add_co_u32 v8, vcc_lo, v7, 64
	v_add_co_ci_u32_e32 v9, vcc_lo, 0, v6, vcc_lo
	s_delay_alu instid0(VALU_DEP_3) | instskip(SKIP_1) | instid1(VALU_DEP_4)
	v_mov_b32_e32 v6, v5
	v_mov_b32_e32 v7, v5
	v_cndmask_b32_e64 v8, 0, v8, s5
	s_delay_alu instid0(VALU_DEP_4)
	v_cndmask_b32_e64 v9, s13, v9, s5
	s_clause 0x1
	scratch_store_b32 off, v5, off
	scratch_store_b96 off, v[5:7], off offset:4
	flat_load_b128 v[5:8], v[8:9]
	v_mul_u32_u24_e32 v9, 0x60, v30
	s_waitcnt vmcnt(0) lgkmcnt(0)
	ds_store_b128 v9, v[5:8] offset:64
.LBB56_40:
	s_or_b32 exec_lo, exec_lo, s6
	v_lshl_add_u32 v37, v28, 3, v37
	v_and_b32_e32 v5, 12, v26
	v_mov_b32_e32 v9, 0
	s_delay_alu instid0(VALU_DEP_3) | instskip(NEXT) | instid1(VALU_DEP_3)
	v_cmp_gt_u32_e64 s8, 32, v37
	v_lshlrev_b32_e32 v42, 2, v5
	v_cmp_gt_i32_e64 s6, s10, v37
	s_delay_alu instid0(VALU_DEP_3)
	s_and_saveexec_b32 s12, s8
	s_cbranch_execz .LBB56_42
; %bb.41:
	v_mul_lo_u32 v5, s42, v37
	s_mov_b64 s[16:17], src_private_base
	v_mov_b32_e32 v7, v9
	v_mov_b32_e32 v8, v9
	v_mad_u32_u24 v10, 0x60, v37, v42
	s_clause 0x1
	scratch_store_b32 off, v9, off
	scratch_store_b96 off, v[7:9], off offset:4
	v_ashrrev_i32_e32 v6, 31, v5
	s_delay_alu instid0(VALU_DEP_1) | instskip(NEXT) | instid1(VALU_DEP_1)
	v_lshlrev_b64 v[5:6], 2, v[5:6]
	v_add_co_u32 v5, vcc_lo, s9, v5
	s_delay_alu instid0(VALU_DEP_2) | instskip(NEXT) | instid1(VALU_DEP_2)
	v_add_co_ci_u32_e32 v6, vcc_lo, s11, v6, vcc_lo
	v_add_co_u32 v5, vcc_lo, v5, v42
	s_delay_alu instid0(VALU_DEP_2) | instskip(NEXT) | instid1(VALU_DEP_2)
	v_add_co_ci_u32_e32 v6, vcc_lo, 0, v6, vcc_lo
	v_cndmask_b32_e64 v5, 0, v5, s6
	s_delay_alu instid0(VALU_DEP_2)
	v_cndmask_b32_e64 v6, s17, v6, s6
	flat_load_b128 v[5:8], v[5:6]
	s_waitcnt vmcnt(0) lgkmcnt(0)
	ds_store_b128 v10, v[5:8]
.LBB56_42:
	s_or_b32 exec_lo, exec_lo, s12
	s_waitcnt lgkmcnt(0)
	s_waitcnt_vscnt null, 0x0
	s_barrier
	buffer_gl0_inv
	ds_load_b128 v[5:8], v36
	ds_load_b128 v[38:41], v35 offset:3168
	ds_load_b128 v[46:49], v35 offset:3248
	;; [unrolled: 1-line block ×4, first 2 shown]
	v_dual_mov_b32 v45, 0 :: v_dual_mov_b32 v44, 0
	v_dual_mov_b32 v43, 0 :: v_dual_add_nc_u32 v10, s20, v18
	s_cmp_lg_u64 s[34:35], 0
	v_cmp_gt_i32_e64 s9, s10, v18
	s_cselect_b32 s12, -1, 0
	s_waitcnt lgkmcnt(3)
	;;#ASMSTART
	v_dot2_f32_f16 v45, v5, v38, v45
	;;#ASMEND
	;;#ASMSTART
	v_dot2_f32_f16 v45, v6, v39, v45
	;;#ASMEND
	;;#ASMSTART
	v_dot2_f32_f16 v45, v7, v40, v45
	;;#ASMEND
	;;#ASMSTART
	v_dot2_f32_f16 v45, v8, v41, v45
	;;#ASMEND
	s_waitcnt lgkmcnt(2)
	;;#ASMSTART
	v_dot2_f32_f16 v44, v5, v46, v44
	;;#ASMEND
	;;#ASMSTART
	v_dot2_f32_f16 v44, v6, v47, v44
	;;#ASMEND
	;;#ASMSTART
	v_dot2_f32_f16 v44, v7, v48, v44
	;;#ASMEND
	;;#ASMSTART
	v_dot2_f32_f16 v44, v8, v49, v44
	;;#ASMEND
	s_waitcnt lgkmcnt(1)
	;;#ASMSTART
	v_dot2_f32_f16 v43, v5, v50, v43
	;;#ASMEND
	;;#ASMSTART
	v_dot2_f32_f16 v43, v6, v51, v43
	;;#ASMEND
	;;#ASMSTART
	v_dot2_f32_f16 v43, v7, v52, v43
	;;#ASMEND
	;;#ASMSTART
	v_dot2_f32_f16 v43, v8, v53, v43
	;;#ASMEND
	s_waitcnt lgkmcnt(0)
	;;#ASMSTART
	v_dot2_f32_f16 v9, v5, v54, v9
	;;#ASMEND
	;;#ASMSTART
	v_dot2_f32_f16 v9, v6, v55, v9
	;;#ASMEND
	;;#ASMSTART
	v_dot2_f32_f16 v9, v7, v56, v9
	;;#ASMEND
	;;#ASMSTART
	v_dot2_f32_f16 v9, v8, v57, v9
	;;#ASMEND
	ds_load_b128 v[5:8], v36 offset:16
	ds_load_b128 v[38:41], v35 offset:3184
	ds_load_b128 v[46:49], v35 offset:3264
	ds_load_b128 v[50:53], v35 offset:3344
	ds_load_b128 v[54:57], v35 offset:3424
	s_waitcnt lgkmcnt(3)
	;;#ASMSTART
	v_dot2_f32_f16 v45, v5, v38, v45
	;;#ASMEND
	;;#ASMSTART
	v_dot2_f32_f16 v45, v6, v39, v45
	;;#ASMEND
	;;#ASMSTART
	v_dot2_f32_f16 v45, v7, v40, v45
	;;#ASMEND
	;;#ASMSTART
	v_dot2_f32_f16 v45, v8, v41, v45
	;;#ASMEND
	s_waitcnt lgkmcnt(2)
	;;#ASMSTART
	v_dot2_f32_f16 v44, v5, v46, v44
	;;#ASMEND
	;;#ASMSTART
	v_dot2_f32_f16 v44, v6, v47, v44
	;;#ASMEND
	;;#ASMSTART
	v_dot2_f32_f16 v44, v7, v48, v44
	;;#ASMEND
	;;#ASMSTART
	v_dot2_f32_f16 v44, v8, v49, v44
	;;#ASMEND
	s_waitcnt lgkmcnt(1)
	;;#ASMSTART
	v_dot2_f32_f16 v43, v5, v50, v43
	;;#ASMEND
	;;#ASMSTART
	v_dot2_f32_f16 v43, v6, v51, v43
	;;#ASMEND
	;;#ASMSTART
	v_dot2_f32_f16 v43, v7, v52, v43
	;;#ASMEND
	;;#ASMSTART
	v_dot2_f32_f16 v43, v8, v53, v43
	;;#ASMEND
	s_waitcnt lgkmcnt(0)
	;;#ASMSTART
	v_dot2_f32_f16 v9, v5, v54, v9
	;;#ASMEND
	;;#ASMSTART
	v_dot2_f32_f16 v9, v6, v55, v9
	;;#ASMEND
	;;#ASMSTART
	v_dot2_f32_f16 v9, v7, v56, v9
	;;#ASMEND
	;;#ASMSTART
	v_dot2_f32_f16 v9, v8, v57, v9
	;;#ASMEND
	ds_load_b128 v[5:8], v36 offset:32
	ds_load_b128 v[38:41], v35 offset:3200
	ds_load_b128 v[46:49], v35 offset:3280
	ds_load_b128 v[50:53], v35 offset:3360
	ds_load_b128 v[54:57], v35 offset:3440
	;; [unrolled: 57-line block ×4, first 2 shown]
	s_waitcnt lgkmcnt(3)
	;;#ASMSTART
	v_dot2_f32_f16 v45, v38, v46, v45
	;;#ASMEND
	;;#ASMSTART
	v_dot2_f32_f16 v45, v39, v47, v45
	;;#ASMEND
	;;#ASMSTART
	v_dot2_f32_f16 v45, v40, v48, v45
	;;#ASMEND
	;;#ASMSTART
	v_dot2_f32_f16 v45, v41, v49, v45
	;;#ASMEND
	s_waitcnt lgkmcnt(2)
	;;#ASMSTART
	v_dot2_f32_f16 v44, v38, v50, v44
	;;#ASMEND
	;;#ASMSTART
	v_dot2_f32_f16 v44, v39, v51, v44
	;;#ASMEND
	;; [unrolled: 3-line block ×3, first 2 shown]
	v_dual_mov_b32 v8, v4 :: v_dual_mov_b32 v7, v3
	;;#ASMSTART
	v_dot2_f32_f16 v44, v41, v53, v44
	;;#ASMEND
	s_waitcnt lgkmcnt(1)
	;;#ASMSTART
	v_dot2_f32_f16 v43, v38, v54, v43
	;;#ASMEND
	v_dual_mov_b32 v6, v2 :: v_dual_mov_b32 v5, v1
	v_cndmask_b32_e64 v35, 0, 1, s12
	;;#ASMSTART
	v_dot2_f32_f16 v43, v39, v55, v43
	;;#ASMEND
	;;#ASMSTART
	v_dot2_f32_f16 v43, v40, v56, v43
	;;#ASMEND
	;; [unrolled: 3-line block ×3, first 2 shown]
	s_waitcnt lgkmcnt(0)
	;;#ASMSTART
	v_dot2_f32_f16 v9, v38, v58, v9
	;;#ASMEND
	;;#ASMSTART
	v_dot2_f32_f16 v9, v39, v59, v9
	;;#ASMEND
	;; [unrolled: 3-line block ×4, first 2 shown]
	s_and_saveexec_b32 s11, s9
	s_cbranch_execz .LBB56_47
; %bb.43:
	s_and_not1_b32 vcc_lo, exec_lo, s12
	s_cbranch_vccnz .LBB56_45
; %bb.44:
	v_mul_hi_u32 v5, s36, v15
	s_delay_alu instid0(VALU_DEP_1) | instskip(NEXT) | instid1(VALU_DEP_1)
	v_add_nc_u32_e32 v5, v15, v5
	v_lshrrev_b32_e32 v5, s37, v5
	s_delay_alu instid0(VALU_DEP_1) | instskip(NEXT) | instid1(VALU_DEP_1)
	v_mul_lo_u32 v5, v5, s38
	v_sub_nc_u32_e32 v7, v15, v5
	s_delay_alu instid0(VALU_DEP_1) | instskip(NEXT) | instid1(VALU_DEP_1)
	v_mad_u64_u32 v[5:6], null, v7, s27, v[10:11]
	v_ashrrev_i32_e32 v6, 31, v5
	s_delay_alu instid0(VALU_DEP_1) | instskip(NEXT) | instid1(VALU_DEP_1)
	v_lshlrev_b64 v[5:6], 1, v[5:6]
	v_add_co_u32 v5, vcc_lo, s34, v5
	s_delay_alu instid0(VALU_DEP_2) | instskip(SKIP_3) | instid1(VALU_DEP_1)
	v_add_co_ci_u32_e32 v6, vcc_lo, s35, v6, vcc_lo
	flat_load_u16 v5, v[5:6]
	s_waitcnt vmcnt(0) lgkmcnt(0)
	v_cvt_f32_f16_e32 v5, v5
	v_mul_f32_e32 v5, v29, v5
	s_branch .LBB56_46
.LBB56_45:
	v_mov_b32_e32 v5, 0
.LBB56_46:
	s_delay_alu instid0(VALU_DEP_1) | instskip(SKIP_1) | instid1(VALU_DEP_2)
	v_dual_add_f32 v45, v45, v5 :: v_dual_mov_b32 v8, v4
	v_dual_max_f32 v11, v1, v1 :: v_dual_mov_b32 v6, v2
	v_dual_mov_b32 v5, v1 :: v_dual_add_f32 v12, 0x40051340, v45
	v_mov_b32_e32 v7, v3
	s_delay_alu instid0(VALU_DEP_2)
	v_max_f32_e32 v5, v11, v12
                                        ; kill: def $vgpr11 killed $vgpr5 killed $exec
.LBB56_47:
	s_or_b32 exec_lo, exec_lo, s11
	v_xor_b32_e32 v41, 16, v23
	v_xor_b32_e32 v40, 8, v23
	;; [unrolled: 1-line block ×4, first 2 shown]
	s_delay_alu instid0(VALU_DEP_4) | instskip(SKIP_4) | instid1(VALU_DEP_2)
	v_cmp_gt_i32_e32 vcc_lo, 32, v41
	v_cndmask_b32_e32 v11, v23, v41, vcc_lo
	v_cmp_gt_i32_e32 vcc_lo, 32, v40
	v_cndmask_b32_e32 v12, v23, v40, vcc_lo
	v_cmp_gt_i32_e32 vcc_lo, 32, v39
	v_lshlrev_b32_e32 v46, 2, v12
	v_lshlrev_b32_e32 v36, 2, v11
	v_cndmask_b32_e32 v12, v23, v39, vcc_lo
	v_cmp_gt_i32_e32 vcc_lo, 32, v38
	ds_bpermute_b32 v11, v36, v5
	v_max_f32_e32 v5, v5, v5
	v_dual_cndmask_b32 v12, v23, v38 :: v_dual_lshlrev_b32 v47, 2, v12
	s_delay_alu instid0(VALU_DEP_1) | instskip(SKIP_1) | instid1(VALU_DEP_1)
	v_lshlrev_b32_e32 v48, 2, v12
	v_xor_b32_e32 v12, 1, v23
	v_cmp_gt_i32_e32 vcc_lo, 32, v12
	v_cndmask_b32_e32 v49, v23, v12, vcc_lo
	s_waitcnt lgkmcnt(0)
	v_max_f32_e32 v11, v11, v11
	s_delay_alu instid0(VALU_DEP_2) | instskip(NEXT) | instid1(VALU_DEP_2)
	v_lshlrev_b32_e32 v49, 2, v49
	v_max_f32_e32 v5, v5, v11
	ds_bpermute_b32 v11, v46, v5
	s_waitcnt lgkmcnt(0)
	v_max_f32_e32 v11, v11, v11
	s_delay_alu instid0(VALU_DEP_1) | instskip(SKIP_3) | instid1(VALU_DEP_1)
	v_max_f32_e32 v5, v5, v11
	ds_bpermute_b32 v11, v47, v5
	s_waitcnt lgkmcnt(0)
	v_max_f32_e32 v11, v11, v11
	v_max_f32_e32 v5, v5, v11
	ds_bpermute_b32 v11, v48, v5
	s_waitcnt lgkmcnt(0)
	v_max_f32_e32 v11, v11, v11
	s_delay_alu instid0(VALU_DEP_1) | instskip(SKIP_3) | instid1(VALU_DEP_1)
	v_max_f32_e32 v5, v5, v11
	ds_bpermute_b32 v11, v49, v5
	s_waitcnt lgkmcnt(0)
	v_dual_max_f32 v50, v11, v11 :: v_dual_mov_b32 v11, 32
	v_max_f32_e32 v5, v5, v50
	s_and_saveexec_b32 s11, s9
	s_cbranch_execz .LBB56_52
; %bb.48:
	v_cmp_ne_u32_e32 vcc_lo, 1, v35
	s_cbranch_vccnz .LBB56_50
; %bb.49:
	v_or_b32_e32 v50, 1, v15
	s_delay_alu instid0(VALU_DEP_1) | instskip(NEXT) | instid1(VALU_DEP_1)
	v_mul_hi_u32 v51, s36, v50
	v_add_nc_u32_e32 v51, v50, v51
	s_delay_alu instid0(VALU_DEP_1) | instskip(NEXT) | instid1(VALU_DEP_1)
	v_lshrrev_b32_e32 v51, s37, v51
	v_mul_lo_u32 v51, v51, s38
	s_delay_alu instid0(VALU_DEP_1) | instskip(NEXT) | instid1(VALU_DEP_1)
	v_sub_nc_u32_e32 v52, v50, v51
	v_mad_u64_u32 v[50:51], null, v52, s27, v[10:11]
	s_delay_alu instid0(VALU_DEP_1) | instskip(NEXT) | instid1(VALU_DEP_1)
	v_ashrrev_i32_e32 v51, 31, v50
	v_lshlrev_b64 v[50:51], 1, v[50:51]
	s_delay_alu instid0(VALU_DEP_1) | instskip(NEXT) | instid1(VALU_DEP_2)
	v_add_co_u32 v50, vcc_lo, s34, v50
	v_add_co_ci_u32_e32 v51, vcc_lo, s35, v51, vcc_lo
	flat_load_u16 v50, v[50:51]
	s_waitcnt vmcnt(0) lgkmcnt(0)
	v_cvt_f32_f16_e32 v50, v50
	s_delay_alu instid0(VALU_DEP_1)
	v_mul_f32_e32 v50, v29, v50
	s_branch .LBB56_51
.LBB56_50:
	v_mov_b32_e32 v50, 0
.LBB56_51:
	s_delay_alu instid0(VALU_DEP_1) | instskip(SKIP_1) | instid1(VALU_DEP_2)
	v_add_f32_e32 v44, v44, v50
	v_max_f32_e32 v6, v6, v6
	v_add_f32_e32 v50, 0x40051340, v44
	s_delay_alu instid0(VALU_DEP_1)
	v_max_f32_e32 v6, v6, v50
.LBB56_52:
	s_or_b32 exec_lo, exec_lo, s11
	ds_bpermute_b32 v50, v36, v6
	v_max_f32_e32 v6, v6, v6
	s_waitcnt lgkmcnt(0)
	v_max_f32_e32 v50, v50, v50
	s_delay_alu instid0(VALU_DEP_1) | instskip(SKIP_3) | instid1(VALU_DEP_1)
	v_max_f32_e32 v6, v6, v50
	ds_bpermute_b32 v50, v46, v6
	s_waitcnt lgkmcnt(0)
	v_max_f32_e32 v50, v50, v50
	v_max_f32_e32 v6, v6, v50
	ds_bpermute_b32 v50, v47, v6
	s_waitcnt lgkmcnt(0)
	v_max_f32_e32 v50, v50, v50
	s_delay_alu instid0(VALU_DEP_1) | instskip(SKIP_3) | instid1(VALU_DEP_1)
	v_max_f32_e32 v6, v6, v50
	ds_bpermute_b32 v50, v48, v6
	s_waitcnt lgkmcnt(0)
	v_max_f32_e32 v50, v50, v50
	v_max_f32_e32 v6, v6, v50
	ds_bpermute_b32 v50, v49, v6
	s_waitcnt lgkmcnt(0)
	v_max_f32_e32 v50, v50, v50
	s_delay_alu instid0(VALU_DEP_1)
	v_max_f32_e32 v6, v6, v50
	s_and_saveexec_b32 s11, s9
	s_cbranch_execz .LBB56_57
; %bb.53:
	v_cmp_ne_u32_e32 vcc_lo, 1, v35
	s_cbranch_vccnz .LBB56_55
; %bb.54:
	v_or_b32_e32 v50, 2, v15
	s_delay_alu instid0(VALU_DEP_1) | instskip(NEXT) | instid1(VALU_DEP_1)
	v_mul_hi_u32 v51, s36, v50
	v_add_nc_u32_e32 v51, v50, v51
	s_delay_alu instid0(VALU_DEP_1) | instskip(NEXT) | instid1(VALU_DEP_1)
	v_lshrrev_b32_e32 v51, s37, v51
	v_mul_lo_u32 v51, v51, s38
	s_delay_alu instid0(VALU_DEP_1) | instskip(NEXT) | instid1(VALU_DEP_1)
	v_sub_nc_u32_e32 v52, v50, v51
	v_mad_u64_u32 v[50:51], null, v52, s27, v[10:11]
	s_delay_alu instid0(VALU_DEP_1) | instskip(NEXT) | instid1(VALU_DEP_1)
	v_ashrrev_i32_e32 v51, 31, v50
	v_lshlrev_b64 v[50:51], 1, v[50:51]
	s_delay_alu instid0(VALU_DEP_1) | instskip(NEXT) | instid1(VALU_DEP_2)
	v_add_co_u32 v50, vcc_lo, s34, v50
	v_add_co_ci_u32_e32 v51, vcc_lo, s35, v51, vcc_lo
	flat_load_u16 v50, v[50:51]
	s_waitcnt vmcnt(0) lgkmcnt(0)
	v_cvt_f32_f16_e32 v50, v50
	s_delay_alu instid0(VALU_DEP_1)
	v_mul_f32_e32 v50, v29, v50
	s_branch .LBB56_56
.LBB56_55:
	v_mov_b32_e32 v50, 0
.LBB56_56:
	s_delay_alu instid0(VALU_DEP_1) | instskip(SKIP_1) | instid1(VALU_DEP_2)
	v_add_f32_e32 v43, v43, v50
	v_max_f32_e32 v7, v7, v7
	v_add_f32_e32 v50, 0x40051340, v43
	s_delay_alu instid0(VALU_DEP_1)
	v_max_f32_e32 v7, v7, v50
.LBB56_57:
	s_or_b32 exec_lo, exec_lo, s11
	ds_bpermute_b32 v50, v36, v7
	s_waitcnt lgkmcnt(0)
	v_dual_max_f32 v7, v7, v7 :: v_dual_max_f32 v50, v50, v50
	s_delay_alu instid0(VALU_DEP_1) | instskip(SKIP_3) | instid1(VALU_DEP_1)
	v_max_f32_e32 v7, v7, v50
	ds_bpermute_b32 v50, v46, v7
	s_waitcnt lgkmcnt(0)
	v_max_f32_e32 v50, v50, v50
	v_max_f32_e32 v7, v7, v50
	ds_bpermute_b32 v50, v47, v7
	s_waitcnt lgkmcnt(0)
	v_max_f32_e32 v50, v50, v50
	s_delay_alu instid0(VALU_DEP_1) | instskip(SKIP_3) | instid1(VALU_DEP_1)
	v_max_f32_e32 v7, v7, v50
	ds_bpermute_b32 v50, v48, v7
	s_waitcnt lgkmcnt(0)
	v_max_f32_e32 v50, v50, v50
	v_max_f32_e32 v7, v7, v50
	ds_bpermute_b32 v50, v49, v7
	s_waitcnt lgkmcnt(0)
	v_max_f32_e32 v50, v50, v50
	s_delay_alu instid0(VALU_DEP_1)
	v_max_f32_e32 v7, v7, v50
	s_and_saveexec_b32 s11, s9
	s_cbranch_execz .LBB56_62
; %bb.58:
	v_cmp_ne_u32_e32 vcc_lo, 1, v35
	s_cbranch_vccnz .LBB56_60
; %bb.59:
	v_or_b32_e32 v35, 3, v15
	s_delay_alu instid0(VALU_DEP_1) | instskip(NEXT) | instid1(VALU_DEP_1)
	v_mul_hi_u32 v50, s36, v35
	v_add_nc_u32_e32 v50, v35, v50
	s_delay_alu instid0(VALU_DEP_1) | instskip(NEXT) | instid1(VALU_DEP_1)
	v_lshrrev_b32_e32 v50, s37, v50
	v_mul_lo_u32 v50, v50, s38
	s_delay_alu instid0(VALU_DEP_1) | instskip(NEXT) | instid1(VALU_DEP_1)
	v_sub_nc_u32_e32 v35, v35, v50
	v_mad_u64_u32 v[50:51], null, v35, s27, v[10:11]
	s_delay_alu instid0(VALU_DEP_1) | instskip(NEXT) | instid1(VALU_DEP_1)
	v_ashrrev_i32_e32 v51, 31, v50
	v_lshlrev_b64 v[50:51], 1, v[50:51]
	s_delay_alu instid0(VALU_DEP_1) | instskip(NEXT) | instid1(VALU_DEP_2)
	v_add_co_u32 v50, vcc_lo, s34, v50
	v_add_co_ci_u32_e32 v51, vcc_lo, s35, v51, vcc_lo
	flat_load_u16 v10, v[50:51]
	s_waitcnt vmcnt(0) lgkmcnt(0)
	v_cvt_f32_f16_e32 v10, v10
	s_delay_alu instid0(VALU_DEP_1)
	v_mul_f32_e32 v10, v29, v10
	s_branch .LBB56_61
.LBB56_60:
	v_mov_b32_e32 v10, 0
.LBB56_61:
	s_delay_alu instid0(VALU_DEP_1) | instskip(NEXT) | instid1(VALU_DEP_1)
	v_dual_add_f32 v9, v9, v10 :: v_dual_max_f32 v8, v8, v8
	v_add_f32_e32 v10, 0x40051340, v9
	s_delay_alu instid0(VALU_DEP_1)
	v_max_f32_e32 v8, v8, v10
.LBB56_62:
	s_or_b32 exec_lo, exec_lo, s11
	ds_bpermute_b32 v10, v36, v8
	v_bfe_u32 v35, v0, 20, 10
	v_dual_sub_f32 v0, v45, v5 :: v_dual_sub_f32 v29, v44, v6
	v_max_f32_e32 v8, v8, v8
	v_sub_f32_e32 v36, v43, v7
	s_load_b64 s[0:1], s[0:1], 0x4
	s_delay_alu instid0(VALU_DEP_3)
	v_cmp_ngt_f32_e32 vcc_lo, 0xc2ce8ed0, v0
	v_mul_f32_e32 v45, 0x3fb8aa3b, v29
	v_lshl_add_u32 v44, v18, 3, v24
	s_waitcnt lgkmcnt(0)
	s_barrier
	buffer_gl0_inv
	v_dual_mul_f32 v43, 0x3fb8aa3b, v0 :: v_dual_max_f32 v10, v10, v10
	s_delay_alu instid0(VALU_DEP_1)
	v_max_f32_e32 v8, v8, v10
	s_lshr_b32 s0, s0, 16
	v_mul_u32_u24_e32 v28, s1, v28
	s_mul_i32 s9, s0, s1
	s_mul_hi_i32 s1, s20, s26
	ds_bpermute_b32 v10, v46, v8
	s_waitcnt lgkmcnt(0)
	v_max_f32_e32 v10, v10, v10
	s_delay_alu instid0(VALU_DEP_1) | instskip(SKIP_3) | instid1(VALU_DEP_1)
	v_max_f32_e32 v8, v8, v10
	ds_bpermute_b32 v10, v47, v8
	v_fma_f32 v47, 0x3fb8aa3b, v0, -v43
	s_waitcnt lgkmcnt(0)
	v_dual_fmac_f32 v47, 0x32a5705f, v0 :: v_dual_max_f32 v10, v10, v10
	s_delay_alu instid0(VALU_DEP_1) | instskip(SKIP_2) | instid1(VALU_DEP_1)
	v_max_f32_e32 v8, v8, v10
	ds_bpermute_b32 v10, v48, v8
	v_fma_f32 v48, 0x3fb8aa3b, v29, -v45
	v_fmac_f32_e32 v48, 0x32a5705f, v29
	s_waitcnt lgkmcnt(0)
	v_max_f32_e32 v10, v10, v10
	s_delay_alu instid0(VALU_DEP_1) | instskip(SKIP_2) | instid1(VALU_DEP_1)
	v_max_f32_e32 v8, v8, v10
	ds_bpermute_b32 v10, v49, v8
	v_rndne_f32_e32 v49, v45
	v_sub_f32_e32 v45, v45, v49
	v_cvt_i32_f32_e32 v49, v49
	s_delay_alu instid0(VALU_DEP_2) | instskip(NEXT) | instid1(VALU_DEP_1)
	v_add_f32_e32 v45, v45, v48
	v_exp_f32_e32 v45, v45
	s_waitcnt lgkmcnt(0)
	v_max_f32_e32 v10, v10, v10
	s_delay_alu instid0(VALU_DEP_1)
	v_max_f32_e32 v8, v8, v10
	v_rndne_f32_e32 v10, v43
	v_mul_f32_e32 v46, 0x3fb8aa3b, v36
	s_waitcnt_depctr 0xfff
	v_ldexp_f32 v45, v45, v49
	v_sub_f32_e32 v9, v9, v8
	v_sub_f32_e32 v43, v43, v10
	v_fma_f32 v50, 0x3fb8aa3b, v36, -v46
	v_rndne_f32_e32 v51, v46
	v_cvt_i32_f32_e32 v10, v10
	s_delay_alu instid0(VALU_DEP_4) | instskip(NEXT) | instid1(VALU_DEP_4)
	v_dual_mul_f32 v52, 0x3fb8aa3b, v9 :: v_dual_add_f32 v43, v43, v47
	v_fmac_f32_e32 v50, 0x32a5705f, v36
	s_delay_alu instid0(VALU_DEP_4) | instskip(SKIP_1) | instid1(VALU_DEP_4)
	v_sub_f32_e32 v46, v46, v51
	v_cmp_ngt_f32_e64 s0, 0xc2ce8ed0, v9
	v_fma_f32 v47, 0x3fb8aa3b, v9, -v52
	v_rndne_f32_e32 v53, v52
	v_exp_f32_e32 v43, v43
	s_delay_alu instid0(VALU_DEP_2) | instskip(NEXT) | instid1(VALU_DEP_2)
	v_dual_add_f32 v46, v46, v50 :: v_dual_fmac_f32 v47, 0x32a5705f, v9
	v_sub_f32_e32 v48, v52, v53
	s_delay_alu instid0(VALU_DEP_2) | instskip(NEXT) | instid1(VALU_DEP_1)
	v_exp_f32_e32 v46, v46
	v_add_f32_e32 v47, v48, v47
	s_waitcnt_depctr 0xfff
	v_ldexp_f32 v10, v43, v10
	v_cvt_i32_f32_e32 v48, v51
	v_exp_f32_e32 v43, v47
	s_delay_alu instid0(VALU_DEP_2) | instskip(SKIP_1) | instid1(VALU_DEP_3)
	v_cndmask_b32_e32 v10, 0, v10, vcc_lo
	v_cmp_ngt_f32_e32 vcc_lo, 0xc2ce8ed0, v29
	v_ldexp_f32 v46, v46, v48
	v_cvt_i32_f32_e32 v47, v53
	v_cndmask_b32_e32 v45, 0, v45, vcc_lo
	v_cmp_ngt_f32_e32 vcc_lo, 0xc2ce8ed0, v36
	s_delay_alu instid0(TRANS32_DEP_1) | instid1(VALU_DEP_3)
	v_ldexp_f32 v43, v43, v47
	v_cndmask_b32_e32 v46, 0, v46, vcc_lo
	v_cmp_nlt_f32_e32 vcc_lo, 0x42b17218, v0
	v_cndmask_b32_e32 v0, 0x7f800000, v10, vcc_lo
	s_delay_alu instid0(VALU_DEP_4) | instskip(SKIP_2) | instid1(VALU_DEP_2)
	v_cndmask_b32_e64 v10, 0, v43, s0
	v_cmp_nlt_f32_e64 s0, 0x42b17218, v29
	v_cmp_gt_u32_e32 vcc_lo, s10, v18
	v_cndmask_b32_e64 v29, 0x7f800000, v45, s0
	v_cmp_nlt_f32_e64 s0, 0x42b17218, v36
	v_mul_lo_u32 v45, s9, v18
	v_cndmask_b32_e32 v0, 0, v0, vcc_lo
	s_delay_alu instid0(VALU_DEP_3) | instskip(SKIP_3) | instid1(VALU_DEP_3)
	v_cndmask_b32_e64 v36, 0x7f800000, v46, s0
	v_cmp_nlt_f32_e64 s0, 0x42b17218, v9
	v_cndmask_b32_e32 v9, 0, v29, vcc_lo
	v_add3_u32 v28, v45, v28, v35
	v_cndmask_b32_e64 v43, 0x7f800000, v10, s0
	v_cndmask_b32_e32 v10, 0, v36, vcc_lo
	v_cvt_f16_f32_e32 v36, v0
	s_mul_i32 s0, s20, s26
	s_delay_alu instid0(VALU_DEP_3) | instskip(SKIP_3) | instid1(VALU_DEP_3)
	v_dual_cndmask_b32 v29, 0, v43 :: v_dual_lshlrev_b32 v28, 4, v28
	v_cvt_f16_f32_e32 v43, v9
	v_cvt_f16_f32_e32 v46, v10
	s_lshl_b64 s[0:1], s[0:1], 2
	v_cvt_f16_f32_e32 v47, v29
	s_delay_alu instid0(VALU_DEP_3) | instskip(SKIP_2) | instid1(VALU_DEP_2)
	v_pack_b32_f16 v35, v36, v43
	s_add_u32 s0, s18, s0
	s_addc_u32 s1, s19, s1
	v_pack_b32_f16 v36, v46, v47
	ds_store_b64 v44, v[35:36]
	s_and_saveexec_b32 s9, s7
	s_cbranch_execz .LBB56_64
; %bb.63:
	v_mul_lo_u32 v35, s26, v30
	v_add_nc_u32_e32 v43, 0x1e60, v28
	s_mov_b64 s[10:11], src_shared_base
	v_dual_mov_b32 v45, 0 :: v_dual_add_nc_u32 v44, 0x1e64, v28
	v_add_nc_u32_e32 v46, 0x1c00, v28
	ds_store_2addr_b32 v44, v45, v45 offset1:1
	ds_store_2addr_b32 v46, v45, v45 offset0:152 offset1:155
	v_ashrrev_i32_e32 v36, 31, v35
	v_mul_u32_u24_e32 v30, 0x50, v30
	s_delay_alu instid0(VALU_DEP_2) | instskip(NEXT) | instid1(VALU_DEP_1)
	v_lshlrev_b64 v[35:36], 2, v[35:36]
	v_add_co_u32 v35, vcc_lo, s0, v35
	s_delay_alu instid0(VALU_DEP_2) | instskip(NEXT) | instid1(VALU_DEP_2)
	v_add_co_ci_u32_e32 v36, vcc_lo, s1, v36, vcc_lo
	v_add_co_u32 v35, vcc_lo, v35, 64
	s_delay_alu instid0(VALU_DEP_2) | instskip(NEXT) | instid1(VALU_DEP_2)
	v_add_co_ci_u32_e32 v36, vcc_lo, 0, v36, vcc_lo
	v_cndmask_b32_e64 v35, v43, v35, s5
	s_delay_alu instid0(VALU_DEP_2)
	v_cndmask_b32_e64 v36, s11, v36, s5
	flat_load_b128 v[43:46], v[35:36]
	s_waitcnt vmcnt(0) lgkmcnt(0)
	ds_store_b128 v30, v[43:46] offset:64
.LBB56_64:
	s_or_b32 exec_lo, exec_lo, s9
	s_and_saveexec_b32 s5, s8
	s_cbranch_execz .LBB56_66
; %bb.65:
	v_mul_lo_u32 v35, s26, v37
	v_dual_mov_b32 v44, 0 :: v_dual_add_nc_u32 v43, 0x2e60, v28
	v_add_nc_u32_e32 v45, 0x2e64, v28
	v_add_nc_u32_e32 v28, 0x2c00, v28
	ds_store_2addr_b32 v45, v44, v44 offset1:1
	ds_store_2addr_b32 v28, v44, v44 offset0:152 offset1:155
	v_ashrrev_i32_e32 v36, 31, v35
	v_mad_u32_u24 v28, 0x50, v37, v42
	s_delay_alu instid0(VALU_DEP_2) | instskip(NEXT) | instid1(VALU_DEP_1)
	v_lshlrev_b64 v[35:36], 2, v[35:36]
	v_add_co_u32 v30, vcc_lo, s0, v35
	s_delay_alu instid0(VALU_DEP_2) | instskip(SKIP_1) | instid1(VALU_DEP_2)
	v_add_co_ci_u32_e32 v35, vcc_lo, s1, v36, vcc_lo
	s_mov_b64 s[0:1], src_shared_base
	v_add_co_u32 v30, vcc_lo, v30, v42
	s_delay_alu instid0(VALU_DEP_2) | instskip(NEXT) | instid1(VALU_DEP_1)
	v_add_co_ci_u32_e32 v35, vcc_lo, 0, v35, vcc_lo
	v_cndmask_b32_e64 v36, s1, v35, s6
	s_delay_alu instid0(VALU_DEP_3)
	v_cndmask_b32_e64 v35, v43, v30, s6
	flat_load_b128 v[43:46], v[35:36]
	s_waitcnt vmcnt(0) lgkmcnt(0)
	ds_store_b128 v28, v[43:46]
.LBB56_66:
	s_or_b32 exec_lo, exec_lo, s5
	v_dual_sub_f32 v1, v1, v5 :: v_dual_sub_f32 v28, v2, v6
	v_dual_sub_f32 v30, v3, v7 :: v_dual_sub_f32 v37, v4, v8
	s_waitcnt lgkmcnt(0)
	s_delay_alu instid0(VALU_DEP_2)
	v_dual_mul_f32 v2, 0x3fb8aa3b, v1 :: v_dual_mul_f32 v3, 0x3fb8aa3b, v28
	v_cmp_ngt_f32_e32 vcc_lo, 0xc2ce8ed0, v1
	s_barrier
	buffer_gl0_inv
	v_fma_f32 v4, 0x3fb8aa3b, v1, -v2
	v_rndne_f32_e32 v35, v2
	v_fma_f32 v43, 0x3fb8aa3b, v28, -v3
	v_rndne_f32_e32 v44, v3
	v_mul_f32_e32 v36, 0x3fb8aa3b, v30
	v_fmac_f32_e32 v4, 0x32a5705f, v1
	v_cvt_i32_f32_e32 v48, v35
	v_fmac_f32_e32 v43, 0x32a5705f, v28
	v_dual_sub_f32 v3, v3, v44 :: v_dual_mul_f32 v42, 0x3fb8aa3b, v37
	v_fma_f32 v45, 0x3fb8aa3b, v30, -v36
	v_sub_f32_e32 v2, v2, v35
	v_rndne_f32_e32 v46, v36
	s_delay_alu instid0(VALU_DEP_4) | instskip(SKIP_1) | instid1(VALU_DEP_4)
	v_add_f32_e32 v3, v3, v43
	v_fma_f32 v47, 0x3fb8aa3b, v37, -v42
	v_dual_fmac_f32 v45, 0x32a5705f, v30 :: v_dual_add_f32 v2, v2, v4
	v_rndne_f32_e32 v4, v42
	s_delay_alu instid0(VALU_DEP_3) | instskip(SKIP_1) | instid1(VALU_DEP_4)
	v_dual_sub_f32 v36, v36, v46 :: v_dual_fmac_f32 v47, 0x32a5705f, v37
	v_cvt_i32_f32_e32 v44, v44
	v_exp_f32_e32 v2, v2
	s_delay_alu instid0(VALU_DEP_2)
	v_dual_sub_f32 v42, v42, v4 :: v_dual_add_f32 v43, v36, v45
	v_exp_f32_e32 v45, v3
	v_cvt_i32_f32_e32 v46, v46
	ds_load_2addr_b32 v[35:36], v26 offset1:20
	v_exp_f32_e32 v43, v43
	v_ldexp_f32 v2, v2, v48
	v_ldexp_f32 v44, v45, v44
	s_delay_alu instid0(VALU_DEP_2)
	v_cndmask_b32_e32 v2, 0, v2, vcc_lo
	v_cmp_nlt_f32_e32 vcc_lo, 0x42b17218, v1
	s_waitcnt_depctr 0xfff
	v_ldexp_f32 v43, v43, v46
	v_cndmask_b32_e32 v56, 0x7f800000, v2, vcc_lo
	v_cmp_ngt_f32_e32 vcc_lo, 0xc2ce8ed0, v28
	v_cndmask_b32_e32 v44, 0, v44, vcc_lo
	v_add_f32_e32 v42, v42, v47
	v_cvt_i32_f32_e32 v47, v4
	v_cmp_ngt_f32_e32 vcc_lo, 0xc2ce8ed0, v37
	ds_load_b128 v[1:4], v24
	v_exp_f32_e32 v42, v42
	s_waitcnt_depctr 0xfff
	v_ldexp_f32 v42, v42, v47
	s_delay_alu instid0(VALU_DEP_1)
	v_cndmask_b32_e32 v42, 0, v42, vcc_lo
	v_cmp_ngt_f32_e32 vcc_lo, 0xc2ce8ed0, v30
	s_waitcnt lgkmcnt(0)
	v_pk_mul_f16 v47, v35, v1 op_sel_hi:[1,0]
	v_pk_mul_f16 v1, v35, v1 op_sel:[0,1]
	v_pk_mul_f16 v52, v35, v2 op_sel_hi:[1,0]
	v_cndmask_b32_e32 v43, 0, v43, vcc_lo
	v_cmp_nlt_f32_e32 vcc_lo, 0x42b17218, v28
	v_cndmask_b32_e32 v57, 0x7f800000, v44, vcc_lo
	v_cmp_nlt_f32_e32 vcc_lo, 0x42b17218, v37
	s_delay_alu instid0(VALU_DEP_2) | instskip(SKIP_1) | instid1(VALU_DEP_2)
	v_fmac_f32_e32 v9, v33, v57
	v_cvt_f16_f32_e32 v48, v57
	v_mov_b32_e32 v33, v9
	v_cndmask_b32_e32 v37, 0x7f800000, v42, vcc_lo
	v_cmp_nlt_f32_e32 vcc_lo, 0x42b17218, v30
	s_delay_alu instid0(VALU_DEP_4) | instskip(NEXT) | instid1(VALU_DEP_3)
	v_pk_fma_f16 v1, v48, v25, v1 op_sel_hi:[0,1,1]
	v_dual_fmac_f32 v29, v31, v37 :: v_dual_fmac_f32 v0, v34, v56
	v_cndmask_b32_e32 v30, 0x7f800000, v43, vcc_lo
	ds_load_b128 v[42:45], v24 offset:16
	ds_load_2addr_b32 v[54:55], v26 offset0:40 offset1:60
	v_cvt_f16_f32_e32 v28, v37
	v_cvt_f16_f32_e32 v46, v56
	v_pk_fma_f16 v1, v36, v3, v1 op_sel:[0,1,0]
	v_cvt_f16_f32_e32 v50, v30
	v_mov_b32_e32 v31, v29
	v_pk_mul_f16 v21, v28, v21 op_sel_hi:[0,1]
	v_pk_fma_f16 v51, v46, v27, v47 op_sel_hi:[0,1,1]
	ds_load_2addr_b32 v[27:28], v26 offset0:80 offset1:100
	ds_load_b128 v[46:49], v24 offset:32
	v_pk_fma_f16 v22, v50, v22, v52 op_sel_hi:[0,1,1]
	v_mov_b32_e32 v34, v0
	v_pk_fma_f16 v2, v35, v2, v21 op_sel:[0,1,0]
	v_pk_fma_f16 v21, v36, v3, v51 op_sel_hi:[1,0,1]
	ds_load_b128 v[50:53], v24 offset:48
	v_pk_fma_f16 v3, v36, v4, v22 op_sel_hi:[1,0,1]
	v_pk_fma_f16 v2, v36, v4, v2 op_sel:[0,1,0]
	s_waitcnt lgkmcnt(3)
	v_pk_fma_f16 v4, v54, v42, v21 op_sel_hi:[1,0,1]
	v_pk_fma_f16 v1, v54, v42, v1 op_sel:[0,1,0]
	ds_load_2addr_b32 v[21:22], v26 offset0:120 offset1:140
	v_pk_fma_f16 v3, v54, v43, v3 op_sel_hi:[1,0,1]
	v_pk_fma_f16 v2, v54, v43, v2 op_sel:[0,1,0]
	v_pk_fma_f16 v4, v55, v44, v4 op_sel_hi:[1,0,1]
	v_pk_fma_f16 v1, v55, v44, v1 op_sel:[0,1,0]
	s_delay_alu instid0(VALU_DEP_4) | instskip(NEXT) | instid1(VALU_DEP_4)
	v_pk_fma_f16 v25, v55, v45, v3 op_sel_hi:[1,0,1]
	v_pk_fma_f16 v42, v55, v45, v2 op_sel:[0,1,0]
	s_waitcnt lgkmcnt(2)
	v_pk_fma_f16 v43, v27, v46, v4 op_sel_hi:[1,0,1]
	v_pk_fma_f16 v44, v27, v46, v1 op_sel:[0,1,0]
	ds_load_2addr_b32 v[35:36], v26 offset0:160 offset1:180
	ds_load_b128 v[1:4], v24 offset:64
	v_pk_fma_f16 v25, v27, v47, v25 op_sel_hi:[1,0,1]
	v_pk_fma_f16 v27, v27, v47, v42 op_sel:[0,1,0]
	v_pk_fma_f16 v42, v28, v48, v43 op_sel_hi:[1,0,1]
	v_pk_fma_f16 v43, v28, v48, v44 op_sel:[0,1,0]
	s_delay_alu instid0(VALU_DEP_4) | instskip(NEXT) | instid1(VALU_DEP_4)
	v_pk_fma_f16 v25, v28, v49, v25 op_sel_hi:[1,0,1]
	v_pk_fma_f16 v46, v28, v49, v27 op_sel:[0,1,0]
	s_waitcnt lgkmcnt(2)
	v_pk_fma_f16 v47, v21, v50, v42 op_sel_hi:[1,0,1]
	v_pk_fma_f16 v48, v21, v50, v43 op_sel:[0,1,0]
	ds_load_2addr_b32 v[27:28], v26 offset0:200 offset1:220
	ds_load_b128 v[42:45], v24 offset:80
	v_pk_fma_f16 v25, v21, v51, v25 op_sel_hi:[1,0,1]
	v_pk_fma_f16 v21, v21, v51, v46 op_sel:[0,1,0]
	v_pk_fma_f16 v46, v22, v52, v47 op_sel_hi:[1,0,1]
	v_pk_fma_f16 v47, v22, v52, v48 op_sel:[0,1,0]
	v_add_nc_u32_e32 v48, 0x200, v26
	v_pk_fma_f16 v25, v22, v53, v25 op_sel_hi:[1,0,1]
	v_pk_fma_f16 v50, v22, v53, v21 op_sel:[0,1,0]
	s_waitcnt lgkmcnt(2)
	v_pk_fma_f16 v51, v35, v1, v46 op_sel_hi:[1,0,1]
	v_pk_fma_f16 v1, v35, v1, v47 op_sel:[0,1,0]
	ds_load_2addr_b32 v[21:22], v48 offset0:112 offset1:132
	ds_load_b128 v[46:49], v24 offset:96
	v_pk_fma_f16 v25, v35, v2, v25 op_sel_hi:[1,0,1]
	v_pk_fma_f16 v2, v35, v2, v50 op_sel:[0,1,0]
	v_pk_fma_f16 v35, v36, v3, v51 op_sel_hi:[1,0,1]
	v_pk_fma_f16 v1, v36, v3, v1 op_sel:[0,1,0]
	v_add_nc_u32_e32 v50, 0x400, v26
	v_pk_fma_f16 v25, v36, v4, v25 op_sel_hi:[1,0,1]
	v_pk_fma_f16 v51, v36, v4, v2 op_sel:[0,1,0]
	s_waitcnt lgkmcnt(2)
	v_pk_fma_f16 v52, v27, v42, v35 op_sel_hi:[1,0,1]
	v_pk_fma_f16 v42, v27, v42, v1 op_sel:[0,1,0]
	ds_load_2addr_b32 v[35:36], v50 offset0:24 offset1:44
	ds_load_b128 v[1:4], v24 offset:112
	v_pk_fma_f16 v25, v27, v43, v25 op_sel_hi:[1,0,1]
	v_pk_fma_f16 v27, v27, v43, v51 op_sel:[0,1,0]
	v_pk_fma_f16 v43, v28, v44, v52 op_sel_hi:[1,0,1]
	v_pk_fma_f16 v42, v28, v44, v42 op_sel:[0,1,0]
	s_delay_alu instid0(VALU_DEP_4) | instskip(NEXT) | instid1(VALU_DEP_4)
	v_pk_fma_f16 v25, v28, v45, v25 op_sel_hi:[1,0,1]
	v_pk_fma_f16 v51, v28, v45, v27 op_sel:[0,1,0]
	s_waitcnt lgkmcnt(2)
	v_pk_fma_f16 v52, v21, v46, v43 op_sel_hi:[1,0,1]
	v_pk_fma_f16 v46, v21, v46, v42 op_sel:[0,1,0]
	ds_load_2addr_b32 v[27:28], v50 offset0:64 offset1:84
	ds_load_b128 v[42:45], v24 offset:128
	v_pk_fma_f16 v25, v21, v47, v25 op_sel_hi:[1,0,1]
	v_pk_fma_f16 v21, v21, v47, v51 op_sel:[0,1,0]
	v_pk_fma_f16 v47, v22, v48, v52 op_sel_hi:[1,0,1]
	v_pk_fma_f16 v46, v22, v48, v46 op_sel:[0,1,0]
	s_delay_alu instid0(VALU_DEP_4) | instskip(NEXT) | instid1(VALU_DEP_4)
	;; [unrolled: 12-line block ×5, first 2 shown]
	v_pk_fma_f16 v25, v22, v49, v25 op_sel_hi:[1,0,1]
	v_pk_fma_f16 v51, v22, v49, v21 op_sel:[0,1,0]
	s_waitcnt lgkmcnt(2)
	v_pk_fma_f16 v52, v35, v1, v47 op_sel_hi:[1,0,1]
	v_pk_fma_f16 v1, v35, v1, v46 op_sel:[0,1,0]
	ds_load_2addr_b32 v[21:22], v50 offset0:224 offset1:244
	ds_load_b128 v[46:49], v24 offset:192
	v_pk_fma_f16 v25, v35, v2, v25 op_sel_hi:[1,0,1]
	v_pk_fma_f16 v2, v35, v2, v51 op_sel:[0,1,0]
	v_pk_fma_f16 v35, v36, v3, v52 op_sel_hi:[1,0,1]
	v_pk_fma_f16 v1, v36, v3, v1 op_sel:[0,1,0]
	v_add_nc_u32_e32 v52, 0x800, v26
	v_pk_fma_f16 v25, v36, v4, v25 op_sel_hi:[1,0,1]
	v_pk_fma_f16 v26, v36, v4, v2 op_sel:[0,1,0]
	s_waitcnt lgkmcnt(2)
	v_pk_fma_f16 v50, v27, v42, v35 op_sel_hi:[1,0,1]
	v_pk_fma_f16 v42, v27, v42, v1 op_sel:[0,1,0]
	ds_load_2addr_b32 v[35:36], v52 offset0:8 offset1:28
	ds_load_b128 v[1:4], v24 offset:208
	v_pk_fma_f16 v25, v27, v43, v25 op_sel_hi:[1,0,1]
	v_pk_fma_f16 v26, v27, v43, v26 op_sel:[0,1,0]
	v_pk_fma_f16 v27, v28, v44, v50 op_sel_hi:[1,0,1]
	v_pk_fma_f16 v42, v28, v44, v42 op_sel:[0,1,0]
	s_delay_alu instid0(VALU_DEP_4) | instskip(NEXT) | instid1(VALU_DEP_4)
	v_pk_fma_f16 v43, v28, v45, v25 op_sel_hi:[1,0,1]
	v_pk_fma_f16 v44, v28, v45, v26 op_sel:[0,1,0]
	s_waitcnt lgkmcnt(2)
	v_pk_fma_f16 v45, v21, v46, v27 op_sel_hi:[1,0,1]
	v_pk_fma_f16 v42, v21, v46, v42 op_sel:[0,1,0]
	ds_load_2addr_b32 v[50:51], v52 offset0:48 offset1:68
	ds_load_b128 v[25:28], v24 offset:224
	v_pk_fma_f16 v43, v21, v47, v43 op_sel_hi:[1,0,1]
	v_pk_fma_f16 v21, v21, v47, v44 op_sel:[0,1,0]
	v_pk_fma_f16 v44, v22, v48, v45 op_sel_hi:[1,0,1]
	v_pk_fma_f16 v48, v22, v48, v42 op_sel:[0,1,0]
	s_delay_alu instid0(VALU_DEP_4) | instskip(NEXT) | instid1(VALU_DEP_4)
	v_pk_fma_f16 v53, v22, v49, v43 op_sel_hi:[1,0,1]
	v_pk_fma_f16 v21, v22, v49, v21 op_sel:[0,1,0]
	s_waitcnt lgkmcnt(2)
	v_pk_fma_f16 v22, v35, v1, v44 op_sel_hi:[1,0,1]
	ds_load_2addr_b32 v[46:47], v52 offset0:88 offset1:108
	ds_load_b128 v[42:45], v24 offset:240
	v_pk_fma_f16 v1, v35, v1, v48 op_sel:[0,1,0]
	v_pk_fma_f16 v24, v35, v2, v53 op_sel_hi:[1,0,1]
	v_pk_fma_f16 v2, v35, v2, v21 op_sel:[0,1,0]
	v_pk_fma_f16 v21, v36, v3, v22 op_sel_hi:[1,0,1]
	s_waitcnt lgkmcnt(0)
	v_pk_fma_f16 v1, v36, v3, v1 op_sel:[0,1,0]
	v_pk_fma_f16 v3, v36, v4, v24 op_sel_hi:[1,0,1]
	v_pk_fma_f16 v2, v36, v4, v2 op_sel:[0,1,0]
	v_pk_fma_f16 v4, v50, v25, v21 op_sel_hi:[1,0,1]
	s_barrier
	v_pk_fma_f16 v1, v50, v25, v1 op_sel:[0,1,0]
	v_pk_fma_f16 v3, v50, v26, v3 op_sel_hi:[1,0,1]
	v_pk_fma_f16 v2, v50, v26, v2 op_sel:[0,1,0]
	v_pk_fma_f16 v4, v51, v27, v4 op_sel_hi:[1,0,1]
	buffer_gl0_inv
	v_pk_fma_f16 v1, v51, v27, v1 op_sel:[0,1,0]
	v_pk_fma_f16 v3, v51, v28, v3 op_sel_hi:[1,0,1]
	v_pk_fma_f16 v2, v51, v28, v2 op_sel:[0,1,0]
	v_pk_fma_f16 v4, v46, v42, v4 op_sel_hi:[1,0,1]
	s_delay_alu instid0(VALU_DEP_4) | instskip(NEXT) | instid1(VALU_DEP_4)
	v_pk_fma_f16 v1, v46, v42, v1 op_sel:[0,1,0]
	v_pk_fma_f16 v3, v46, v43, v3 op_sel_hi:[1,0,1]
	s_delay_alu instid0(VALU_DEP_4) | instskip(NEXT) | instid1(VALU_DEP_4)
	;; [unrolled: 3-line block ×3, first 2 shown]
	v_pk_fma_f16 v25, v47, v44, v1 op_sel:[0,1,0]
	v_pk_fma_f16 v22, v47, v45, v3 op_sel_hi:[1,0,1]
	s_delay_alu instid0(VALU_DEP_4) | instskip(SKIP_3) | instid1(VALU_DEP_3)
	v_pk_fma_f16 v21, v47, v45, v2 op_sel:[0,1,0]
	v_dual_mov_b32 v1, v5 :: v_dual_fmac_f32 v10, v32, v30
	v_dual_mov_b32 v2, v6 :: v_dual_mov_b32 v3, v7
	v_dual_mov_b32 v4, v8 :: v_dual_mov_b32 v5, v23
	v_mov_b32_e32 v32, v10
.LBB56_67:
	v_cmp_lt_i32_e32 vcc_lo, v41, v11
	s_cmp_eq_u64 s[24:25], 0
	s_cselect_b32 s0, -1, 0
	s_cmp_lg_u32 s14, 0
	v_cndmask_b32_e32 v0, v5, v41, vcc_lo
	v_cmp_lt_i32_e32 vcc_lo, v40, v11
	s_cselect_b32 s1, -1, 0
	s_delay_alu instid0(SALU_CYCLE_1) | instskip(NEXT) | instid1(VALU_DEP_2)
	s_or_b32 s0, s1, s0
	v_lshlrev_b32_e32 v0, 2, v0
	ds_bpermute_b32 v7, v0, v33
	s_waitcnt lgkmcnt(0)
	v_add_f32_e32 v7, v33, v7
	ds_bpermute_b32 v6, v0, v34
	ds_bpermute_b32 v8, v0, v32
	v_cndmask_b32_e32 v9, v5, v40, vcc_lo
	ds_bpermute_b32 v0, v0, v31
	v_cmp_lt_i32_e32 vcc_lo, v39, v11
	s_waitcnt lgkmcnt(2)
	v_dual_add_f32 v6, v34, v6 :: v_dual_lshlrev_b32 v9, 2, v9
	s_waitcnt lgkmcnt(1)
	v_add_f32_e32 v8, v32, v8
	s_waitcnt lgkmcnt(0)
	v_add_f32_e32 v0, v31, v0
	ds_bpermute_b32 v23, v9, v7
	ds_bpermute_b32 v10, v9, v6
	;; [unrolled: 1-line block ×4, first 2 shown]
	s_waitcnt lgkmcnt(3)
	v_add_f32_e32 v7, v7, v23
	v_cndmask_b32_e32 v26, v5, v39, vcc_lo
	s_waitcnt lgkmcnt(2)
	v_add_f32_e32 v6, v6, v10
	s_waitcnt lgkmcnt(0)
	v_add_f32_e32 v0, v0, v9
	v_cmp_lt_i32_e32 vcc_lo, v38, v11
	v_lshlrev_b32_e32 v26, 2, v26
	ds_bpermute_b32 v10, v26, v7
	ds_bpermute_b32 v9, v26, v6
	s_waitcnt lgkmcnt(1)
	v_dual_add_f32 v7, v7, v10 :: v_dual_add_f32 v8, v8, v24
	ds_bpermute_b32 v24, v26, v0
	s_waitcnt lgkmcnt(1)
	v_add_f32_e32 v6, v6, v9
	ds_bpermute_b32 v23, v26, v8
	v_cndmask_b32_e32 v26, v5, v38, vcc_lo
	v_cmp_lt_i32_e32 vcc_lo, v12, v11
	s_delay_alu instid0(VALU_DEP_2)
	v_dual_cndmask_b32 v5, v5, v12 :: v_dual_lshlrev_b32 v26, 2, v26
	s_and_b32 vcc_lo, exec_lo, s0
	ds_bpermute_b32 v10, v26, v7
	ds_bpermute_b32 v9, v26, v6
	s_waitcnt lgkmcnt(3)
	v_dual_add_f32 v0, v0, v24 :: v_dual_lshlrev_b32 v5, 2, v5
	ds_bpermute_b32 v24, v26, v0
	s_waitcnt lgkmcnt(2)
	v_dual_add_f32 v7, v7, v10 :: v_dual_add_f32 v8, v8, v23
	s_waitcnt lgkmcnt(1)
	v_add_f32_e32 v6, v6, v9
	ds_bpermute_b32 v10, v5, v7
	ds_bpermute_b32 v23, v26, v8
	;; [unrolled: 1-line block ×3, first 2 shown]
	s_waitcnt lgkmcnt(3)
	v_add_f32_e32 v0, v0, v24
	ds_bpermute_b32 v12, v5, v0
	s_waitcnt lgkmcnt(2)
	v_add_f32_e32 v8, v8, v23
	ds_bpermute_b32 v11, v5, v8
	s_waitcnt lgkmcnt(2)
	v_dual_add_f32 v5, v6, v9 :: v_dual_add_f32 v6, v7, v10
	s_waitcnt lgkmcnt(0)
	v_add_f32_e32 v7, v8, v11
	v_add_f32_e32 v8, v0, v12
	s_cbranch_vccnz .LBB56_70
; %bb.68:
	s_lshl_b64 s[0:1], s[22:23], 2
	v_dual_mov_b32 v0, 0 :: v_dual_max_f32 v9, v1, v1
	s_add_u32 s0, s24, s0
	s_addc_u32 s1, s25, s1
	v_dual_max_f32 v12, v3, v3 :: v_dual_max_f32 v23, v4, v4
	global_load_b32 v0, v0, s[0:1]
	s_waitcnt vmcnt(0)
	v_dual_max_f32 v11, v2, v2 :: v_dual_max_f32 v10, v0, v0
	s_delay_alu instid0(VALU_DEP_1) | instskip(SKIP_1) | instid1(VALU_DEP_3)
	v_max_f32_e32 v28, v9, v10
	v_max_f32_e32 v31, v23, v10
	;; [unrolled: 1-line block ×3, first 2 shown]
	s_delay_alu instid0(VALU_DEP_3) | instskip(NEXT) | instid1(VALU_DEP_3)
	v_sub_f32_e32 v9, v0, v28
	v_sub_f32_e32 v4, v4, v31
	s_delay_alu instid0(VALU_DEP_3) | instskip(NEXT) | instid1(VALU_DEP_3)
	v_sub_f32_e32 v2, v2, v29
	v_dual_mul_f32 v23, 0x3fb8aa3b, v9 :: v_dual_max_f32 v30, v12, v10
	v_dual_sub_f32 v1, v1, v28 :: v_dual_sub_f32 v10, v0, v29
	s_delay_alu instid0(VALU_DEP_2) | instskip(NEXT) | instid1(VALU_DEP_3)
	v_rndne_f32_e32 v39, v23
	v_sub_f32_e32 v3, v3, v30
	s_delay_alu instid0(VALU_DEP_3) | instskip(SKIP_1) | instid1(VALU_DEP_4)
	v_dual_sub_f32 v11, v0, v30 :: v_dual_mul_f32 v12, 0x3fb8aa3b, v1
	v_fma_f32 v38, 0x3fb8aa3b, v9, -v23
	v_dual_mul_f32 v34, 0x3fb8aa3b, v4 :: v_dual_sub_f32 v23, v23, v39
	s_delay_alu instid0(VALU_DEP_4) | instskip(NEXT) | instid1(VALU_DEP_4)
	v_mul_f32_e32 v32, 0x3fb8aa3b, v3
	v_dual_mul_f32 v24, 0x3fb8aa3b, v2 :: v_dual_mul_f32 v33, 0x3fb8aa3b, v11
	v_fma_f32 v36, 0x3fb8aa3b, v1, -v12
	v_rndne_f32_e32 v37, v12
	v_cvt_i32_f32_e32 v39, v39
	s_delay_alu instid0(VALU_DEP_4)
	v_rndne_f32_e32 v41, v24
	v_fma_f32 v46, 0x3fb8aa3b, v11, -v33
	v_rndne_f32_e32 v47, v33
	v_fmac_f32_e32 v36, 0x32a5705f, v1
	v_fma_f32 v40, 0x3fb8aa3b, v2, -v24
	v_cmp_ngt_f32_e32 vcc_lo, 0xc2ce8ed0, v1
	v_fmac_f32_e32 v46, 0x32a5705f, v11
	v_dual_sub_f32 v33, v33, v47 :: v_dual_fmac_f32 v38, 0x32a5705f, v9
	v_cvt_i32_f32_e32 v47, v47
	v_fma_f32 v44, 0x3fb8aa3b, v3, -v32
	v_rndne_f32_e32 v45, v32
	s_delay_alu instid0(VALU_DEP_4) | instskip(SKIP_3) | instid1(VALU_DEP_4)
	v_dual_add_f32 v33, v33, v46 :: v_dual_sub_f32 v0, v0, v31
	v_add_f32_e32 v23, v23, v38
	v_mul_f32_e32 v26, 0x3fb8aa3b, v10
	v_fmac_f32_e32 v44, 0x32a5705f, v3
	v_exp_f32_e32 v33, v33
	v_mul_f32_e32 v35, 0x3fb8aa3b, v0
	v_exp_f32_e32 v23, v23
	v_fma_f32 v42, 0x3fb8aa3b, v10, -v26
	v_rndne_f32_e32 v43, v26
	v_fma_f32 v48, 0x3fb8aa3b, v4, -v34
	v_rndne_f32_e32 v51, v35
	v_sub_f32_e32 v12, v12, v37
	v_fma_f32 v50, 0x3fb8aa3b, v0, -v35
	v_cvt_i32_f32_e32 v37, v37
	v_ldexp_f32 v33, v33, v47
	s_delay_alu instid0(VALU_DEP_4) | instskip(NEXT) | instid1(VALU_DEP_4)
	v_dual_sub_f32 v35, v35, v51 :: v_dual_add_f32 v12, v12, v36
	v_fmac_f32_e32 v50, 0x32a5705f, v0
	v_sub_f32_e32 v24, v24, v41
	v_ldexp_f32 v23, v23, v39
	v_fmac_f32_e32 v42, 0x32a5705f, v10
	v_exp_f32_e32 v12, v12
	v_add_f32_e32 v35, v35, v50
	v_cvt_i32_f32_e32 v38, v51
	v_rndne_f32_e32 v49, v34
	v_cvt_i32_f32_e32 v41, v41
	v_fmac_f32_e32 v48, 0x32a5705f, v4
	v_exp_f32_e32 v35, v35
	s_delay_alu instid0(VALU_DEP_3) | instskip(NEXT) | instid1(TRANS32_DEP_2)
	v_cvt_i32_f32_e32 v36, v49
	v_ldexp_f32 v12, v12, v37
	s_delay_alu instid0(VALU_DEP_1) | instskip(SKIP_3) | instid1(TRANS32_DEP_1)
	v_cndmask_b32_e32 v12, 0, v12, vcc_lo
	v_cmp_ngt_f32_e32 vcc_lo, 0xc2ce8ed0, v9
	v_fmac_f32_e32 v40, 0x32a5705f, v2
	v_sub_f32_e32 v26, v26, v43
	v_ldexp_f32 v35, v35, v38
	v_dual_sub_f32 v32, v32, v45 :: v_dual_cndmask_b32 v23, 0, v23
	s_delay_alu instid0(VALU_DEP_4) | instskip(NEXT) | instid1(VALU_DEP_4)
	v_add_f32_e32 v24, v24, v40
	v_add_f32_e32 v26, v26, v42
	v_cvt_i32_f32_e32 v43, v43
	s_delay_alu instid0(VALU_DEP_4)
	v_add_f32_e32 v32, v32, v44
	v_sub_f32_e32 v34, v34, v49
	v_exp_f32_e32 v24, v24
	v_exp_f32_e32 v26, v26
	v_cmp_ngt_f32_e32 vcc_lo, 0xc2ce8ed0, v2
	v_exp_f32_e32 v32, v32
	v_cvt_i32_f32_e32 v45, v45
	v_add_f32_e32 v34, v34, v48
	s_delay_alu instid0(TRANS32_DEP_3)
	v_ldexp_f32 v24, v24, v41
	s_waitcnt_depctr 0xfff
	v_ldexp_f32 v26, v26, v43
	v_exp_f32_e32 v34, v34
	v_ldexp_f32 v32, v32, v45
	v_cndmask_b32_e32 v24, 0, v24, vcc_lo
	v_cmp_ngt_f32_e32 vcc_lo, 0xc2ce8ed0, v10
	v_cndmask_b32_e32 v26, 0, v26, vcc_lo
	v_cmp_ngt_f32_e32 vcc_lo, 0xc2ce8ed0, v3
	s_waitcnt_depctr 0xfff
	v_ldexp_f32 v34, v34, v36
	v_cndmask_b32_e32 v32, 0, v32, vcc_lo
	v_cmp_ngt_f32_e32 vcc_lo, 0xc2ce8ed0, v11
	v_cndmask_b32_e32 v33, 0, v33, vcc_lo
	v_cmp_ngt_f32_e32 vcc_lo, 0xc2ce8ed0, v4
	;; [unrolled: 2-line block ×3, first 2 shown]
	v_cndmask_b32_e32 v35, 0, v35, vcc_lo
	v_cmp_nlt_f32_e32 vcc_lo, 0x42b17218, v1
	v_cndmask_b32_e32 v1, 0x7f800000, v12, vcc_lo
	v_cmp_nlt_f32_e32 vcc_lo, 0x42b17218, v9
	;; [unrolled: 2-line block ×3, first 2 shown]
	s_delay_alu instid0(VALU_DEP_2) | instskip(SKIP_3) | instid1(VALU_DEP_2)
	v_dual_fmac_f32 v9, v5, v1 :: v_dual_cndmask_b32 v2, 0x7f800000, v24
	v_cmp_nlt_f32_e32 vcc_lo, 0x42b17218, v10
	v_cndmask_b32_e32 v10, 0x7f800000, v26, vcc_lo
	v_cmp_nlt_f32_e32 vcc_lo, 0x42b17218, v3
	v_dual_fmac_f32 v10, v6, v2 :: v_dual_cndmask_b32 v3, 0x7f800000, v32
	v_cmp_nlt_f32_e32 vcc_lo, 0x42b17218, v11
	v_cndmask_b32_e32 v11, 0x7f800000, v33, vcc_lo
	v_cmp_nlt_f32_e32 vcc_lo, 0x42b17218, v4
	s_delay_alu instid0(VALU_DEP_2)
	v_dual_fmac_f32 v11, v7, v3 :: v_dual_cndmask_b32 v4, 0x7f800000, v34
	v_cmp_nlt_f32_e32 vcc_lo, 0x42b17218, v0
	v_cvt_f16_f32_e32 v0, v1
	v_cvt_f16_f32_e32 v1, v2
	;; [unrolled: 1-line block ×4, first 2 shown]
	v_cndmask_b32_e32 v12, 0x7f800000, v35, vcc_lo
	v_pk_mul_f16 v27, v27, v0 op_sel_hi:[1,0]
	v_pk_mul_f16 v25, v25, v1 op_sel_hi:[1,0]
	;; [unrolled: 1-line block ×4, first 2 shown]
	v_fmac_f32_e32 v12, v8, v4
	v_mov_b32_e32 v1, v28
	v_dual_mov_b32 v5, v9 :: v_dual_mov_b32 v6, v10
	s_delay_alu instid0(VALU_DEP_3)
	v_dual_mov_b32 v7, v11 :: v_dual_mov_b32 v8, v12
	v_dual_mov_b32 v2, v29 :: v_dual_mov_b32 v3, v30
	v_mov_b32_e32 v4, v31
	s_mov_b32 s0, exec_lo
	v_cmpx_gt_i32_e64 s38, v15
	s_cbranch_execnz .LBB56_71
.LBB56_69:
	s_nop 0
	s_sendmsg sendmsg(MSG_DEALLOC_VGPRS)
	s_endpgm
.LBB56_70:
	v_dual_mov_b32 v9, v5 :: v_dual_mov_b32 v10, v6
	s_delay_alu instid0(VALU_DEP_2)
	v_dual_mov_b32 v11, v7 :: v_dual_mov_b32 v12, v8
	s_mov_b32 s0, exec_lo
	v_cmpx_gt_i32_e64 s38, v15
	s_cbranch_execz .LBB56_69
.LBB56_71:
	s_load_b32 s0, s[2:3], 0xd4
	v_mov_b32_e32 v0, 1.0
	s_waitcnt lgkmcnt(0)
	s_cmp_lg_u32 s0, 1
	s_cselect_b32 s2, -1, 0
	s_cmp_eq_u32 s0, 1
	s_cselect_b32 s3, -1, 0
	s_and_b32 vcc_lo, exec_lo, s2
	s_cbranch_vccnz .LBB56_73
; %bb.72:
	v_div_scale_f32 v0, null, v9, v9, 1.0
	s_delay_alu instid0(VALU_DEP_1) | instskip(SKIP_2) | instid1(VALU_DEP_1)
	v_rcp_f32_e32 v15, v0
	s_waitcnt_depctr 0xfff
	v_fma_f32 v23, -v0, v15, 1.0
	v_fmac_f32_e32 v15, v23, v15
	v_div_scale_f32 v23, vcc_lo, 1.0, v9, 1.0
	s_delay_alu instid0(VALU_DEP_1) | instskip(NEXT) | instid1(VALU_DEP_1)
	v_mul_f32_e32 v24, v23, v15
	v_fma_f32 v26, -v0, v24, v23
	s_delay_alu instid0(VALU_DEP_1) | instskip(NEXT) | instid1(VALU_DEP_1)
	v_fmac_f32_e32 v24, v26, v15
	v_fma_f32 v0, -v0, v24, v23
	s_delay_alu instid0(VALU_DEP_1) | instskip(NEXT) | instid1(VALU_DEP_1)
	v_div_fmas_f32 v0, v0, v15, v24
	v_div_fixup_f32 v0, v0, v9, 1.0
.LBB56_73:
	s_mul_i32 s1, s33, s38
	s_delay_alu instid0(SALU_CYCLE_1) | instskip(NEXT) | instid1(SALU_CYCLE_1)
	s_add_i32 s1, s1, s41
	v_add_nc_u32_e32 v9, s1, v14
	s_delay_alu instid0(VALU_DEP_1) | instskip(NEXT) | instid1(VALU_DEP_1)
	v_mad_u64_u32 v[23:24], null, v9, s39, s[22:23]
	v_mad_u64_u32 v[14:15], null, s0, v23, s[14:15]
	s_and_saveexec_b32 s5, s4
	s_cbranch_execz .LBB56_75
; %bb.74:
	v_lshrrev_b32_e32 v9, 16, v27
	s_delay_alu instid0(VALU_DEP_2) | instskip(SKIP_1) | instid1(VALU_DEP_3)
	v_mad_u64_u32 v[23:24], null, v14, 40, v[13:14]
	v_cvt_f32_f16_e32 v15, v27
	v_cvt_f32_f16_e32 v9, v9
	v_mov_b32_e32 v24, 0
	s_delay_alu instid0(VALU_DEP_3) | instskip(NEXT) | instid1(VALU_DEP_3)
	v_mul_f32_e32 v26, v0, v15
	v_mul_f32_e32 v27, v0, v9
	s_delay_alu instid0(VALU_DEP_3) | instskip(NEXT) | instid1(VALU_DEP_1)
	v_lshlrev_b64 v[23:24], 2, v[23:24]
	v_add_co_u32 v23, vcc_lo, s28, v23
	s_delay_alu instid0(VALU_DEP_2)
	v_add_co_ci_u32_e32 v24, vcc_lo, s29, v24, vcc_lo
	global_store_b64 v[23:24], v[26:27], off
.LBB56_75:
	s_or_b32 exec_lo, exec_lo, s5
	v_cmp_eq_u32_e32 vcc_lo, 0, v18
	s_and_b32 s2, vcc_lo, s2
	s_delay_alu instid0(SALU_CYCLE_1)
	s_and_saveexec_b32 s5, s2
	s_cbranch_execz .LBB56_77
; %bb.76:
	v_ashrrev_i32_e32 v15, 31, v14
	v_mov_b32_e32 v0, v1
	v_mov_b32_e32 v1, v5
	s_delay_alu instid0(VALU_DEP_3) | instskip(NEXT) | instid1(VALU_DEP_1)
	v_lshlrev_b64 v[14:15], 3, v[14:15]
	v_add_co_u32 v14, vcc_lo, s30, v14
	s_delay_alu instid0(VALU_DEP_2)
	v_add_co_ci_u32_e32 v15, vcc_lo, s31, v15, vcc_lo
	global_store_b64 v[14:15], v[0:1], off
.LBB56_77:
	s_or_b32 exec_lo, exec_lo, s5
	v_cmp_gt_i32_e32 vcc_lo, s38, v20
	s_and_b32 exec_lo, exec_lo, vcc_lo
	s_cbranch_execz .LBB56_69
; %bb.78:
	v_cndmask_b32_e64 v9, 0, 1, s3
	v_mov_b32_e32 v5, 1.0
	s_and_not1_b32 vcc_lo, exec_lo, s3
	s_cbranch_vccnz .LBB56_80
; %bb.79:
	v_div_scale_f32 v0, null, v10, v10, 1.0
	s_delay_alu instid0(VALU_DEP_1) | instskip(SKIP_2) | instid1(VALU_DEP_1)
	v_rcp_f32_e32 v1, v0
	s_waitcnt_depctr 0xfff
	v_fma_f32 v5, -v0, v1, 1.0
	v_fmac_f32_e32 v1, v5, v1
	v_div_scale_f32 v5, vcc_lo, 1.0, v10, 1.0
	s_delay_alu instid0(VALU_DEP_1) | instskip(NEXT) | instid1(VALU_DEP_1)
	v_mul_f32_e32 v14, v5, v1
	v_fma_f32 v15, -v0, v14, v5
	s_delay_alu instid0(VALU_DEP_1) | instskip(NEXT) | instid1(VALU_DEP_1)
	v_fmac_f32_e32 v14, v15, v1
	v_fma_f32 v0, -v0, v14, v5
	s_delay_alu instid0(VALU_DEP_1) | instskip(NEXT) | instid1(VALU_DEP_1)
	v_div_fmas_f32 v0, v0, v1, v14
	v_div_fixup_f32 v5, v0, v10, 1.0
.LBB56_80:
	v_add_nc_u32_e32 v0, s1, v19
	s_delay_alu instid0(VALU_DEP_1) | instskip(NEXT) | instid1(VALU_DEP_1)
	v_mad_u64_u32 v[14:15], null, v0, s39, s[22:23]
	v_mad_u64_u32 v[0:1], null, s0, v14, s[14:15]
	s_and_saveexec_b32 s3, s4
	s_cbranch_execz .LBB56_82
; %bb.81:
	s_delay_alu instid0(VALU_DEP_1) | instskip(SKIP_3) | instid1(VALU_DEP_3)
	v_mad_u64_u32 v[14:15], null, v0, 40, v[13:14]
	v_cvt_f32_f16_e32 v10, v25
	v_mov_b32_e32 v15, 0
	v_lshrrev_b32_e32 v1, 16, v25
	v_mul_f32_e32 v18, v5, v10
	s_delay_alu instid0(VALU_DEP_3) | instskip(NEXT) | instid1(VALU_DEP_3)
	v_lshlrev_b64 v[14:15], 2, v[14:15]
	v_cvt_f32_f16_e32 v1, v1
	s_delay_alu instid0(VALU_DEP_1) | instskip(NEXT) | instid1(VALU_DEP_3)
	v_mul_f32_e32 v19, v5, v1
	v_add_co_u32 v14, vcc_lo, s28, v14
	s_delay_alu instid0(VALU_DEP_4)
	v_add_co_ci_u32_e32 v15, vcc_lo, s29, v15, vcc_lo
	global_store_b64 v[14:15], v[18:19], off
.LBB56_82:
	s_or_b32 exec_lo, exec_lo, s3
	s_and_saveexec_b32 s3, s2
	s_cbranch_execz .LBB56_84
; %bb.83:
	s_delay_alu instid0(VALU_DEP_1) | instskip(SKIP_1) | instid1(VALU_DEP_2)
	v_ashrrev_i32_e32 v1, 31, v0
	v_mov_b32_e32 v5, v2
	v_lshlrev_b64 v[0:1], 3, v[0:1]
	s_delay_alu instid0(VALU_DEP_1) | instskip(NEXT) | instid1(VALU_DEP_2)
	v_add_co_u32 v0, vcc_lo, s30, v0
	v_add_co_ci_u32_e32 v1, vcc_lo, s31, v1, vcc_lo
	global_store_b64 v[0:1], v[5:6], off
.LBB56_84:
	s_or_b32 exec_lo, exec_lo, s3
	v_add_nc_u32_e32 v0, s41, v17
	s_delay_alu instid0(VALU_DEP_1)
	v_cmp_gt_i32_e32 vcc_lo, s38, v0
	s_and_b32 exec_lo, exec_lo, vcc_lo
	s_cbranch_execz .LBB56_69
; %bb.85:
	v_cmp_ne_u32_e32 vcc_lo, 1, v9
	v_mov_b32_e32 v2, 1.0
	s_cbranch_vccnz .LBB56_87
; %bb.86:
	v_div_scale_f32 v0, null, v11, v11, 1.0
	s_delay_alu instid0(VALU_DEP_1) | instskip(SKIP_2) | instid1(VALU_DEP_1)
	v_rcp_f32_e32 v1, v0
	s_waitcnt_depctr 0xfff
	v_fma_f32 v2, -v0, v1, 1.0
	v_fmac_f32_e32 v1, v2, v1
	v_div_scale_f32 v2, vcc_lo, 1.0, v11, 1.0
	s_delay_alu instid0(VALU_DEP_1) | instskip(NEXT) | instid1(VALU_DEP_1)
	v_mul_f32_e32 v5, v2, v1
	v_fma_f32 v6, -v0, v5, v2
	s_delay_alu instid0(VALU_DEP_1) | instskip(NEXT) | instid1(VALU_DEP_1)
	v_fmac_f32_e32 v5, v6, v1
	v_fma_f32 v0, -v0, v5, v2
	s_delay_alu instid0(VALU_DEP_1) | instskip(NEXT) | instid1(VALU_DEP_1)
	v_div_fmas_f32 v0, v0, v1, v5
	v_div_fixup_f32 v2, v0, v11, 1.0
.LBB56_87:
	v_add_nc_u32_e32 v0, s1, v17
	s_delay_alu instid0(VALU_DEP_1) | instskip(NEXT) | instid1(VALU_DEP_1)
	v_mad_u64_u32 v[5:6], null, v0, s39, s[22:23]
	v_mad_u64_u32 v[0:1], null, s0, v5, s[14:15]
	s_and_saveexec_b32 s3, s4
	s_cbranch_execz .LBB56_89
; %bb.88:
	s_delay_alu instid0(VALU_DEP_1) | instskip(SKIP_3) | instid1(VALU_DEP_3)
	v_mad_u64_u32 v[5:6], null, v0, 40, v[13:14]
	v_lshrrev_b32_e32 v1, 16, v22
	v_cvt_f32_f16_e32 v10, v22
	v_mov_b32_e32 v6, 0
	v_cvt_f32_f16_e32 v11, v1
	s_delay_alu instid0(VALU_DEP_3) | instskip(NEXT) | instid1(VALU_DEP_3)
	v_mul_f32_e32 v1, v2, v10
	v_lshlrev_b64 v[5:6], 2, v[5:6]
	s_delay_alu instid0(VALU_DEP_3) | instskip(NEXT) | instid1(VALU_DEP_2)
	v_mul_f32_e32 v2, v2, v11
	v_add_co_u32 v5, vcc_lo, s28, v5
	s_delay_alu instid0(VALU_DEP_3)
	v_add_co_ci_u32_e32 v6, vcc_lo, s29, v6, vcc_lo
	global_store_b64 v[5:6], v[1:2], off
.LBB56_89:
	s_or_b32 exec_lo, exec_lo, s3
	s_and_saveexec_b32 s3, s2
	s_cbranch_execz .LBB56_91
; %bb.90:
	s_delay_alu instid0(VALU_DEP_1) | instskip(SKIP_1) | instid1(VALU_DEP_2)
	v_ashrrev_i32_e32 v1, 31, v0
	v_mov_b32_e32 v6, v3
	v_lshlrev_b64 v[0:1], 3, v[0:1]
	s_delay_alu instid0(VALU_DEP_1) | instskip(NEXT) | instid1(VALU_DEP_2)
	v_add_co_u32 v0, vcc_lo, s30, v0
	v_add_co_ci_u32_e32 v1, vcc_lo, s31, v1, vcc_lo
	global_store_b64 v[0:1], v[6:7], off
.LBB56_91:
	s_or_b32 exec_lo, exec_lo, s3
	v_add_nc_u32_e32 v0, s41, v16
	s_delay_alu instid0(VALU_DEP_1)
	v_cmp_gt_i32_e32 vcc_lo, s38, v0
	s_and_b32 exec_lo, exec_lo, vcc_lo
	s_cbranch_execz .LBB56_69
; %bb.92:
	v_cmp_ne_u32_e32 vcc_lo, 1, v9
	v_mov_b32_e32 v2, 1.0
	s_cbranch_vccnz .LBB56_94
; %bb.93:
	v_div_scale_f32 v0, null, v12, v12, 1.0
	s_delay_alu instid0(VALU_DEP_1) | instskip(SKIP_2) | instid1(VALU_DEP_1)
	v_rcp_f32_e32 v1, v0
	s_waitcnt_depctr 0xfff
	v_fma_f32 v2, -v0, v1, 1.0
	v_fmac_f32_e32 v1, v2, v1
	v_div_scale_f32 v2, vcc_lo, 1.0, v12, 1.0
	s_delay_alu instid0(VALU_DEP_1) | instskip(NEXT) | instid1(VALU_DEP_1)
	v_mul_f32_e32 v3, v2, v1
	v_fma_f32 v5, -v0, v3, v2
	s_delay_alu instid0(VALU_DEP_1) | instskip(NEXT) | instid1(VALU_DEP_1)
	v_fmac_f32_e32 v3, v5, v1
	v_fma_f32 v0, -v0, v3, v2
	s_delay_alu instid0(VALU_DEP_1) | instskip(NEXT) | instid1(VALU_DEP_1)
	v_div_fmas_f32 v0, v0, v1, v3
	v_div_fixup_f32 v2, v0, v12, 1.0
.LBB56_94:
	v_add_nc_u32_e32 v0, s1, v16
	s_delay_alu instid0(VALU_DEP_1) | instskip(NEXT) | instid1(VALU_DEP_1)
	v_mad_u64_u32 v[5:6], null, v0, s39, s[22:23]
	v_mad_u64_u32 v[0:1], null, s0, v5, s[14:15]
	s_and_saveexec_b32 s0, s4
	s_cbranch_execz .LBB56_96
; %bb.95:
	s_delay_alu instid0(VALU_DEP_1) | instskip(SKIP_3) | instid1(VALU_DEP_3)
	v_mad_u64_u32 v[5:6], null, v0, 40, v[13:14]
	v_lshrrev_b32_e32 v1, 16, v21
	v_cvt_f32_f16_e32 v3, v21
	v_mov_b32_e32 v6, 0
	v_cvt_f32_f16_e32 v7, v1
	s_delay_alu instid0(VALU_DEP_3) | instskip(NEXT) | instid1(VALU_DEP_3)
	v_mul_f32_e32 v1, v2, v3
	v_lshlrev_b64 v[5:6], 2, v[5:6]
	s_delay_alu instid0(VALU_DEP_3) | instskip(NEXT) | instid1(VALU_DEP_2)
	v_mul_f32_e32 v2, v2, v7
	v_add_co_u32 v5, vcc_lo, s28, v5
	s_delay_alu instid0(VALU_DEP_3)
	v_add_co_ci_u32_e32 v6, vcc_lo, s29, v6, vcc_lo
	global_store_b64 v[5:6], v[1:2], off
.LBB56_96:
	s_or_b32 exec_lo, exec_lo, s0
	s_delay_alu instid0(SALU_CYCLE_1)
	s_and_b32 exec_lo, exec_lo, s2
	s_cbranch_execz .LBB56_69
; %bb.97:
	s_delay_alu instid0(VALU_DEP_1) | instskip(SKIP_1) | instid1(VALU_DEP_2)
	v_ashrrev_i32_e32 v1, 31, v0
	v_mov_b32_e32 v7, v4
	v_lshlrev_b64 v[0:1], 3, v[0:1]
	s_delay_alu instid0(VALU_DEP_1) | instskip(NEXT) | instid1(VALU_DEP_2)
	v_add_co_u32 v0, vcc_lo, s30, v0
	v_add_co_ci_u32_e32 v1, vcc_lo, s31, v1, vcc_lo
	global_store_b64 v[0:1], v[7:8], off
	s_nop 0
	s_sendmsg sendmsg(MSG_DEALLOC_VGPRS)
	s_endpgm
	.section	.rodata,"a",@progbits
	.p2align	6, 0x0
	.amdhsa_kernel _ZL15flash_attn_tileILi40ELi40ELi32ELi1ELb0EEvPKcS1_S1_S1_S1_PKiPfP15HIP_vector_typeIfLj2EEffffjfiS5_IjLj3EEiiiiiiiiiiiliiliiiiil
		.amdhsa_group_segment_fixed_size 15968
		.amdhsa_private_segment_fixed_size 32
		.amdhsa_kernarg_size 464
		.amdhsa_user_sgpr_count 13
		.amdhsa_user_sgpr_dispatch_ptr 1
		.amdhsa_user_sgpr_queue_ptr 0
		.amdhsa_user_sgpr_kernarg_segment_ptr 1
		.amdhsa_user_sgpr_dispatch_id 0
		.amdhsa_user_sgpr_private_segment_size 0
		.amdhsa_wavefront_size32 1
		.amdhsa_uses_dynamic_stack 0
		.amdhsa_enable_private_segment 1
		.amdhsa_system_sgpr_workgroup_id_x 1
		.amdhsa_system_sgpr_workgroup_id_y 1
		.amdhsa_system_sgpr_workgroup_id_z 1
		.amdhsa_system_sgpr_workgroup_info 0
		.amdhsa_system_vgpr_workitem_id 2
		.amdhsa_next_free_vgpr 77
		.amdhsa_next_free_sgpr 50
		.amdhsa_reserve_vcc 1
		.amdhsa_float_round_mode_32 0
		.amdhsa_float_round_mode_16_64 0
		.amdhsa_float_denorm_mode_32 3
		.amdhsa_float_denorm_mode_16_64 3
		.amdhsa_dx10_clamp 1
		.amdhsa_ieee_mode 1
		.amdhsa_fp16_overflow 0
		.amdhsa_workgroup_processor_mode 1
		.amdhsa_memory_ordered 1
		.amdhsa_forward_progress 0
		.amdhsa_shared_vgpr_count 0
		.amdhsa_exception_fp_ieee_invalid_op 0
		.amdhsa_exception_fp_denorm_src 0
		.amdhsa_exception_fp_ieee_div_zero 0
		.amdhsa_exception_fp_ieee_overflow 0
		.amdhsa_exception_fp_ieee_underflow 0
		.amdhsa_exception_fp_ieee_inexact 0
		.amdhsa_exception_int_div_zero 0
	.end_amdhsa_kernel
	.section	.text._ZL15flash_attn_tileILi40ELi40ELi32ELi1ELb0EEvPKcS1_S1_S1_S1_PKiPfP15HIP_vector_typeIfLj2EEffffjfiS5_IjLj3EEiiiiiiiiiiiliiliiiiil,"axG",@progbits,_ZL15flash_attn_tileILi40ELi40ELi32ELi1ELb0EEvPKcS1_S1_S1_S1_PKiPfP15HIP_vector_typeIfLj2EEffffjfiS5_IjLj3EEiiiiiiiiiiiliiliiiiil,comdat
.Lfunc_end56:
	.size	_ZL15flash_attn_tileILi40ELi40ELi32ELi1ELb0EEvPKcS1_S1_S1_S1_PKiPfP15HIP_vector_typeIfLj2EEffffjfiS5_IjLj3EEiiiiiiiiiiiliiliiiiil, .Lfunc_end56-_ZL15flash_attn_tileILi40ELi40ELi32ELi1ELb0EEvPKcS1_S1_S1_S1_PKiPfP15HIP_vector_typeIfLj2EEffffjfiS5_IjLj3EEiiiiiiiiiiiliiliiiiil
                                        ; -- End function
	.section	.AMDGPU.csdata,"",@progbits
; Kernel info:
; codeLenInByte = 18172
; NumSgprs: 52
; NumVgprs: 77
; ScratchSize: 32
; MemoryBound: 0
; FloatMode: 240
; IeeeMode: 1
; LDSByteSize: 15968 bytes/workgroup (compile time only)
; SGPRBlocks: 6
; VGPRBlocks: 9
; NumSGPRsForWavesPerEU: 52
; NumVGPRsForWavesPerEU: 77
; Occupancy: 16
; WaveLimiterHint : 1
; COMPUTE_PGM_RSRC2:SCRATCH_EN: 1
; COMPUTE_PGM_RSRC2:USER_SGPR: 13
; COMPUTE_PGM_RSRC2:TRAP_HANDLER: 0
; COMPUTE_PGM_RSRC2:TGID_X_EN: 1
; COMPUTE_PGM_RSRC2:TGID_Y_EN: 1
; COMPUTE_PGM_RSRC2:TGID_Z_EN: 1
; COMPUTE_PGM_RSRC2:TIDIG_COMP_CNT: 2
	.section	.text._ZL33flash_attn_stream_k_fixup_uniformILi40ELi32ELi1EEvPfPK15HIP_vector_typeIfLj2EEiiiiiiS1_IjLj3EES5_S5_,"axG",@progbits,_ZL33flash_attn_stream_k_fixup_uniformILi40ELi32ELi1EEvPfPK15HIP_vector_typeIfLj2EEiiiiiiS1_IjLj3EES5_S5_,comdat
	.globl	_ZL33flash_attn_stream_k_fixup_uniformILi40ELi32ELi1EEvPfPK15HIP_vector_typeIfLj2EEiiiiiiS1_IjLj3EES5_S5_ ; -- Begin function _ZL33flash_attn_stream_k_fixup_uniformILi40ELi32ELi1EEvPfPK15HIP_vector_typeIfLj2EEiiiiiiS1_IjLj3EES5_S5_
	.p2align	8
	.type	_ZL33flash_attn_stream_k_fixup_uniformILi40ELi32ELi1EEvPfPK15HIP_vector_typeIfLj2EEiiiiiiS1_IjLj3EES5_S5_,@function
_ZL33flash_attn_stream_k_fixup_uniformILi40ELi32ELi1EEvPfPK15HIP_vector_typeIfLj2EEiiiiiiS1_IjLj3EES5_S5_: ; @_ZL33flash_attn_stream_k_fixup_uniformILi40ELi32ELi1EEvPfPK15HIP_vector_typeIfLj2EEiiiiiiS1_IjLj3EES5_S5_
; %bb.0:
	s_clause 0x1
	s_load_b256 s[4:11], s[0:1], 0x1c
	s_load_b128 s[16:19], s[0:1], 0x3c
	s_waitcnt lgkmcnt(0)
	s_mul_hi_u32 s2, s7, s13
	s_delay_alu instid0(SALU_CYCLE_1) | instskip(NEXT) | instid1(SALU_CYCLE_1)
	s_add_i32 s2, s13, s2
	s_lshr_b32 s2, s2, s8
	s_delay_alu instid0(SALU_CYCLE_1) | instskip(SKIP_2) | instid1(SALU_CYCLE_1)
	s_mul_i32 s3, s2, s9
	s_load_b64 s[8:9], s[0:1], 0x10
	s_sub_i32 s3, s13, s3
	s_mul_hi_u32 s7, s3, s10
	s_delay_alu instid0(SALU_CYCLE_1) | instskip(NEXT) | instid1(SALU_CYCLE_1)
	s_add_i32 s7, s3, s7
	s_lshr_b32 s7, s7, s11
	s_delay_alu instid0(SALU_CYCLE_1) | instskip(NEXT) | instid1(SALU_CYCLE_1)
	s_mul_i32 s10, s7, s16
	s_sub_i32 s3, s3, s10
	s_delay_alu instid0(SALU_CYCLE_1) | instskip(NEXT) | instid1(SALU_CYCLE_1)
	s_mul_hi_u32 s10, s3, s17
	s_add_i32 s10, s3, s10
	s_delay_alu instid0(SALU_CYCLE_1) | instskip(NEXT) | instid1(SALU_CYCLE_1)
	s_lshr_b32 s11, s10, s18
	s_mul_i32 s10, s11, s19
	s_delay_alu instid0(SALU_CYCLE_1) | instskip(NEXT) | instid1(SALU_CYCLE_1)
	s_sub_i32 s10, s3, s10
	s_lshl_b32 s3, s10, 5
	s_delay_alu instid0(SALU_CYCLE_1) | instskip(SKIP_4) | instid1(SALU_CYCLE_1)
	s_add_i32 s3, s3, s14
	s_waitcnt lgkmcnt(0)
	s_cmp_lt_i32 s3, s8
	s_cselect_b32 s3, -1, 0
	s_add_i32 s11, s11, s15
	s_cmp_lt_i32 s11, s5
	s_cselect_b32 s12, -1, 0
	s_delay_alu instid0(SALU_CYCLE_1) | instskip(NEXT) | instid1(SALU_CYCLE_1)
	s_and_b32 s3, s3, s12
	s_and_not1_b32 vcc_lo, exec_lo, s3
	s_cbranch_vccnz .LBB57_6
; %bb.1:
	s_mul_i32 s8, s2, s8
	s_mul_i32 s7, s7, s5
	s_add_i32 s8, s8, s14
	s_add_i32 s5, s11, s7
	s_mul_i32 s8, s8, s9
	s_load_b128 s[0:3], s[0:1], 0x0
	s_mul_i32 s7, s9, s10
	s_add_i32 s5, s5, s8
	s_mulk_i32 s7, 0x500
	s_mul_i32 s5, s5, 40
	s_add_i32 s10, s14, s15
	v_add3_u32 v1, s5, s7, v0
	s_mul_i32 s5, s13, s6
	s_delay_alu instid0(SALU_CYCLE_1) | instskip(NEXT) | instid1(VALU_DEP_1)
	s_add_i32 s9, s5, s6
	v_ashrrev_i32_e32 v2, 31, v1
	s_delay_alu instid0(VALU_DEP_1) | instskip(SKIP_1) | instid1(VALU_DEP_1)
	v_lshlrev_b64 v[1:2], 2, v[1:2]
	s_waitcnt lgkmcnt(0)
	v_add_co_u32 v1, vcc_lo, s0, v1
	s_delay_alu instid0(VALU_DEP_2) | instskip(SKIP_1) | instid1(SALU_CYCLE_1)
	v_add_co_ci_u32_e32 v2, vcc_lo, s1, v2, vcc_lo
	s_lshl_b32 s0, s9, 5
	s_add_i32 s0, s10, s0
	global_load_b32 v5, v[1:2], off
	s_sub_i32 s0, s0, 32
	s_delay_alu instid0(SALU_CYCLE_1) | instskip(NEXT) | instid1(SALU_CYCLE_1)
	s_ashr_i32 s1, s0, 31
	s_lshl_b64 s[0:1], s[0:1], 3
	s_delay_alu instid0(SALU_CYCLE_1)
	s_add_u32 s0, s2, s0
	s_addc_u32 s1, s3, s1
	s_add_i32 s7, s9, -2
	s_load_b32 s11, s[0:1], 0x4
	s_cmp_lt_i32 s7, s5
	s_cbranch_scc1 .LBB57_4
; %bb.2:
	s_load_b32 s12, s[0:1], 0x0
	s_lshl_b32 s0, s4, 7
	s_waitcnt lgkmcnt(0)
	v_mov_b32_e32 v6, s11
	s_ashr_i32 s1, s0, 31
	s_delay_alu instid0(SALU_CYCLE_1) | instskip(NEXT) | instid1(SALU_CYCLE_1)
	s_lshl_b64 s[0:1], s[0:1], 2
	s_add_u32 s7, s2, s0
	s_addc_u32 s8, s3, s1
	s_add_i32 s13, s13, 1
	s_mul_i32 s1, s10, 40
	s_mul_i32 s0, s6, s13
	s_delay_alu instid0(SALU_CYCLE_1)
	s_lshl_b32 s6, s0, 5
	s_mulk_i32 s0, 0x500
	s_add_i32 s6, s10, s6
	s_add_i32 s1, s1, s0
	s_lshl_b32 s0, s4, 5
	v_add3_u32 v3, s1, v0, 0xfffff600
	s_add_i32 s6, s6, s0
	v_mov_b32_e32 v0, s12
	s_add_i32 s4, s9, -1
	s_sub_i32 s0, s6, 64
.LBB57_3:                               ; =>This Inner Loop Header: Depth=1
	s_delay_alu instid0(VALU_DEP_2) | instskip(SKIP_1) | instid1(SALU_CYCLE_1)
	v_ashrrev_i32_e32 v4, 31, v3
	s_ashr_i32 s1, s0, 31
	s_lshl_b64 s[10:11], s[0:1], 3
	s_delay_alu instid0(SALU_CYCLE_1) | instskip(NEXT) | instid1(VALU_DEP_1)
	s_add_u32 s10, s2, s10
	v_lshlrev_b64 v[7:8], 2, v[3:4]
	s_addc_u32 s11, s3, s11
	s_add_i32 s4, s4, -1
	s_sub_i32 s0, s0, 32
	s_cmp_le_i32 s4, s5
	s_load_b64 s[10:11], s[10:11], 0x0
	v_add_co_u32 v7, vcc_lo, s7, v7
	v_add_co_ci_u32_e32 v8, vcc_lo, s8, v8, vcc_lo
	global_load_b32 v4, v[7:8], off
	v_max_f32_e32 v7, v0, v0
	s_waitcnt lgkmcnt(0)
	v_max_f32_e64 v8, s10, s10
	s_delay_alu instid0(VALU_DEP_1) | instskip(NEXT) | instid1(VALU_DEP_1)
	v_max_f32_e32 v7, v7, v8
	v_sub_f32_e32 v8, s10, v7
	s_delay_alu instid0(VALU_DEP_1) | instskip(NEXT) | instid1(VALU_DEP_1)
	v_dual_sub_f32 v0, v0, v7 :: v_dual_mul_f32 v9, 0x3fb8aa3b, v8
	v_fma_f32 v10, 0x3fb8aa3b, v8, -v9
	v_rndne_f32_e32 v11, v9
	s_delay_alu instid0(VALU_DEP_3) | instskip(NEXT) | instid1(VALU_DEP_2)
	v_mul_f32_e32 v12, 0x3fb8aa3b, v0
	v_dual_fmac_f32 v10, 0x32a5705f, v8 :: v_dual_sub_f32 v9, v9, v11
	v_cvt_i32_f32_e32 v11, v11
	s_delay_alu instid0(VALU_DEP_3) | instskip(SKIP_1) | instid1(VALU_DEP_4)
	v_fma_f32 v13, 0x3fb8aa3b, v0, -v12
	v_rndne_f32_e32 v14, v12
	v_add_f32_e32 v9, v9, v10
	v_cmp_ngt_f32_e32 vcc_lo, 0xc2ce8ed0, v8
	s_delay_alu instid0(VALU_DEP_3) | instskip(NEXT) | instid1(VALU_DEP_3)
	v_sub_f32_e32 v10, v12, v14
	v_exp_f32_e32 v9, v9
	s_waitcnt_depctr 0xfff
	v_ldexp_f32 v9, v9, v11
	v_cvt_i32_f32_e32 v11, v14
	s_delay_alu instid0(VALU_DEP_2) | instskip(SKIP_1) | instid1(VALU_DEP_2)
	v_cndmask_b32_e32 v9, 0, v9, vcc_lo
	v_cmp_nlt_f32_e32 vcc_lo, 0x42b17218, v8
	v_cndmask_b32_e32 v9, 0x7f800000, v9, vcc_lo
	v_cmp_ngt_f32_e32 vcc_lo, 0xc2ce8ed0, v0
	v_fmac_f32_e32 v13, 0x32a5705f, v0
	s_delay_alu instid0(VALU_DEP_1) | instskip(NEXT) | instid1(VALU_DEP_1)
	v_add_f32_e32 v10, v10, v13
	v_exp_f32_e32 v10, v10
	s_waitcnt_depctr 0xfff
	v_ldexp_f32 v10, v10, v11
	s_delay_alu instid0(VALU_DEP_1)
	v_dual_mov_b32 v11, v6 :: v_dual_cndmask_b32 v10, 0, v10
	v_cmp_le_f32_e32 vcc_lo, 0xc1a00000, v8
	s_waitcnt vmcnt(1)
	v_dual_cndmask_b32 v8, 0, v9 :: v_dual_mov_b32 v9, v5
	v_cmp_nlt_f32_e32 vcc_lo, 0x42b17218, v0
	v_cndmask_b32_e32 v5, 0x7f800000, v10, vcc_lo
	s_delay_alu instid0(VALU_DEP_3) | instskip(SKIP_2) | instid1(VALU_DEP_3)
	v_mul_f32_e32 v10, s11, v8
	v_cmp_le_f32_e32 vcc_lo, 0xc1a00000, v0
	v_mov_b32_e32 v0, v7
	v_mov_b32_e32 v6, v10
	s_waitcnt vmcnt(0)
	v_dual_cndmask_b32 v12, 0, v5 :: v_dual_mul_f32 v5, v4, v8
	s_delay_alu instid0(VALU_DEP_1) | instskip(NEXT) | instid1(VALU_DEP_2)
	v_dual_fmac_f32 v6, v11, v12 :: v_dual_add_nc_u32 v3, 0xfffffb00, v3
	v_fmac_f32_e32 v5, v9, v12
	s_cbranch_scc0 .LBB57_3
	s_branch .LBB57_5
.LBB57_4:
	s_waitcnt lgkmcnt(0)
	v_mov_b32_e32 v6, s11
.LBB57_5:
	s_waitcnt vmcnt(0)
	s_delay_alu instid0(VALU_DEP_1) | instskip(NEXT) | instid1(VALU_DEP_1)
	v_div_scale_f32 v0, null, v6, v6, v5
	v_rcp_f32_e32 v3, v0
	s_waitcnt_depctr 0xfff
	v_fma_f32 v4, -v0, v3, 1.0
	s_delay_alu instid0(VALU_DEP_1) | instskip(SKIP_1) | instid1(VALU_DEP_1)
	v_fmac_f32_e32 v3, v4, v3
	v_div_scale_f32 v4, vcc_lo, v5, v6, v5
	v_mul_f32_e32 v7, v4, v3
	s_delay_alu instid0(VALU_DEP_1) | instskip(NEXT) | instid1(VALU_DEP_1)
	v_fma_f32 v8, -v0, v7, v4
	v_fmac_f32_e32 v7, v8, v3
	s_delay_alu instid0(VALU_DEP_1) | instskip(NEXT) | instid1(VALU_DEP_1)
	v_fma_f32 v0, -v0, v7, v4
	v_div_fmas_f32 v0, v0, v3, v7
	s_delay_alu instid0(VALU_DEP_1)
	v_div_fixup_f32 v0, v0, v6, v5
	global_store_b32 v[1:2], v0, off
.LBB57_6:
	s_nop 0
	s_sendmsg sendmsg(MSG_DEALLOC_VGPRS)
	s_endpgm
	.section	.rodata,"a",@progbits
	.p2align	6, 0x0
	.amdhsa_kernel _ZL33flash_attn_stream_k_fixup_uniformILi40ELi32ELi1EEvPfPK15HIP_vector_typeIfLj2EEiiiiiiS1_IjLj3EES5_S5_
		.amdhsa_group_segment_fixed_size 0
		.amdhsa_private_segment_fixed_size 0
		.amdhsa_kernarg_size 76
		.amdhsa_user_sgpr_count 13
		.amdhsa_user_sgpr_dispatch_ptr 0
		.amdhsa_user_sgpr_queue_ptr 0
		.amdhsa_user_sgpr_kernarg_segment_ptr 1
		.amdhsa_user_sgpr_dispatch_id 0
		.amdhsa_user_sgpr_private_segment_size 0
		.amdhsa_wavefront_size32 1
		.amdhsa_uses_dynamic_stack 0
		.amdhsa_enable_private_segment 0
		.amdhsa_system_sgpr_workgroup_id_x 1
		.amdhsa_system_sgpr_workgroup_id_y 1
		.amdhsa_system_sgpr_workgroup_id_z 1
		.amdhsa_system_sgpr_workgroup_info 0
		.amdhsa_system_vgpr_workitem_id 0
		.amdhsa_next_free_vgpr 15
		.amdhsa_next_free_sgpr 20
		.amdhsa_reserve_vcc 1
		.amdhsa_float_round_mode_32 0
		.amdhsa_float_round_mode_16_64 0
		.amdhsa_float_denorm_mode_32 3
		.amdhsa_float_denorm_mode_16_64 3
		.amdhsa_dx10_clamp 1
		.amdhsa_ieee_mode 1
		.amdhsa_fp16_overflow 0
		.amdhsa_workgroup_processor_mode 1
		.amdhsa_memory_ordered 1
		.amdhsa_forward_progress 0
		.amdhsa_shared_vgpr_count 0
		.amdhsa_exception_fp_ieee_invalid_op 0
		.amdhsa_exception_fp_denorm_src 0
		.amdhsa_exception_fp_ieee_div_zero 0
		.amdhsa_exception_fp_ieee_overflow 0
		.amdhsa_exception_fp_ieee_underflow 0
		.amdhsa_exception_fp_ieee_inexact 0
		.amdhsa_exception_int_div_zero 0
	.end_amdhsa_kernel
	.section	.text._ZL33flash_attn_stream_k_fixup_uniformILi40ELi32ELi1EEvPfPK15HIP_vector_typeIfLj2EEiiiiiiS1_IjLj3EES5_S5_,"axG",@progbits,_ZL33flash_attn_stream_k_fixup_uniformILi40ELi32ELi1EEvPfPK15HIP_vector_typeIfLj2EEiiiiiiS1_IjLj3EES5_S5_,comdat
.Lfunc_end57:
	.size	_ZL33flash_attn_stream_k_fixup_uniformILi40ELi32ELi1EEvPfPK15HIP_vector_typeIfLj2EEiiiiiiS1_IjLj3EES5_S5_, .Lfunc_end57-_ZL33flash_attn_stream_k_fixup_uniformILi40ELi32ELi1EEvPfPK15HIP_vector_typeIfLj2EEiiiiiiS1_IjLj3EES5_S5_
                                        ; -- End function
	.section	.AMDGPU.csdata,"",@progbits
; Kernel info:
; codeLenInByte = 972
; NumSgprs: 22
; NumVgprs: 15
; ScratchSize: 0
; MemoryBound: 0
; FloatMode: 240
; IeeeMode: 1
; LDSByteSize: 0 bytes/workgroup (compile time only)
; SGPRBlocks: 2
; VGPRBlocks: 1
; NumSGPRsForWavesPerEU: 22
; NumVGPRsForWavesPerEU: 15
; Occupancy: 16
; WaveLimiterHint : 0
; COMPUTE_PGM_RSRC2:SCRATCH_EN: 0
; COMPUTE_PGM_RSRC2:USER_SGPR: 13
; COMPUTE_PGM_RSRC2:TRAP_HANDLER: 0
; COMPUTE_PGM_RSRC2:TGID_X_EN: 1
; COMPUTE_PGM_RSRC2:TGID_Y_EN: 1
; COMPUTE_PGM_RSRC2:TGID_Z_EN: 1
; COMPUTE_PGM_RSRC2:TIDIG_COMP_CNT: 0
	.section	.text._ZL33flash_attn_stream_k_fixup_generalILi40ELi32ELi1EEvPfPK15HIP_vector_typeIfLj2EEiiiiS1_IjLj3EES5_S5_S5_,"axG",@progbits,_ZL33flash_attn_stream_k_fixup_generalILi40ELi32ELi1EEvPfPK15HIP_vector_typeIfLj2EEiiiiS1_IjLj3EES5_S5_S5_,comdat
	.globl	_ZL33flash_attn_stream_k_fixup_generalILi40ELi32ELi1EEvPfPK15HIP_vector_typeIfLj2EEiiiiS1_IjLj3EES5_S5_S5_ ; -- Begin function _ZL33flash_attn_stream_k_fixup_generalILi40ELi32ELi1EEvPfPK15HIP_vector_typeIfLj2EEiiiiS1_IjLj3EES5_S5_S5_
	.p2align	8
	.type	_ZL33flash_attn_stream_k_fixup_generalILi40ELi32ELi1EEvPfPK15HIP_vector_typeIfLj2EEiiiiS1_IjLj3EES5_S5_S5_,@function
_ZL33flash_attn_stream_k_fixup_generalILi40ELi32ELi1EEvPfPK15HIP_vector_typeIfLj2EEiiiiS1_IjLj3EES5_S5_S5_: ; @_ZL33flash_attn_stream_k_fixup_generalILi40ELi32ELi1EEvPfPK15HIP_vector_typeIfLj2EEiiiiS1_IjLj3EES5_S5_S5_
; %bb.0:
	s_clause 0x1
	s_load_b128 s[4:7], s[0:1], 0x10
	s_load_b32 s20, s[0:1], 0x50
	s_mov_b32 s2, 0
	s_waitcnt lgkmcnt(0)
	s_mul_hi_i32 s3, s7, s13
	s_mul_i32 s12, s7, s13
	s_cmp_lg_u64 s[2:3], 0
	s_cbranch_scc0 .LBB58_21
; %bb.1:
	v_cvt_f32_ubyte0_e32 v1, 0
	v_cvt_f32_u32_e32 v2, s20
	s_sub_u32 s10, 0, s20
	s_subb_u32 s11, 0, 0
	s_delay_alu instid0(VALU_DEP_1) | instskip(NEXT) | instid1(VALU_DEP_1)
	v_fmamk_f32 v1, v1, 0x4f800000, v2
	v_rcp_f32_e32 v1, v1
	s_waitcnt_depctr 0xfff
	v_mul_f32_e32 v1, 0x5f7ffffc, v1
	s_delay_alu instid0(VALU_DEP_1) | instskip(NEXT) | instid1(VALU_DEP_1)
	v_mul_f32_e32 v2, 0x2f800000, v1
	v_trunc_f32_e32 v2, v2
	s_delay_alu instid0(VALU_DEP_1) | instskip(SKIP_1) | instid1(VALU_DEP_2)
	v_fmamk_f32 v1, v2, 0xcf800000, v1
	v_cvt_u32_f32_e32 v2, v2
	v_cvt_u32_f32_e32 v1, v1
	s_delay_alu instid0(VALU_DEP_2) | instskip(NEXT) | instid1(VALU_DEP_2)
	v_readfirstlane_b32 s8, v2
	v_readfirstlane_b32 s9, v1
	s_delay_alu instid0(VALU_DEP_2) | instskip(NEXT) | instid1(VALU_DEP_1)
	s_mul_i32 s16, s10, s8
	s_mul_hi_u32 s18, s10, s9
	s_mul_i32 s17, s11, s9
	s_add_i32 s16, s18, s16
	s_mul_i32 s19, s10, s9
	s_add_i32 s16, s16, s17
	s_mul_hi_u32 s18, s9, s19
	s_mul_hi_u32 s21, s8, s19
	s_mul_i32 s17, s8, s19
	s_mul_hi_u32 s19, s9, s16
	s_mul_i32 s9, s9, s16
	s_mul_hi_u32 s22, s8, s16
	s_add_u32 s9, s18, s9
	s_addc_u32 s18, 0, s19
	s_add_u32 s9, s9, s17
	s_mul_i32 s16, s8, s16
	s_addc_u32 s9, s18, s21
	s_addc_u32 s17, s22, 0
	s_add_u32 s9, s9, s16
	s_addc_u32 s16, 0, s17
	v_add_co_u32 v1, s9, v1, s9
	s_delay_alu instid0(VALU_DEP_1) | instskip(SKIP_1) | instid1(VALU_DEP_1)
	s_cmp_lg_u32 s9, 0
	s_addc_u32 s8, s8, s16
	v_readfirstlane_b32 s9, v1
	s_mul_i32 s16, s10, s8
	s_delay_alu instid0(VALU_DEP_1)
	s_mul_hi_u32 s17, s10, s9
	s_mul_i32 s11, s11, s9
	s_add_i32 s16, s17, s16
	s_mul_i32 s10, s10, s9
	s_add_i32 s16, s16, s11
	s_mul_hi_u32 s17, s8, s10
	s_mul_i32 s18, s8, s10
	s_mul_hi_u32 s10, s9, s10
	s_mul_hi_u32 s19, s9, s16
	s_mul_i32 s9, s9, s16
	s_mul_hi_u32 s11, s8, s16
	s_add_u32 s9, s10, s9
	s_addc_u32 s10, 0, s19
	s_add_u32 s9, s9, s18
	s_mul_i32 s16, s8, s16
	s_addc_u32 s9, s10, s17
	s_addc_u32 s10, s11, 0
	s_add_u32 s9, s9, s16
	s_addc_u32 s10, 0, s10
	v_add_co_u32 v1, s9, v1, s9
	s_delay_alu instid0(VALU_DEP_1) | instskip(SKIP_2) | instid1(SALU_CYCLE_1)
	s_cmp_lg_u32 s9, 0
	s_addc_u32 s16, s8, s10
	s_ashr_i32 s8, s3, 31
	s_add_u32 s10, s12, s8
	s_addc_u32 s11, s3, s8
	v_readfirstlane_b32 s3, v1
	s_mov_b32 s9, s8
	s_delay_alu instid0(SALU_CYCLE_1) | instskip(NEXT) | instid1(SALU_CYCLE_1)
	s_xor_b64 s[10:11], s[10:11], s[8:9]
	s_mul_i32 s18, s10, s16
	s_delay_alu instid0(VALU_DEP_1)
	s_mul_hi_u32 s19, s10, s3
	s_mul_hi_u32 s17, s10, s16
	;; [unrolled: 1-line block ×3, first 2 shown]
	s_mul_i32 s3, s11, s3
	s_add_u32 s18, s19, s18
	s_addc_u32 s17, 0, s17
	s_mul_hi_u32 s21, s11, s16
	s_add_u32 s3, s18, s3
	s_mul_i32 s16, s11, s16
	s_addc_u32 s3, s17, s22
	s_addc_u32 s17, s21, 0
	s_add_u32 s3, s3, s16
	s_addc_u32 s16, 0, s17
	s_mul_i32 s18, s20, s3
	s_add_u32 s17, s3, 1
	v_sub_co_u32 v1, s10, s10, s18
	s_mul_hi_u32 s18, s20, s3
	s_addc_u32 s19, s16, 0
	s_mul_i32 s21, s20, s16
	s_delay_alu instid0(VALU_DEP_1)
	v_sub_co_u32 v2, s22, v1, s20
	s_add_u32 s23, s3, 2
	s_addc_u32 s24, s16, 0
	s_add_i32 s18, s18, s21
	s_cmp_lg_u32 s10, 0
	v_readfirstlane_b32 s10, v2
	s_subb_u32 s11, s11, s18
	s_cmp_lg_u32 s22, 0
	s_subb_u32 s18, s11, 0
	s_delay_alu instid0(VALU_DEP_1) | instskip(SKIP_4) | instid1(SALU_CYCLE_1)
	s_cmp_ge_u32 s10, s20
	s_cselect_b32 s10, -1, 0
	s_cmp_eq_u32 s18, 0
	v_readfirstlane_b32 s18, v1
	s_cselect_b32 s10, s10, -1
	s_cmp_lg_u32 s10, 0
	s_cselect_b32 s10, s23, s17
	s_cselect_b32 s17, s24, s19
	s_cmp_ge_u32 s18, s20
	s_cselect_b32 s18, -1, 0
	s_cmp_eq_u32 s11, 0
	s_cselect_b32 s11, s18, -1
	s_delay_alu instid0(SALU_CYCLE_1) | instskip(SKIP_2) | instid1(SALU_CYCLE_1)
	s_cmp_lg_u32 s11, 0
	s_cselect_b32 s11, s17, s16
	s_cselect_b32 s10, s10, s3
	s_xor_b64 s[10:11], s[10:11], s[8:9]
	s_delay_alu instid0(SALU_CYCLE_1)
	s_sub_u32 s16, s10, s8
	s_load_b128 s[8:11], s[0:1], 0x44
	s_and_not1_b32 vcc_lo, exec_lo, s2
	s_cbranch_vccnz .LBB58_3
.LBB58_2:
	v_cvt_f32_u32_e32 v1, s20
	s_sub_i32 s3, 0, s20
	s_delay_alu instid0(VALU_DEP_1) | instskip(SKIP_2) | instid1(VALU_DEP_1)
	v_rcp_iflag_f32_e32 v1, v1
	s_waitcnt_depctr 0xfff
	v_mul_f32_e32 v1, 0x4f7ffffe, v1
	v_cvt_u32_f32_e32 v1, v1
	s_delay_alu instid0(VALU_DEP_1) | instskip(NEXT) | instid1(VALU_DEP_1)
	v_readfirstlane_b32 s2, v1
	s_mul_i32 s3, s3, s2
	s_delay_alu instid0(SALU_CYCLE_1) | instskip(NEXT) | instid1(SALU_CYCLE_1)
	s_mul_hi_u32 s3, s2, s3
	s_add_i32 s2, s2, s3
	s_delay_alu instid0(SALU_CYCLE_1) | instskip(NEXT) | instid1(SALU_CYCLE_1)
	s_mul_hi_u32 s2, s12, s2
	s_mul_i32 s3, s2, s20
	s_waitcnt lgkmcnt(0)
	s_add_i32 s11, s2, 1
	s_sub_i32 s3, s12, s3
	s_delay_alu instid0(SALU_CYCLE_1)
	s_sub_i32 s12, s3, s20
	s_cmp_ge_u32 s3, s20
	s_cselect_b32 s2, s11, s2
	s_cselect_b32 s3, s12, s3
	s_add_i32 s11, s2, 1
	s_cmp_ge_u32 s3, s20
	s_cselect_b32 s16, s11, s2
.LBB58_3:
	s_waitcnt lgkmcnt(0)
	s_add_i32 s11, s13, 1
	s_mov_b32 s2, 0
	s_mul_hi_i32 s3, s7, s11
	s_mul_i32 s11, s7, s11
	s_cmp_lg_u64 s[2:3], 0
	s_cbranch_scc0 .LBB58_22
; %bb.4:
	v_cvt_f32_ubyte0_e32 v1, 0
	v_cvt_f32_u32_e32 v2, s20
	s_sub_u32 s18, 0, s20
	s_subb_u32 s19, 0, 0
	s_delay_alu instid0(VALU_DEP_1) | instskip(NEXT) | instid1(VALU_DEP_1)
	v_fmamk_f32 v1, v1, 0x4f800000, v2
	v_rcp_f32_e32 v1, v1
	s_waitcnt_depctr 0xfff
	v_mul_f32_e32 v1, 0x5f7ffffc, v1
	s_delay_alu instid0(VALU_DEP_1) | instskip(NEXT) | instid1(VALU_DEP_1)
	v_mul_f32_e32 v2, 0x2f800000, v1
	v_trunc_f32_e32 v2, v2
	s_delay_alu instid0(VALU_DEP_1) | instskip(SKIP_1) | instid1(VALU_DEP_2)
	v_fmamk_f32 v1, v2, 0xcf800000, v1
	v_cvt_u32_f32_e32 v2, v2
	v_cvt_u32_f32_e32 v1, v1
	s_delay_alu instid0(VALU_DEP_2) | instskip(NEXT) | instid1(VALU_DEP_2)
	v_readfirstlane_b32 s12, v2
	v_readfirstlane_b32 s17, v1
	s_delay_alu instid0(VALU_DEP_2) | instskip(NEXT) | instid1(VALU_DEP_1)
	s_mul_i32 s21, s18, s12
	s_mul_hi_u32 s23, s18, s17
	s_mul_i32 s22, s19, s17
	s_add_i32 s21, s23, s21
	s_mul_i32 s24, s18, s17
	s_add_i32 s21, s21, s22
	s_mul_hi_u32 s23, s17, s24
	s_mul_hi_u32 s25, s12, s24
	s_mul_i32 s22, s12, s24
	s_mul_hi_u32 s24, s17, s21
	s_mul_i32 s17, s17, s21
	s_mul_hi_u32 s26, s12, s21
	s_add_u32 s17, s23, s17
	s_addc_u32 s23, 0, s24
	s_add_u32 s17, s17, s22
	s_mul_i32 s21, s12, s21
	s_addc_u32 s17, s23, s25
	s_addc_u32 s22, s26, 0
	s_add_u32 s17, s17, s21
	s_addc_u32 s21, 0, s22
	v_add_co_u32 v1, s17, v1, s17
	s_delay_alu instid0(VALU_DEP_1) | instskip(SKIP_1) | instid1(VALU_DEP_1)
	s_cmp_lg_u32 s17, 0
	s_addc_u32 s12, s12, s21
	v_readfirstlane_b32 s17, v1
	s_mul_i32 s21, s18, s12
	s_delay_alu instid0(VALU_DEP_1)
	s_mul_hi_u32 s22, s18, s17
	s_mul_i32 s19, s19, s17
	s_add_i32 s21, s22, s21
	s_mul_i32 s18, s18, s17
	s_add_i32 s21, s21, s19
	s_mul_hi_u32 s22, s12, s18
	s_mul_i32 s23, s12, s18
	s_mul_hi_u32 s18, s17, s18
	s_mul_hi_u32 s24, s17, s21
	s_mul_i32 s17, s17, s21
	s_mul_hi_u32 s19, s12, s21
	s_add_u32 s17, s18, s17
	s_addc_u32 s18, 0, s24
	s_add_u32 s17, s17, s23
	s_mul_i32 s21, s12, s21
	s_addc_u32 s17, s18, s22
	s_addc_u32 s18, s19, 0
	s_add_u32 s17, s17, s21
	s_addc_u32 s18, 0, s18
	v_add_co_u32 v1, s17, v1, s17
	s_delay_alu instid0(VALU_DEP_1) | instskip(SKIP_2) | instid1(SALU_CYCLE_1)
	s_cmp_lg_u32 s17, 0
	s_addc_u32 s12, s12, s18
	s_ashr_i32 s18, s3, 31
	s_add_u32 s22, s11, s18
	s_addc_u32 s23, s3, s18
	v_readfirstlane_b32 s3, v1
	s_mov_b32 s19, s18
	s_delay_alu instid0(SALU_CYCLE_1) | instskip(NEXT) | instid1(SALU_CYCLE_1)
	s_xor_b64 s[22:23], s[22:23], s[18:19]
	s_mul_i32 s21, s22, s12
	s_delay_alu instid0(VALU_DEP_1)
	s_mul_hi_u32 s24, s22, s3
	s_mul_hi_u32 s17, s22, s12
	;; [unrolled: 1-line block ×3, first 2 shown]
	s_mul_i32 s3, s23, s3
	s_add_u32 s21, s24, s21
	s_addc_u32 s17, 0, s17
	s_mul_hi_u32 s25, s23, s12
	s_add_u32 s3, s21, s3
	s_mul_i32 s12, s23, s12
	s_addc_u32 s3, s17, s26
	s_addc_u32 s17, s25, 0
	s_add_u32 s3, s3, s12
	s_addc_u32 s12, 0, s17
	s_mul_i32 s21, s20, s3
	s_add_u32 s17, s3, 1
	v_sub_co_u32 v1, s21, s22, s21
	s_mul_hi_u32 s22, s20, s3
	s_addc_u32 s24, s12, 0
	s_mul_i32 s25, s20, s12
	s_delay_alu instid0(VALU_DEP_1)
	v_sub_co_u32 v2, s26, v1, s20
	s_add_u32 s27, s3, 2
	s_addc_u32 s28, s12, 0
	s_add_i32 s22, s22, s25
	s_cmp_lg_u32 s21, 0
	v_readfirstlane_b32 s21, v2
	s_subb_u32 s22, s23, s22
	s_cmp_lg_u32 s26, 0
	s_subb_u32 s23, s22, 0
	s_delay_alu instid0(VALU_DEP_1) | instskip(SKIP_4) | instid1(SALU_CYCLE_1)
	s_cmp_ge_u32 s21, s20
	s_cselect_b32 s21, -1, 0
	s_cmp_eq_u32 s23, 0
	v_readfirstlane_b32 s23, v1
	s_cselect_b32 s21, s21, -1
	s_cmp_lg_u32 s21, 0
	s_cselect_b32 s17, s27, s17
	s_cselect_b32 s21, s28, s24
	s_cmp_ge_u32 s23, s20
	s_cselect_b32 s23, -1, 0
	s_cmp_eq_u32 s22, 0
	s_cselect_b32 s22, s23, -1
	s_delay_alu instid0(SALU_CYCLE_1) | instskip(SKIP_2) | instid1(SALU_CYCLE_1)
	s_cmp_lg_u32 s22, 0
	s_cselect_b32 s23, s21, s12
	s_cselect_b32 s22, s17, s3
	s_xor_b64 s[22:23], s[22:23], s[18:19]
	s_delay_alu instid0(SALU_CYCLE_1)
	s_sub_u32 s18, s22, s18
	s_and_not1_b32 vcc_lo, exec_lo, s2
	s_cbranch_vccnz .LBB58_6
.LBB58_5:
	v_cvt_f32_u32_e32 v1, s20
	s_sub_i32 s3, 0, s20
	s_delay_alu instid0(VALU_DEP_1) | instskip(SKIP_2) | instid1(VALU_DEP_1)
	v_rcp_iflag_f32_e32 v1, v1
	s_waitcnt_depctr 0xfff
	v_mul_f32_e32 v1, 0x4f7ffffe, v1
	v_cvt_u32_f32_e32 v1, v1
	s_delay_alu instid0(VALU_DEP_1) | instskip(NEXT) | instid1(VALU_DEP_1)
	v_readfirstlane_b32 s2, v1
	s_mul_i32 s3, s3, s2
	s_delay_alu instid0(SALU_CYCLE_1) | instskip(NEXT) | instid1(SALU_CYCLE_1)
	s_mul_hi_u32 s3, s2, s3
	s_add_i32 s2, s2, s3
	s_delay_alu instid0(SALU_CYCLE_1) | instskip(NEXT) | instid1(SALU_CYCLE_1)
	s_mul_hi_u32 s2, s11, s2
	s_mul_i32 s3, s2, s20
	s_delay_alu instid0(SALU_CYCLE_1)
	s_sub_i32 s3, s11, s3
	s_add_i32 s11, s2, 1
	s_sub_i32 s12, s3, s20
	s_cmp_ge_u32 s3, s20
	s_cselect_b32 s2, s11, s2
	s_cselect_b32 s3, s12, s3
	s_add_i32 s11, s2, 1
	s_cmp_ge_u32 s3, s20
	s_cselect_b32 s18, s11, s2
.LBB58_6:
	s_delay_alu instid0(SALU_CYCLE_1) | instskip(SKIP_3) | instid1(SALU_CYCLE_1)
	s_cmp_eq_u32 s16, s18
	s_mul_hi_u32 s2, s16, s8
	s_cselect_b32 s3, -1, 0
	s_add_i32 s2, s2, s16
	s_lshr_b32 s11, s2, s9
	s_delay_alu instid0(SALU_CYCLE_1) | instskip(NEXT) | instid1(SALU_CYCLE_1)
	s_mul_i32 s2, s11, s10
	s_cmp_eq_u32 s2, s16
	s_mul_hi_u32 s2, s18, s8
	s_cselect_b32 s12, -1, 0
	s_add_i32 s2, s2, s18
	s_delay_alu instid0(SALU_CYCLE_1) | instskip(NEXT) | instid1(SALU_CYCLE_1)
	s_lshr_b32 s2, s2, s9
	s_cmp_eq_u32 s11, s2
	s_mul_i32 s2, s2, s10
	s_cselect_b32 s17, -1, 0
	s_cmp_lg_u32 s2, s18
	s_cselect_b32 s2, -1, 0
	s_or_b32 s3, s3, s12
	s_and_b32 s2, s17, s2
	s_delay_alu instid0(SALU_CYCLE_1) | instskip(NEXT) | instid1(SALU_CYCLE_1)
	s_or_b32 s2, s3, s2
	s_and_b32 vcc_lo, exec_lo, s2
	s_cbranch_vccnz .LBB58_24
; %bb.7:
	s_load_b256 s[24:31], s[0:1], 0x20
	s_waitcnt lgkmcnt(0)
	s_mul_hi_u32 s2, s16, s24
	s_delay_alu instid0(SALU_CYCLE_1) | instskip(NEXT) | instid1(SALU_CYCLE_1)
	s_add_i32 s2, s2, s16
	s_lshr_b32 s17, s2, s25
	s_load_b32 s2, s[0:1], 0x40
	s_mul_i32 s3, s17, s26
	s_delay_alu instid0(SALU_CYCLE_1) | instskip(NEXT) | instid1(SALU_CYCLE_1)
	s_sub_i32 s3, s16, s3
	s_mul_hi_u32 s12, s3, s27
	s_delay_alu instid0(SALU_CYCLE_1) | instskip(NEXT) | instid1(SALU_CYCLE_1)
	s_add_i32 s12, s3, s12
	s_lshr_b32 s19, s12, s28
	s_delay_alu instid0(SALU_CYCLE_1) | instskip(NEXT) | instid1(SALU_CYCLE_1)
	s_mul_i32 s12, s19, s29
	s_sub_i32 s3, s3, s12
	s_delay_alu instid0(SALU_CYCLE_1) | instskip(NEXT) | instid1(SALU_CYCLE_1)
	s_mul_hi_u32 s12, s3, s30
	s_add_i32 s12, s3, s12
	s_delay_alu instid0(SALU_CYCLE_1) | instskip(SKIP_3) | instid1(SALU_CYCLE_1)
	s_lshr_b32 s21, s12, s31
	s_mov_b32 s12, 0
	s_waitcnt lgkmcnt(0)
	s_mul_i32 s2, s21, s2
	s_sub_i32 s2, s3, s2
	s_delay_alu instid0(SALU_CYCLE_1) | instskip(NEXT) | instid1(SALU_CYCLE_1)
	s_mul_hi_u32 s3, s2, s8
	s_add_i32 s2, s2, s3
	s_delay_alu instid0(SALU_CYCLE_1) | instskip(NEXT) | instid1(SALU_CYCLE_1)
	s_lshr_b32 s18, s2, s9
	s_lshl_b32 s2, s18, 5
	s_delay_alu instid0(SALU_CYCLE_1) | instskip(NEXT) | instid1(SALU_CYCLE_1)
	s_add_i32 s2, s2, s14
	s_cmp_lt_i32 s2, s4
	s_cselect_b32 s2, -1, 0
	s_add_i32 s21, s21, s15
	s_delay_alu instid0(SALU_CYCLE_1) | instskip(SKIP_1) | instid1(SALU_CYCLE_1)
	s_cmp_lt_i32 s21, s6
	s_cselect_b32 s3, -1, 0
	s_and_b32 s2, s2, s3
	s_delay_alu instid0(SALU_CYCLE_1)
	s_and_not1_b32 vcc_lo, exec_lo, s2
	s_cbranch_vccnz .LBB58_24
; %bb.8:
	s_load_b128 s[0:3], s[0:1], 0x0
	s_lshl_b32 s22, s20, 7
	s_mov_b32 s23, s12
	s_add_i32 s15, s14, s15
	s_lshl_b64 s[22:23], s[22:23], 2
	s_mul_i32 s4, s17, s4
	s_mul_i32 s19, s19, s6
	v_cvt_f32_ubyte0_e32 v3, 0
	v_cvt_f32_u32_e32 v4, s20
	s_waitcnt lgkmcnt(0)
	s_add_u32 s6, s2, s22
	s_addc_u32 s17, s3, s23
	s_add_i32 s4, s4, s14
	s_add_i32 s14, s21, s19
	s_mul_i32 s4, s4, s5
	s_mul_i32 s5, s5, s18
	s_add_i32 s4, s14, s4
	s_mulk_i32 s5, 0x500
	s_mul_i32 s4, s4, 40
	s_delay_alu instid0(SALU_CYCLE_1) | instskip(NEXT) | instid1(VALU_DEP_1)
	v_add3_u32 v1, s5, s4, v0
	v_ashrrev_i32_e32 v2, 31, v1
	s_delay_alu instid0(VALU_DEP_1) | instskip(NEXT) | instid1(VALU_DEP_1)
	v_lshlrev_b64 v[1:2], 2, v[1:2]
	v_add_co_u32 v1, vcc_lo, s0, v1
	s_delay_alu instid0(VALU_DEP_2) | instskip(SKIP_1) | instid1(SALU_CYCLE_1)
	v_add_co_ci_u32_e32 v2, vcc_lo, s1, v2, vcc_lo
	s_lshl_b32 s0, s13, 5
	s_add_i32 s0, s0, s15
	global_load_b32 v5, v[1:2], off
	s_ashr_i32 s1, s0, 31
	s_delay_alu instid0(SALU_CYCLE_1) | instskip(NEXT) | instid1(SALU_CYCLE_1)
	s_lshl_b64 s[0:1], s[0:1], 3
	s_add_u32 s0, s2, s0
	s_addc_u32 s1, s3, s1
	s_add_i32 s18, s13, -1
	s_load_b64 s[0:1], s[0:1], 0x0
	v_fmac_f32_e32 v4, 0x4f800000, v3
	s_sub_i32 s14, 0, s20
	s_delay_alu instid0(VALU_DEP_1)
	v_rcp_f32_e32 v3, v4
	s_waitcnt_depctr 0xfff
	v_mul_f32_e32 v6, 0x5f7ffffc, v3
	v_cvt_f32_u32_e32 v3, s20
	s_waitcnt lgkmcnt(0)
	v_mov_b32_e32 v8, s0
	s_delay_alu instid0(VALU_DEP_3) | instskip(NEXT) | instid1(VALU_DEP_3)
	v_mul_f32_e32 v4, 0x2f800000, v6
	v_rcp_iflag_f32_e32 v7, v3
	s_delay_alu instid0(VALU_DEP_1) | instskip(SKIP_1) | instid1(VALU_DEP_2)
	v_trunc_f32_e32 v9, v4
	v_mad_u64_u32 v[3:4], null, s15, 40, v[0:1]
	v_fmac_f32_e32 v6, 0xcf800000, v9
	s_waitcnt_depctr 0xfff
	v_dual_mul_f32 v10, 0x4f7ffffe, v7 :: v_dual_mov_b32 v7, s1
	v_cvt_u32_f32_e32 v4, v9
	v_cvt_u32_f32_e32 v0, v6
	s_delay_alu instid0(VALU_DEP_3)
	v_cvt_u32_f32_e32 v6, v10
.LBB58_9:                               ; =>This Inner Loop Header: Depth=1
	s_mul_hi_i32 s13, s18, s7
	s_mul_i32 s4, s18, s7
	s_cmp_lg_u64 s[12:13], 0
	s_mov_b32 s5, -1
                                        ; implicit-def: $sgpr0_sgpr1
	s_cbranch_scc0 .LBB58_11
; %bb.10:                               ;   in Loop: Header=BB58_9 Depth=1
	v_readfirstlane_b32 s0, v0
	v_readfirstlane_b32 s1, v4
	s_sub_u32 s5, 0, s20
	s_subb_u32 s19, 0, 0
	s_delay_alu instid0(VALU_DEP_2) | instskip(NEXT) | instid1(VALU_DEP_1)
	s_mul_hi_u32 s21, s5, s0
	s_mul_i32 s22, s5, s1
	s_mul_i32 s23, s19, s0
	s_add_i32 s21, s21, s22
	s_mul_i32 s22, s5, s0
	s_add_i32 s21, s21, s23
	s_mul_hi_u32 s23, s0, s22
	s_mul_i32 s24, s0, s21
	s_mul_hi_u32 s0, s0, s21
	s_add_u32 s23, s23, s24
	s_mul_i32 s25, s1, s22
	s_addc_u32 s0, 0, s0
	s_mul_hi_u32 s22, s1, s22
	s_mul_hi_u32 s24, s1, s21
	s_add_u32 s23, s23, s25
	s_addc_u32 s0, s0, s22
	s_mul_i32 s21, s1, s21
	s_addc_u32 s22, s24, 0
	s_add_u32 s0, s0, s21
	s_addc_u32 s21, 0, s22
	v_add_co_u32 v9, s0, v0, s0
	s_delay_alu instid0(VALU_DEP_1) | instskip(SKIP_1) | instid1(VALU_DEP_1)
	s_cmp_lg_u32 s0, 0
	s_addc_u32 s1, s1, s21
	v_readfirstlane_b32 s0, v9
	s_mul_i32 s21, s5, s1
	s_delay_alu instid0(VALU_DEP_1)
	s_mul_hi_u32 s22, s5, s0
	s_mul_i32 s19, s19, s0
	s_add_i32 s21, s22, s21
	s_mul_i32 s5, s5, s0
	s_add_i32 s21, s21, s19
	s_mul_hi_u32 s19, s1, s5
	s_mul_i32 s23, s1, s5
	s_mul_i32 s24, s0, s21
	s_mul_hi_u32 s5, s0, s5
	s_mul_hi_u32 s0, s0, s21
	s_add_u32 s5, s5, s24
	s_addc_u32 s0, 0, s0
	s_mul_hi_u32 s22, s1, s21
	s_add_u32 s5, s5, s23
	s_addc_u32 s0, s0, s19
	s_mul_i32 s5, s1, s21
	s_addc_u32 s19, s22, 0
	s_add_u32 s0, s0, s5
	s_addc_u32 s5, 0, s19
	v_add_co_u32 v9, s0, v9, s0
	s_delay_alu instid0(VALU_DEP_1) | instskip(SKIP_2) | instid1(SALU_CYCLE_1)
	s_cmp_lg_u32 s0, 0
	s_addc_u32 s5, s1, s5
	s_ashr_i32 s0, s13, 31
	s_add_u32 s22, s4, s0
	s_addc_u32 s23, s13, s0
	v_readfirstlane_b32 s13, v9
	s_mov_b32 s1, s0
	s_delay_alu instid0(SALU_CYCLE_1) | instskip(NEXT) | instid1(SALU_CYCLE_1)
	s_xor_b64 s[22:23], s[22:23], s[0:1]
	s_mul_i32 s19, s22, s5
	s_delay_alu instid0(VALU_DEP_1)
	s_mul_hi_u32 s21, s22, s13
	s_mul_hi_u32 s24, s22, s5
	s_add_u32 s19, s21, s19
	s_mul_i32 s25, s23, s13
	s_addc_u32 s21, 0, s24
	s_mul_hi_u32 s13, s23, s13
	s_mul_hi_u32 s24, s23, s5
	s_add_u32 s19, s19, s25
	s_addc_u32 s13, s21, s13
	s_mul_i32 s5, s23, s5
	s_addc_u32 s19, s24, 0
	s_add_u32 s5, s13, s5
	s_addc_u32 s13, 0, s19
	s_mul_i32 s21, s20, s5
	s_add_u32 s19, s5, 1
	v_sub_co_u32 v9, s21, s22, s21
	s_addc_u32 s22, s13, 0
	s_mul_i32 s25, s20, s13
	s_mul_hi_u32 s27, s20, s5
	s_delay_alu instid0(VALU_DEP_1)
	v_sub_co_u32 v10, s26, v9, s20
	s_add_u32 s24, s5, 2
	s_addc_u32 s28, s13, 0
	s_add_i32 s27, s27, s25
	s_cmp_lg_u32 s21, 0
	v_readfirstlane_b32 s21, v10
	s_subb_u32 s23, s23, s27
	s_cmp_lg_u32 s26, 0
	s_subb_u32 s25, s23, 0
	s_delay_alu instid0(VALU_DEP_1) | instskip(SKIP_4) | instid1(SALU_CYCLE_1)
	s_cmp_ge_u32 s21, s20
	s_cselect_b32 s21, -1, 0
	s_cmp_eq_u32 s25, 0
	v_readfirstlane_b32 s25, v9
	s_cselect_b32 s21, s21, -1
	s_cmp_lg_u32 s21, 0
	s_cselect_b32 s19, s24, s19
	s_cselect_b32 s21, s28, s22
	s_cmp_ge_u32 s25, s20
	s_cselect_b32 s22, -1, 0
	s_cmp_eq_u32 s23, 0
	s_cselect_b32 s22, s22, -1
	s_delay_alu instid0(SALU_CYCLE_1) | instskip(SKIP_4) | instid1(SALU_CYCLE_1)
	s_cmp_lg_u32 s22, 0
	s_cselect_b32 s23, s21, s13
	s_cselect_b32 s22, s19, s5
	s_mov_b32 s5, 0
	s_xor_b64 s[22:23], s[22:23], s[0:1]
	s_sub_u32 s0, s22, s0
.LBB58_11:                              ;   in Loop: Header=BB58_9 Depth=1
	s_and_not1_b32 vcc_lo, exec_lo, s5
	s_cbranch_vccnz .LBB58_13
; %bb.12:                               ;   in Loop: Header=BB58_9 Depth=1
	v_readfirstlane_b32 s0, v6
	s_delay_alu instid0(VALU_DEP_1) | instskip(NEXT) | instid1(SALU_CYCLE_1)
	s_mul_i32 s1, s14, s0
	s_mul_hi_u32 s1, s0, s1
	s_delay_alu instid0(SALU_CYCLE_1) | instskip(NEXT) | instid1(SALU_CYCLE_1)
	s_add_i32 s0, s0, s1
	s_mul_hi_u32 s0, s4, s0
	s_delay_alu instid0(SALU_CYCLE_1) | instskip(NEXT) | instid1(SALU_CYCLE_1)
	s_mul_i32 s1, s0, s20
	s_sub_i32 s1, s4, s1
	s_add_i32 s4, s0, 1
	s_sub_i32 s5, s1, s20
	s_cmp_ge_u32 s1, s20
	s_cselect_b32 s0, s4, s0
	s_cselect_b32 s1, s5, s1
	s_add_i32 s4, s0, 1
	s_cmp_ge_u32 s1, s20
	s_cselect_b32 s0, s4, s0
.LBB58_13:                              ;   in Loop: Header=BB58_9 Depth=1
	s_delay_alu instid0(SALU_CYCLE_1)
	s_cmp_lg_u32 s16, s0
	s_cbranch_scc0 .LBB58_17
; %bb.14:                               ;   in Loop: Header=BB58_9 Depth=1
	s_add_i32 s1, s18, s20
	s_mov_b32 s5, s12
	s_lshl_b32 s1, s1, 5
	s_mov_b32 s19, s16
	s_add_i32 s4, s1, s15
	s_mul_hi_u32 s1, s0, s8
	s_lshl_b64 s[4:5], s[4:5], 3
	s_delay_alu instid0(SALU_CYCLE_1) | instskip(SKIP_2) | instid1(SALU_CYCLE_1)
	s_add_u32 s4, s2, s4
	s_addc_u32 s5, s3, s5
	s_add_i32 s1, s1, s0
	s_lshr_b32 s1, s1, s9
	s_delay_alu instid0(SALU_CYCLE_1) | instskip(NEXT) | instid1(SALU_CYCLE_1)
	s_mul_i32 s13, s1, s10
	s_cmp_eq_u32 s13, s0
	s_cselect_b32 s13, -1, 0
	s_cmp_lt_u32 s1, s11
	s_cselect_b32 s1, -1, 0
	s_delay_alu instid0(SALU_CYCLE_1)
	s_or_b32 s1, s1, s13
	s_mov_b32 s13, -1
	s_and_b32 vcc_lo, exec_lo, s1
	s_mov_b32 s1, s18
	s_cbranch_vccnz .LBB58_16
; %bb.15:                               ;   in Loop: Header=BB58_9 Depth=1
	s_add_i32 s1, s18, -1
	s_mov_b32 s13, 0
	s_mov_b32 s19, s0
.LBB58_16:                              ;   in Loop: Header=BB58_9 Depth=1
	v_mad_u64_u32 v[9:10], null, 0x500, s18, v[3:4]
	s_load_b64 s[4:5], s[4:5], 0x0
	s_delay_alu instid0(VALU_DEP_1) | instskip(NEXT) | instid1(VALU_DEP_1)
	v_ashrrev_i32_e32 v10, 31, v9
	v_lshlrev_b64 v[9:10], 2, v[9:10]
	s_delay_alu instid0(VALU_DEP_1) | instskip(NEXT) | instid1(VALU_DEP_2)
	v_add_co_u32 v9, vcc_lo, s6, v9
	v_add_co_ci_u32_e32 v10, vcc_lo, s17, v10, vcc_lo
	s_waitcnt lgkmcnt(0)
	v_max_f32_e64 v11, s4, s4
	global_load_b32 v10, v[9:10], off
	v_max_f32_e32 v9, v8, v8
	s_delay_alu instid0(VALU_DEP_1) | instskip(NEXT) | instid1(VALU_DEP_1)
	v_max_f32_e32 v9, v9, v11
	v_sub_f32_e32 v12, v8, v9
	s_delay_alu instid0(VALU_DEP_1) | instskip(NEXT) | instid1(VALU_DEP_1)
	v_dual_mul_f32 v14, 0x3fb8aa3b, v12 :: v_dual_sub_f32 v11, s4, v9
	v_rndne_f32_e32 v18, v14
	s_delay_alu instid0(VALU_DEP_2) | instskip(SKIP_2) | instid1(VALU_DEP_4)
	v_mul_f32_e32 v13, 0x3fb8aa3b, v11
	v_fma_f32 v17, 0x3fb8aa3b, v12, -v14
	v_cmp_ngt_f32_e32 vcc_lo, 0xc2ce8ed0, v11
	v_sub_f32_e32 v14, v14, v18
	s_delay_alu instid0(VALU_DEP_4) | instskip(SKIP_2) | instid1(VALU_DEP_3)
	v_fma_f32 v15, 0x3fb8aa3b, v11, -v13
	v_rndne_f32_e32 v16, v13
	v_fmac_f32_e32 v17, 0x32a5705f, v12
	v_fmac_f32_e32 v15, 0x32a5705f, v11
	s_delay_alu instid0(VALU_DEP_2) | instskip(NEXT) | instid1(VALU_DEP_1)
	v_dual_sub_f32 v13, v13, v16 :: v_dual_add_f32 v14, v14, v17
	v_add_f32_e32 v13, v13, v15
	s_delay_alu instid0(VALU_DEP_2) | instskip(SKIP_2) | instid1(VALU_DEP_3)
	v_exp_f32_e32 v14, v14
	v_cvt_i32_f32_e32 v15, v16
	v_cvt_i32_f32_e32 v16, v18
	v_exp_f32_e32 v13, v13
	s_waitcnt_depctr 0xfff
	v_ldexp_f32 v14, v14, v16
	v_ldexp_f32 v13, v13, v15
	s_delay_alu instid0(VALU_DEP_1) | instskip(SKIP_1) | instid1(VALU_DEP_4)
	v_cndmask_b32_e32 v13, 0, v13, vcc_lo
	v_cmp_ngt_f32_e32 vcc_lo, 0xc2ce8ed0, v12
	v_cndmask_b32_e32 v14, 0, v14, vcc_lo
	v_cmp_nlt_f32_e32 vcc_lo, 0x42b17218, v11
	s_delay_alu instid0(VALU_DEP_4) | instskip(SKIP_1) | instid1(VALU_DEP_4)
	v_cndmask_b32_e32 v13, 0x7f800000, v13, vcc_lo
	v_cmp_nlt_f32_e32 vcc_lo, 0x42b17218, v12
	v_cndmask_b32_e32 v14, 0x7f800000, v14, vcc_lo
	v_cmp_le_f32_e32 vcc_lo, 0xc1a00000, v11
	s_delay_alu instid0(VALU_DEP_4) | instskip(SKIP_1) | instid1(VALU_DEP_4)
	v_cndmask_b32_e32 v11, 0, v13, vcc_lo
	v_cmp_le_f32_e32 vcc_lo, 0xc1a00000, v12
	v_cndmask_b32_e32 v12, 0, v14, vcc_lo
	s_waitcnt vmcnt(0)
	s_delay_alu instid0(VALU_DEP_3) | instskip(NEXT) | instid1(VALU_DEP_1)
	v_mul_f32_e32 v10, v10, v11
	v_dual_mul_f32 v11, s5, v11 :: v_dual_fmac_f32 v10, v5, v12
	s_delay_alu instid0(VALU_DEP_1)
	v_fmac_f32_e32 v11, v7, v12
	s_cbranch_execz .LBB58_18
	s_branch .LBB58_19
.LBB58_17:                              ;   in Loop: Header=BB58_9 Depth=1
                                        ; implicit-def: $sgpr13
                                        ; implicit-def: $vgpr10
                                        ; implicit-def: $vgpr9
                                        ; implicit-def: $vgpr11
                                        ; implicit-def: $sgpr1
                                        ; implicit-def: $sgpr19
.LBB58_18:                              ;   in Loop: Header=BB58_9 Depth=1
	s_waitcnt vmcnt(0)
	v_dual_mov_b32 v11, v7 :: v_dual_mov_b32 v10, v5
	v_mov_b32_e32 v9, v8
	s_add_i32 s1, s18, -1
	s_mov_b32 s13, 0
	s_mov_b32 s19, s16
.LBB58_19:                              ;   in Loop: Header=BB58_9 Depth=1
	s_and_not1_b32 vcc_lo, exec_lo, s13
	s_cbranch_vccz .LBB58_23
; %bb.20:                               ;   in Loop: Header=BB58_9 Depth=1
	v_dual_mov_b32 v7, v11 :: v_dual_mov_b32 v8, v9
	s_waitcnt vmcnt(0)
	v_mov_b32_e32 v5, v10
	s_mov_b32 s16, s19
	s_mov_b32 s18, s1
	s_branch .LBB58_9
.LBB58_21:
                                        ; implicit-def: $sgpr16_sgpr17
	s_load_b128 s[8:11], s[0:1], 0x44
	s_branch .LBB58_2
.LBB58_22:
                                        ; implicit-def: $sgpr18_sgpr19
	s_branch .LBB58_5
.LBB58_23:
	v_div_scale_f32 v0, null, v11, v11, v10
	s_delay_alu instid0(VALU_DEP_1) | instskip(SKIP_2) | instid1(VALU_DEP_1)
	v_rcp_f32_e32 v3, v0
	s_waitcnt_depctr 0xfff
	v_fma_f32 v4, -v0, v3, 1.0
	v_fmac_f32_e32 v3, v4, v3
	v_div_scale_f32 v4, vcc_lo, v10, v11, v10
	s_waitcnt vmcnt(0)
	s_delay_alu instid0(VALU_DEP_1) | instskip(NEXT) | instid1(VALU_DEP_1)
	v_mul_f32_e32 v5, v4, v3
	v_fma_f32 v6, -v0, v5, v4
	s_delay_alu instid0(VALU_DEP_1) | instskip(NEXT) | instid1(VALU_DEP_1)
	v_fmac_f32_e32 v5, v6, v3
	v_fma_f32 v0, -v0, v5, v4
	s_delay_alu instid0(VALU_DEP_1) | instskip(NEXT) | instid1(VALU_DEP_1)
	v_div_fmas_f32 v0, v0, v3, v5
	v_div_fixup_f32 v0, v0, v11, v10
	global_store_b32 v[1:2], v0, off
.LBB58_24:
	s_nop 0
	s_sendmsg sendmsg(MSG_DEALLOC_VGPRS)
	s_endpgm
	.section	.rodata,"a",@progbits
	.p2align	6, 0x0
	.amdhsa_kernel _ZL33flash_attn_stream_k_fixup_generalILi40ELi32ELi1EEvPfPK15HIP_vector_typeIfLj2EEiiiiS1_IjLj3EES5_S5_S5_
		.amdhsa_group_segment_fixed_size 0
		.amdhsa_private_segment_fixed_size 0
		.amdhsa_kernarg_size 336
		.amdhsa_user_sgpr_count 13
		.amdhsa_user_sgpr_dispatch_ptr 0
		.amdhsa_user_sgpr_queue_ptr 0
		.amdhsa_user_sgpr_kernarg_segment_ptr 1
		.amdhsa_user_sgpr_dispatch_id 0
		.amdhsa_user_sgpr_private_segment_size 0
		.amdhsa_wavefront_size32 1
		.amdhsa_uses_dynamic_stack 0
		.amdhsa_enable_private_segment 0
		.amdhsa_system_sgpr_workgroup_id_x 1
		.amdhsa_system_sgpr_workgroup_id_y 1
		.amdhsa_system_sgpr_workgroup_id_z 1
		.amdhsa_system_sgpr_workgroup_info 0
		.amdhsa_system_vgpr_workitem_id 0
		.amdhsa_next_free_vgpr 19
		.amdhsa_next_free_sgpr 32
		.amdhsa_reserve_vcc 1
		.amdhsa_float_round_mode_32 0
		.amdhsa_float_round_mode_16_64 0
		.amdhsa_float_denorm_mode_32 3
		.amdhsa_float_denorm_mode_16_64 3
		.amdhsa_dx10_clamp 1
		.amdhsa_ieee_mode 1
		.amdhsa_fp16_overflow 0
		.amdhsa_workgroup_processor_mode 1
		.amdhsa_memory_ordered 1
		.amdhsa_forward_progress 0
		.amdhsa_shared_vgpr_count 0
		.amdhsa_exception_fp_ieee_invalid_op 0
		.amdhsa_exception_fp_denorm_src 0
		.amdhsa_exception_fp_ieee_div_zero 0
		.amdhsa_exception_fp_ieee_overflow 0
		.amdhsa_exception_fp_ieee_underflow 0
		.amdhsa_exception_fp_ieee_inexact 0
		.amdhsa_exception_int_div_zero 0
	.end_amdhsa_kernel
	.section	.text._ZL33flash_attn_stream_k_fixup_generalILi40ELi32ELi1EEvPfPK15HIP_vector_typeIfLj2EEiiiiS1_IjLj3EES5_S5_S5_,"axG",@progbits,_ZL33flash_attn_stream_k_fixup_generalILi40ELi32ELi1EEvPfPK15HIP_vector_typeIfLj2EEiiiiS1_IjLj3EES5_S5_S5_,comdat
.Lfunc_end58:
	.size	_ZL33flash_attn_stream_k_fixup_generalILi40ELi32ELi1EEvPfPK15HIP_vector_typeIfLj2EEiiiiS1_IjLj3EES5_S5_S5_, .Lfunc_end58-_ZL33flash_attn_stream_k_fixup_generalILi40ELi32ELi1EEvPfPK15HIP_vector_typeIfLj2EEiiiiS1_IjLj3EES5_S5_S5_
                                        ; -- End function
	.section	.AMDGPU.csdata,"",@progbits
; Kernel info:
; codeLenInByte = 3216
; NumSgprs: 34
; NumVgprs: 19
; ScratchSize: 0
; MemoryBound: 0
; FloatMode: 240
; IeeeMode: 1
; LDSByteSize: 0 bytes/workgroup (compile time only)
; SGPRBlocks: 4
; VGPRBlocks: 2
; NumSGPRsForWavesPerEU: 34
; NumVGPRsForWavesPerEU: 19
; Occupancy: 16
; WaveLimiterHint : 0
; COMPUTE_PGM_RSRC2:SCRATCH_EN: 0
; COMPUTE_PGM_RSRC2:USER_SGPR: 13
; COMPUTE_PGM_RSRC2:TRAP_HANDLER: 0
; COMPUTE_PGM_RSRC2:TGID_X_EN: 1
; COMPUTE_PGM_RSRC2:TGID_Y_EN: 1
; COMPUTE_PGM_RSRC2:TGID_Z_EN: 1
; COMPUTE_PGM_RSRC2:TIDIG_COMP_CNT: 0
	.section	.text._ZL15flash_attn_tileILi40ELi40ELi16ELi1ELb0EEvPKcS1_S1_S1_S1_PKiPfP15HIP_vector_typeIfLj2EEffffjfiS5_IjLj3EEiiiiiiiiiiiliiliiiiil,"axG",@progbits,_ZL15flash_attn_tileILi40ELi40ELi16ELi1ELb0EEvPKcS1_S1_S1_S1_PKiPfP15HIP_vector_typeIfLj2EEffffjfiS5_IjLj3EEiiiiiiiiiiiliiliiiiil,comdat
	.globl	_ZL15flash_attn_tileILi40ELi40ELi16ELi1ELb0EEvPKcS1_S1_S1_S1_PKiPfP15HIP_vector_typeIfLj2EEffffjfiS5_IjLj3EEiiiiiiiiiiiliiliiiiil ; -- Begin function _ZL15flash_attn_tileILi40ELi40ELi16ELi1ELb0EEvPKcS1_S1_S1_S1_PKiPfP15HIP_vector_typeIfLj2EEffffjfiS5_IjLj3EEiiiiiiiiiiiliiliiiiil
	.p2align	8
	.type	_ZL15flash_attn_tileILi40ELi40ELi16ELi1ELb0EEvPKcS1_S1_S1_S1_PKiPfP15HIP_vector_typeIfLj2EEffffjfiS5_IjLj3EEiiiiiiiiiiiliiliiiiil,@function
_ZL15flash_attn_tileILi40ELi40ELi16ELi1ELb0EEvPKcS1_S1_S1_S1_PKiPfP15HIP_vector_typeIfLj2EEffffjfiS5_IjLj3EEiiiiiiiiiiiliiliiiiil: ; @_ZL15flash_attn_tileILi40ELi40ELi16ELi1ELb0EEvPKcS1_S1_S1_S1_PKiPfP15HIP_vector_typeIfLj2EEffffjfiS5_IjLj3EEiiiiiiiiiiiliiliiiiil
; %bb.0:
	s_clause 0x1
	s_load_b128 s[36:39], s[2:3], 0x5c
	s_load_b64 s[40:41], s[2:3], 0x80
	s_mov_b64 s[34:35], 0
	s_waitcnt lgkmcnt(0)
	v_cvt_f32_u32_e32 v1, s39
	s_sub_i32 s5, 0, s39
	s_delay_alu instid0(VALU_DEP_1) | instskip(SKIP_2) | instid1(VALU_DEP_1)
	v_rcp_iflag_f32_e32 v1, v1
	s_waitcnt_depctr 0xfff
	v_mul_f32_e32 v1, 0x4f7ffffe, v1
	v_cvt_u32_f32_e32 v1, v1
	s_delay_alu instid0(VALU_DEP_1) | instskip(NEXT) | instid1(VALU_DEP_1)
	v_readfirstlane_b32 s4, v1
	s_mul_i32 s5, s5, s4
	s_delay_alu instid0(SALU_CYCLE_1) | instskip(NEXT) | instid1(SALU_CYCLE_1)
	s_mul_hi_u32 s5, s4, s5
	s_add_i32 s4, s4, s5
	s_delay_alu instid0(SALU_CYCLE_1) | instskip(NEXT) | instid1(SALU_CYCLE_1)
	s_mul_hi_u32 s4, s15, s4
	s_mul_i32 s5, s4, s39
	s_add_i32 s6, s4, 1
	s_sub_i32 s5, s15, s5
	s_delay_alu instid0(SALU_CYCLE_1)
	s_sub_i32 s7, s5, s39
	s_cmp_ge_u32 s5, s39
	s_cselect_b32 s4, s6, s4
	s_cselect_b32 s5, s7, s5
	s_add_i32 s6, s4, 1
	s_cmp_ge_u32 s5, s39
	s_cselect_b32 s33, s6, s4
	s_abs_i32 s4, s41
	s_abs_i32 s7, s39
	v_cvt_f32_u32_e32 v1, s4
	s_sub_i32 s6, 0, s4
	s_delay_alu instid0(VALU_DEP_1) | instskip(SKIP_2) | instid1(VALU_DEP_1)
	v_rcp_iflag_f32_e32 v1, v1
	s_waitcnt_depctr 0xfff
	v_mul_f32_e32 v1, 0x4f7ffffe, v1
	v_cvt_u32_f32_e32 v1, v1
	s_delay_alu instid0(VALU_DEP_1) | instskip(NEXT) | instid1(VALU_DEP_1)
	v_readfirstlane_b32 s5, v1
	s_mul_i32 s6, s6, s5
	s_delay_alu instid0(SALU_CYCLE_1) | instskip(NEXT) | instid1(SALU_CYCLE_1)
	s_mul_hi_u32 s6, s5, s6
	s_add_i32 s5, s5, s6
	s_xor_b32 s6, s39, s41
	s_mul_hi_u32 s5, s7, s5
	s_ashr_i32 s6, s6, 31
	s_mul_i32 s8, s5, s4
	s_delay_alu instid0(SALU_CYCLE_1)
	s_sub_i32 s7, s7, s8
	s_add_i32 s8, s5, 1
	s_sub_i32 s9, s7, s4
	s_cmp_ge_u32 s7, s4
	s_cselect_b32 s5, s8, s5
	s_cselect_b32 s7, s9, s7
	s_add_i32 s8, s5, 1
	s_cmp_ge_u32 s7, s4
	s_cselect_b32 s4, s8, s5
	s_delay_alu instid0(SALU_CYCLE_1) | instskip(NEXT) | instid1(SALU_CYCLE_1)
	s_xor_b32 s4, s4, s6
	s_sub_i32 s41, s4, s6
	s_clause 0x1
	s_load_b512 s[16:31], s[2:3], 0x0
	s_load_b64 s[6:7], s[2:3], 0xb8
	s_abs_i32 s12, s41
	s_mul_i32 s4, s33, s39
	v_cvt_f32_u32_e32 v1, s12
	s_sub_i32 s5, 0, s12
	s_delay_alu instid0(VALU_DEP_1) | instskip(SKIP_4) | instid1(VALU_DEP_1)
	v_rcp_iflag_f32_e32 v1, v1
	s_waitcnt_depctr 0xfff
	v_mul_f32_e32 v1, 0x4f7ffffe, v1
	s_waitcnt lgkmcnt(0)
	s_cmp_eq_u64 s[22:23], 0
	v_cvt_u32_f32_e32 v1, v1
	s_delay_alu instid0(VALU_DEP_1) | instskip(NEXT) | instid1(VALU_DEP_1)
	v_readfirstlane_b32 s42, v1
	s_mul_i32 s5, s5, s42
	s_cbranch_scc1 .LBB59_2
; %bb.1:
	s_abs_i32 s6, s6
	s_abs_i32 s10, s33
	v_cvt_f32_u32_e32 v1, s6
	s_sub_i32 s9, 0, s6
	s_delay_alu instid0(VALU_DEP_1) | instskip(SKIP_2) | instid1(VALU_DEP_1)
	v_rcp_iflag_f32_e32 v1, v1
	s_waitcnt_depctr 0xfff
	v_mul_f32_e32 v1, 0x4f7ffffe, v1
	v_cvt_u32_f32_e32 v1, v1
	s_delay_alu instid0(VALU_DEP_1) | instskip(NEXT) | instid1(VALU_DEP_1)
	v_readfirstlane_b32 s8, v1
	s_mul_i32 s9, s9, s8
	s_delay_alu instid0(SALU_CYCLE_1) | instskip(NEXT) | instid1(SALU_CYCLE_1)
	s_mul_hi_u32 s9, s8, s9
	s_add_i32 s11, s8, s9
	s_load_b64 s[8:9], s[2:3], 0xc8
	s_mul_hi_u32 s11, s10, s11
	s_delay_alu instid0(SALU_CYCLE_1) | instskip(NEXT) | instid1(SALU_CYCLE_1)
	s_mul_i32 s11, s11, s6
	s_sub_i32 s10, s10, s11
	s_ashr_i32 s11, s33, 31
	s_sub_i32 s34, s10, s6
	s_cmp_ge_u32 s10, s6
	s_cselect_b32 s10, s34, s10
	s_delay_alu instid0(SALU_CYCLE_1) | instskip(SKIP_2) | instid1(SALU_CYCLE_1)
	s_sub_i32 s34, s10, s6
	s_cmp_ge_u32 s10, s6
	s_cselect_b32 s6, s34, s10
	s_xor_b32 s6, s6, s11
	s_delay_alu instid0(SALU_CYCLE_1)
	s_sub_i32 s6, s6, s11
	s_waitcnt lgkmcnt(0)
	s_mul_i32 s9, s6, s9
	s_mul_hi_u32 s10, s6, s8
	s_ashr_i32 s11, s6, 31
	s_add_i32 s9, s10, s9
	s_mul_i32 s11, s11, s8
	s_mul_i32 s6, s6, s8
	s_add_i32 s9, s9, s11
	s_add_u32 s34, s22, s6
	s_addc_u32 s35, s23, s9
.LBB59_2:
	s_clause 0x1
	s_load_b128 s[8:11], s[2:3], 0x40
	s_load_b32 s6, s[2:3], 0x50
	v_mov_b32_e32 v23, 1.0
	s_sub_i32 s22, s15, s4
	s_waitcnt lgkmcnt(0)
	v_cmp_le_f32_e64 s9, s9, 0
	s_delay_alu instid0(VALU_DEP_1)
	s_and_b32 vcc_lo, exec_lo, s9
	s_mul_hi_u32 s9, s42, s5
	s_cbranch_vccnz .LBB59_4
; %bb.3:
	s_sub_i32 s4, s22, s6
	s_add_i32 s5, s22, 1
	s_lshl_b32 s4, s4, 1
	v_mov_b32_e32 v1, s10
	s_or_b32 s4, s4, 1
	s_cmp_lt_u32 s22, s6
	s_cselect_b32 vcc_lo, -1, 0
	s_delay_alu instid0(VALU_DEP_1)
	v_cndmask_b32_e32 v3, s11, v1, vcc_lo
	s_and_b32 s6, vcc_lo, exec_lo
	s_cselect_b32 s4, s5, s4
	s_mov_b32 s5, 0x3e76c4e1
	v_cvt_f32_i32_e32 v1, s4
	v_cmp_neq_f32_e32 vcc_lo, 1.0, v3
	s_delay_alu instid0(VALU_DEP_2) | instskip(NEXT) | instid1(VALU_DEP_1)
	v_cndmask_b32_e32 v4, 1.0, v1, vcc_lo
	v_cmp_eq_f32_e32 vcc_lo, 0, v4
	v_cndmask_b32_e64 v5, |v3|, 1.0, vcc_lo
	s_delay_alu instid0(VALU_DEP_1) | instskip(NEXT) | instid1(VALU_DEP_1)
	v_frexp_mant_f32_e32 v1, v5
	v_cmp_gt_f32_e64 s4, 0x3f2aaaab, v1
	s_delay_alu instid0(VALU_DEP_1) | instskip(NEXT) | instid1(VALU_DEP_1)
	v_cndmask_b32_e64 v2, 1.0, 2.0, s4
	v_mul_f32_e32 v1, v1, v2
	s_delay_alu instid0(VALU_DEP_1) | instskip(SKIP_1) | instid1(VALU_DEP_2)
	v_add_f32_e32 v2, 1.0, v1
	v_add_f32_e32 v7, -1.0, v1
	v_rcp_f32_e32 v6, v2
	s_waitcnt_depctr 0xfff
	v_mul_f32_e32 v8, v7, v6
	s_delay_alu instid0(VALU_DEP_1) | instskip(NEXT) | instid1(VALU_DEP_1)
	v_dual_add_f32 v9, -1.0, v2 :: v_dual_mul_f32 v10, v2, v8
	v_sub_f32_e32 v1, v1, v9
	v_cndmask_b32_e64 v3, v3, 1.0, vcc_lo
	s_delay_alu instid0(VALU_DEP_3) | instskip(NEXT) | instid1(VALU_DEP_2)
	v_fma_f32 v2, v8, v2, -v10
	v_cmp_eq_f32_e64 s6, 0, v3
	s_delay_alu instid0(VALU_DEP_2) | instskip(NEXT) | instid1(VALU_DEP_1)
	v_fmac_f32_e32 v2, v8, v1
	v_add_f32_e32 v1, v10, v2
	s_delay_alu instid0(VALU_DEP_1) | instskip(NEXT) | instid1(VALU_DEP_1)
	v_dual_sub_f32 v10, v1, v10 :: v_dual_sub_f32 v9, v7, v1
	v_dual_sub_f32 v2, v10, v2 :: v_dual_sub_f32 v7, v7, v9
	s_delay_alu instid0(VALU_DEP_1) | instskip(NEXT) | instid1(VALU_DEP_1)
	v_sub_f32_e32 v1, v7, v1
	v_add_f32_e32 v1, v2, v1
	s_delay_alu instid0(VALU_DEP_1) | instskip(NEXT) | instid1(VALU_DEP_1)
	v_add_f32_e32 v1, v9, v1
	v_mul_f32_e32 v1, v6, v1
	s_delay_alu instid0(VALU_DEP_1) | instskip(NEXT) | instid1(VALU_DEP_1)
	v_add_f32_e32 v6, v8, v1
	v_sub_f32_e32 v2, v6, v8
	v_mul_f32_e32 v7, v6, v6
	s_delay_alu instid0(VALU_DEP_2) | instskip(NEXT) | instid1(VALU_DEP_2)
	v_sub_f32_e32 v8, v1, v2
	v_fma_f32 v9, v6, v6, -v7
	s_delay_alu instid0(VALU_DEP_2) | instskip(NEXT) | instid1(VALU_DEP_1)
	v_add_f32_e32 v1, v8, v8
	v_fmac_f32_e32 v9, v6, v1
	v_cvt_f64_f32_e32 v[1:2], v5
	s_delay_alu instid0(VALU_DEP_2) | instskip(NEXT) | instid1(VALU_DEP_1)
	v_add_f32_e32 v10, v7, v9
	v_fmaak_f32 v11, s5, v10, 0x3e91f4c4
	v_sub_f32_e32 v7, v10, v7
	v_mul_f32_e32 v14, v6, v10
	s_delay_alu instid0(VALU_DEP_3) | instskip(NEXT) | instid1(VALU_DEP_3)
	v_fmaak_f32 v11, v10, v11, 0x3ecccdef
	v_sub_f32_e32 v7, v9, v7
	s_delay_alu instid0(VALU_DEP_2) | instskip(NEXT) | instid1(VALU_DEP_1)
	v_mul_f32_e32 v12, v10, v11
	v_fma_f32 v9, v10, v11, -v12
	s_delay_alu instid0(VALU_DEP_1) | instskip(NEXT) | instid1(VALU_DEP_1)
	v_fmac_f32_e32 v9, v7, v11
	v_add_f32_e32 v11, v12, v9
	v_frexp_exp_i32_f64_e32 v1, v[1:2]
	s_delay_alu instid0(VALU_DEP_2) | instskip(NEXT) | instid1(VALU_DEP_1)
	v_sub_f32_e32 v12, v11, v12
	v_sub_f32_e32 v2, v9, v12
	v_fma_f32 v12, v10, v6, -v14
	s_delay_alu instid0(VALU_DEP_2) | instskip(NEXT) | instid1(VALU_DEP_2)
	v_add_f32_e32 v2, 0x31739010, v2
	v_dual_add_f32 v13, 0x3f2aaaaa, v11 :: v_dual_fmac_f32 v12, v10, v8
	v_ldexp_f32 v8, v8, 1
	s_delay_alu instid0(VALU_DEP_2) | instskip(NEXT) | instid1(VALU_DEP_1)
	v_dual_add_f32 v9, 0xbf2aaaaa, v13 :: v_dual_fmac_f32 v12, v7, v6
	v_sub_f32_e32 v9, v11, v9
	s_delay_alu instid0(VALU_DEP_1) | instskip(NEXT) | instid1(VALU_DEP_3)
	v_add_f32_e32 v2, v2, v9
	v_add_f32_e32 v9, v14, v12
	s_delay_alu instid0(VALU_DEP_2) | instskip(NEXT) | instid1(VALU_DEP_1)
	v_add_f32_e32 v7, v13, v2
	v_sub_f32_e32 v10, v13, v7
	s_delay_alu instid0(VALU_DEP_3) | instskip(SKIP_2) | instid1(VALU_DEP_4)
	v_mul_f32_e32 v11, v9, v7
	v_sub_f32_e32 v13, v9, v14
	v_subrev_co_ci_u32_e64 v1, s4, 0, v1, s4
	v_add_f32_e32 v2, v2, v10
	s_delay_alu instid0(VALU_DEP_4) | instskip(NEXT) | instid1(VALU_DEP_4)
	v_fma_f32 v10, v9, v7, -v11
	v_sub_f32_e32 v12, v12, v13
	s_delay_alu instid0(VALU_DEP_4) | instskip(NEXT) | instid1(VALU_DEP_3)
	v_cvt_f32_i32_e32 v1, v1
	v_fmac_f32_e32 v10, v9, v2
	v_ldexp_f32 v2, v6, 1
	s_delay_alu instid0(VALU_DEP_2) | instskip(NEXT) | instid1(VALU_DEP_1)
	v_fmac_f32_e32 v10, v12, v7
	v_add_f32_e32 v6, v11, v10
	s_delay_alu instid0(VALU_DEP_1) | instskip(NEXT) | instid1(VALU_DEP_1)
	v_add_f32_e32 v7, v2, v6
	v_dual_sub_f32 v2, v7, v2 :: v_dual_sub_f32 v9, v6, v11
	s_delay_alu instid0(VALU_DEP_1) | instskip(NEXT) | instid1(VALU_DEP_2)
	v_sub_f32_e32 v2, v6, v2
	v_sub_f32_e32 v9, v10, v9
	s_delay_alu instid0(VALU_DEP_1) | instskip(NEXT) | instid1(VALU_DEP_1)
	v_add_f32_e32 v6, v8, v9
	v_dual_mul_f32 v11, 0x3f317218, v1 :: v_dual_add_f32 v2, v6, v2
	s_delay_alu instid0(VALU_DEP_1) | instskip(NEXT) | instid1(VALU_DEP_2)
	v_fma_f32 v10, 0x3f317218, v1, -v11
	v_add_f32_e32 v8, v7, v2
	s_delay_alu instid0(VALU_DEP_1) | instskip(NEXT) | instid1(VALU_DEP_1)
	v_sub_f32_e32 v7, v8, v7
	v_dual_fmamk_f32 v1, v1, 0xb102e308, v10 :: v_dual_sub_f32 v2, v2, v7
	s_delay_alu instid0(VALU_DEP_1) | instskip(NEXT) | instid1(VALU_DEP_1)
	v_add_f32_e32 v6, v11, v1
	v_add_f32_e32 v9, v6, v8
	s_delay_alu instid0(VALU_DEP_1) | instskip(NEXT) | instid1(VALU_DEP_1)
	v_dual_sub_f32 v11, v6, v11 :: v_dual_sub_f32 v10, v9, v6
	v_sub_f32_e32 v12, v9, v10
	s_delay_alu instid0(VALU_DEP_2) | instskip(NEXT) | instid1(VALU_DEP_2)
	v_sub_f32_e32 v1, v1, v11
	v_dual_sub_f32 v7, v8, v10 :: v_dual_sub_f32 v6, v6, v12
	s_delay_alu instid0(VALU_DEP_2) | instskip(NEXT) | instid1(VALU_DEP_2)
	v_add_f32_e32 v8, v1, v2
	v_add_f32_e32 v6, v7, v6
	s_delay_alu instid0(VALU_DEP_1) | instskip(NEXT) | instid1(VALU_DEP_1)
	v_add_f32_e32 v6, v8, v6
	v_dual_sub_f32 v7, v8, v1 :: v_dual_add_f32 v10, v9, v6
	s_delay_alu instid0(VALU_DEP_1) | instskip(SKIP_1) | instid1(VALU_DEP_3)
	v_sub_f32_e32 v8, v8, v7
	v_sub_f32_e32 v2, v2, v7
	;; [unrolled: 1-line block ×3, first 2 shown]
	s_delay_alu instid0(VALU_DEP_3) | instskip(NEXT) | instid1(VALU_DEP_1)
	v_sub_f32_e32 v1, v1, v8
	v_add_f32_e32 v1, v2, v1
	s_delay_alu instid0(VALU_DEP_3) | instskip(NEXT) | instid1(VALU_DEP_1)
	v_sub_f32_e32 v2, v6, v7
	v_add_f32_e32 v1, v1, v2
	s_delay_alu instid0(VALU_DEP_1) | instskip(NEXT) | instid1(VALU_DEP_1)
	v_add_f32_e32 v2, v10, v1
	v_mul_f32_e32 v7, v4, v2
	v_sub_f32_e32 v6, v2, v10
	s_delay_alu instid0(VALU_DEP_2) | instskip(NEXT) | instid1(VALU_DEP_2)
	v_fma_f32 v2, v4, v2, -v7
	v_sub_f32_e32 v1, v1, v6
	v_cmp_class_f32_e64 s4, v7, 0x204
	s_delay_alu instid0(VALU_DEP_2) | instskip(NEXT) | instid1(VALU_DEP_1)
	v_fmac_f32_e32 v2, v4, v1
	v_add_f32_e32 v1, v7, v2
	s_delay_alu instid0(VALU_DEP_1) | instskip(NEXT) | instid1(VALU_DEP_1)
	v_cndmask_b32_e64 v6, v1, v7, s4
	v_cmp_eq_f32_e64 s4, 0x42b17218, v6
	s_delay_alu instid0(VALU_DEP_1) | instskip(SKIP_1) | instid1(VALU_DEP_2)
	v_cndmask_b32_e64 v8, 0, 0x37000000, s4
	v_cmp_neq_f32_e64 s4, 0x7f800000, |v6|
	v_sub_f32_e32 v9, v6, v8
	v_trunc_f32_e32 v6, v4
	s_delay_alu instid0(VALU_DEP_2) | instskip(NEXT) | instid1(VALU_DEP_1)
	v_mul_f32_e32 v10, 0x3fb8aa3b, v9
	v_fma_f32 v11, 0x3fb8aa3b, v9, -v10
	v_rndne_f32_e32 v12, v10
	s_delay_alu instid0(VALU_DEP_1) | instskip(NEXT) | instid1(VALU_DEP_1)
	v_dual_fmamk_f32 v11, v9, 0x32a5705f, v11 :: v_dual_sub_f32 v10, v10, v12
	v_add_f32_e32 v10, v10, v11
	v_sub_f32_e32 v1, v1, v7
	v_cvt_i32_f32_e32 v7, v12
	s_delay_alu instid0(VALU_DEP_3) | instskip(NEXT) | instid1(VALU_DEP_2)
	v_exp_f32_e32 v10, v10
	v_sub_f32_e32 v1, v2, v1
	s_delay_alu instid0(VALU_DEP_1)
	v_cndmask_b32_e64 v1, 0, v1, s4
	v_cmp_ngt_f32_e64 s4, 0xc2ce8ed0, v9
	s_waitcnt_depctr 0xfff
	v_ldexp_f32 v2, v10, v7
	v_mul_f32_e32 v7, 0.5, v4
	v_add_f32_e32 v1, v8, v1
	s_delay_alu instid0(VALU_DEP_3) | instskip(NEXT) | instid1(VALU_DEP_3)
	v_cndmask_b32_e64 v2, 0, v2, s4
	v_trunc_f32_e32 v10, v7
	v_cmp_nlt_f32_e64 s4, 0x42b17218, v9
	s_delay_alu instid0(VALU_DEP_2) | instskip(NEXT) | instid1(VALU_DEP_2)
	v_cmp_neq_f32_e64 s5, v10, v7
	v_cndmask_b32_e64 v2, 0x7f800000, v2, s4
	v_cmp_eq_f32_e64 s4, v6, v4
	s_delay_alu instid0(VALU_DEP_2) | instskip(NEXT) | instid1(VALU_DEP_2)
	v_fma_f32 v1, v2, v1, v2
	s_and_b32 vcc_lo, s4, s5
	v_cmp_class_f32_e64 s5, v2, 0x204
	v_cndmask_b32_e32 v6, 1.0, v3, vcc_lo
	s_delay_alu instid0(VALU_DEP_2) | instskip(SKIP_1) | instid1(VALU_DEP_2)
	v_cndmask_b32_e64 v1, v1, v2, s5
	v_cmp_gt_f32_e64 s5, 0, v4
	v_bfi_b32 v1, 0x7fffffff, v1, v6
	v_cndmask_b32_e32 v6, 0, v3, vcc_lo
	s_delay_alu instid0(VALU_DEP_3)
	s_xor_b32 s5, s5, s6
	v_cmp_eq_f32_e32 vcc_lo, 0x7f800000, v5
	v_cndmask_b32_e64 v2, 0x7f800000, 0, s5
	v_cndmask_b32_e64 v4, 0x7fc00000, v1, s4
	v_cmp_gt_f32_e64 s4, 0, v3
	s_or_b32 vcc_lo, vcc_lo, s6
	s_delay_alu instid0(VALU_DEP_3) | instskip(NEXT) | instid1(VALU_DEP_2)
	v_bfi_b32 v2, 0x7fffffff, v2, v6
	v_cndmask_b32_e64 v1, v1, v4, s4
	s_delay_alu instid0(VALU_DEP_1) | instskip(SKIP_1) | instid1(VALU_DEP_2)
	v_cndmask_b32_e32 v1, v1, v2, vcc_lo
	v_cmp_o_f32_e32 vcc_lo, v3, v3
	v_cndmask_b32_e32 v23, 0x7fc00000, v1, vcc_lo
.LBB59_4:
	s_load_b128 s[44:47], s[2:3], 0x70
	v_and_b32_e32 v12, 0x3ff, v0
	v_bfe_u32 v22, v0, 10, 10
	s_abs_i32 s5, s22
	s_add_i32 s42, s42, s9
	s_lshl_b32 s15, s13, 4
	v_lshlrev_b32_e32 v1, 3, v12
	v_lshlrev_b32_e32 v15, 1, v22
	v_cmp_gt_u32_e64 s4, 20, v12
	s_delay_alu instid0(VALU_DEP_2)
	v_add_nc_u32_e32 v16, s15, v15
	s_waitcnt lgkmcnt(0)
	s_mul_i32 s6, s33, s46
	s_mul_i32 s9, s22, s45
	s_ashr_i32 s10, s6, 31
	s_add_u32 s6, s16, s6
	s_addc_u32 s10, s17, s10
	s_ashr_i32 s11, s9, 31
	s_add_u32 s6, s6, s9
	s_addc_u32 s9, s10, s11
	v_add_co_u32 v1, s6, s6, v1
	s_delay_alu instid0(VALU_DEP_1) | instskip(SKIP_1) | instid1(SALU_CYCLE_1)
	v_add_co_ci_u32_e64 v2, null, s9, 0, s6
	s_ashr_i32 s45, s44, 31
	s_lshr_b64 s[10:11], s[44:45], 2
	s_and_saveexec_b32 s6, s4
	s_cbranch_execz .LBB59_6
; %bb.5:
	v_mul_hi_u32 v3, v16, s36
	s_delay_alu instid0(VALU_DEP_1) | instskip(NEXT) | instid1(VALU_DEP_1)
	v_add_nc_u32_e32 v3, v16, v3
	v_lshrrev_b32_e32 v3, s37, v3
	s_delay_alu instid0(VALU_DEP_1) | instskip(NEXT) | instid1(VALU_DEP_1)
	v_mul_lo_u32 v3, v3, s38
	v_sub_nc_u32_e32 v7, v16, v3
	s_delay_alu instid0(VALU_DEP_1) | instskip(NEXT) | instid1(VALU_DEP_1)
	v_mad_u64_u32 v[3:4], null, s10, v7, 0
	v_mad_u64_u32 v[5:6], null, s11, v7, v[4:5]
	s_delay_alu instid0(VALU_DEP_1) | instskip(SKIP_1) | instid1(VALU_DEP_2)
	v_mov_b32_e32 v4, v5
	v_mul_u32_u24_e32 v5, 40, v22
	v_lshlrev_b64 v[3:4], 2, v[3:4]
	s_delay_alu instid0(VALU_DEP_1) | instskip(NEXT) | instid1(VALU_DEP_2)
	v_add_co_u32 v3, vcc_lo, v1, v3
	v_add_co_ci_u32_e32 v4, vcc_lo, v2, v4, vcc_lo
	global_load_b64 v[3:4], v[3:4], off
	s_waitcnt vmcnt(0)
	v_fma_mixlo_f16 v3, v3, s8, 0
	s_delay_alu instid0(VALU_DEP_1)
	v_fma_mixhi_f16 v3, v4, s8, 0
	v_add_lshl_u32 v4, v5, v12, 2
	ds_store_b32 v4, v3 offset:3168
.LBB59_6:
	s_or_b32 exec_lo, exec_lo, s6
	v_or_b32_e32 v13, 1, v15
	s_mul_hi_u32 s6, s5, s42
	s_delay_alu instid0(VALU_DEP_1)
	v_add_nc_u32_e32 v14, s15, v13
	s_and_saveexec_b32 s9, s4
	s_cbranch_execz .LBB59_8
; %bb.7:
	s_delay_alu instid0(VALU_DEP_1) | instskip(NEXT) | instid1(VALU_DEP_1)
	v_mul_hi_u32 v3, v14, s36
	v_add_nc_u32_e32 v3, v14, v3
	s_delay_alu instid0(VALU_DEP_1) | instskip(NEXT) | instid1(VALU_DEP_1)
	v_lshrrev_b32_e32 v3, s37, v3
	v_mul_lo_u32 v3, v3, s38
	s_delay_alu instid0(VALU_DEP_1) | instskip(NEXT) | instid1(VALU_DEP_1)
	v_sub_nc_u32_e32 v7, v14, v3
	v_mad_u64_u32 v[3:4], null, s10, v7, 0
	s_delay_alu instid0(VALU_DEP_1) | instskip(NEXT) | instid1(VALU_DEP_1)
	v_mad_u64_u32 v[5:6], null, s11, v7, v[4:5]
	v_mov_b32_e32 v4, v5
	s_delay_alu instid0(VALU_DEP_1) | instskip(NEXT) | instid1(VALU_DEP_1)
	v_lshlrev_b64 v[3:4], 2, v[3:4]
	v_add_co_u32 v1, vcc_lo, v1, v3
	s_delay_alu instid0(VALU_DEP_2) | instskip(SKIP_4) | instid1(VALU_DEP_1)
	v_add_co_ci_u32_e32 v2, vcc_lo, v2, v4, vcc_lo
	v_mul_u32_u24_e32 v3, 20, v13
	global_load_b64 v[1:2], v[1:2], off
	s_waitcnt vmcnt(0)
	v_fma_mixlo_f16 v1, v1, s8, 0
	v_fma_mixhi_f16 v1, v2, s8, 0
	v_add_lshl_u32 v2, v3, v12, 2
	ds_store_b32 v2, v1 offset:3168
.LBB59_8:
	s_or_b32 exec_lo, exec_lo, s9
	s_ashr_i32 s23, s22, 31
	s_ashr_i32 s17, s41, 31
	s_cmp_eq_u64 s[26:27], 0
	s_waitcnt lgkmcnt(0)
	s_barrier
	buffer_gl0_inv
	s_cbranch_scc1 .LBB59_10
; %bb.9:
	s_load_b32 s8, s[2:3], 0xd0
	s_mov_b32 s9, 0
	s_waitcnt lgkmcnt(0)
	s_mul_i32 s8, s8, s33
	s_delay_alu instid0(SALU_CYCLE_1) | instskip(NEXT) | instid1(SALU_CYCLE_1)
	s_add_i32 s8, s8, s13
	s_lshl_b64 s[8:9], s[8:9], 2
	s_delay_alu instid0(SALU_CYCLE_1)
	s_add_u32 s8, s26, s8
	s_addc_u32 s9, s27, s9
	s_load_b32 s40, s[8:9], 0x0
.LBB59_10:
	s_clause 0x2
	s_load_b64 s[42:43], s[2:3], 0x8c
	s_load_b128 s[8:11], s[2:3], 0x98
	s_load_b64 s[44:45], s[2:3], 0xa8
	s_ashr_i32 s26, s7, 1
	s_ashr_i32 s7, s33, 31
	s_mul_i32 s13, s6, s12
	v_mov_b32_e32 v25, 0
	v_mov_b32_e32 v19, 0
	v_lshl_add_u32 v24, v22, 5, v12
	v_lshrrev_b32_e32 v3, 2, v12
	v_mul_u32_u24_e32 v28, 0x60, v12
	v_mul_u32_u24_e32 v27, 0xa0, v22
	v_lshlrev_b32_e32 v21, 2, v12
	v_lshl_add_u32 v20, v22, 7, 0x1160
	v_mbcnt_lo_u32_b32 v18, -1, 0
	s_mov_b32 s46, 0xfeffffff
	s_waitcnt lgkmcnt(0)
	s_ashr_i32 s27, s42, 2
	s_ashr_i32 s16, s10, 2
	s_mul_i32 s9, s33, s9
	s_mul_hi_u32 s10, s33, s8
	s_mul_i32 s41, s7, s8
	s_add_i32 s9, s10, s9
	s_mul_i32 s8, s33, s8
	s_add_i32 s9, s9, s41
	s_add_u32 s8, s18, s8
	s_addc_u32 s9, s19, s9
	s_sub_i32 s5, s5, s13
	s_xor_b32 s10, s23, s17
	s_add_i32 s13, s6, 1
	s_sub_i32 s17, s5, s12
	s_cmp_ge_u32 s5, s12
	s_mul_i32 s7, s7, s44
	s_cselect_b32 s6, s13, s6
	s_cselect_b32 s5, s17, s5
	s_add_i32 s13, s6, 1
	s_cmp_ge_u32 s5, s12
	s_mul_hi_u32 s12, s33, s44
	s_cselect_b32 s5, s13, s6
	s_mul_i32 s6, s33, s45
	s_xor_b32 s5, s5, s10
	s_mul_i32 s13, s33, s44
	s_sub_i32 s5, s5, s10
	s_delay_alu instid0(SALU_CYCLE_1)
	s_mul_i32 s10, s5, s43
	s_mul_i32 s5, s5, s11
	s_ashr_i32 s17, s10, 31
	s_add_u32 s19, s8, s10
	s_addc_u32 s41, s9, s17
	s_add_i32 s6, s12, s6
	s_delay_alu instid0(SALU_CYCLE_1)
	s_add_i32 s6, s6, s7
	s_add_u32 s7, s20, s13
	s_addc_u32 s6, s21, s6
	s_ashr_i32 s8, s5, 31
	s_add_u32 s11, s7, s5
	s_addc_u32 s17, s6, s8
	s_lshl_b32 s18, s14, 5
	s_sub_i32 s20, s40, 32
	s_delay_alu instid0(SALU_CYCLE_1)
	s_cmp_ge_i32 s18, s20
	s_cbranch_scc1 .LBB59_26
; %bb.11:
	v_or_b32_e32 v8, 1, v16
	v_mul_hi_u32 v2, s36, v16
	v_mov_b32_e32 v17, 0
	v_lshl_add_u32 v7, v22, 3, v3
	v_dual_mov_b32 v40, 0xfeffffff :: v_dual_and_b32 v19, 12, v21
	v_mul_hi_u32 v5, s36, v8
	v_mul_lo_u32 v1, s27, v24
	v_mul_lo_u32 v4, s16, v24
	v_add_nc_u32_e32 v2, v16, v2
	v_mul_lo_u32 v6, s27, v7
	v_mul_lo_u32 v10, s16, v7
	v_dual_mov_b32 v38, 0 :: v_dual_lshlrev_b32 v9, 2, v19
	v_add_nc_u32_e32 v5, v8, v5
	v_lshrrev_b32_e32 v2, s37, v2
	v_cmp_gt_u32_e64 s6, 32, v7
	s_delay_alu instid0(VALU_DEP_4)
	v_mad_u32_u24 v31, 0x60, v7, v9
	v_mad_u32_u24 v32, 0x50, v7, v9
	v_lshrrev_b32_e32 v5, s37, v5
	v_mul_lo_u32 v11, v2, s38
	v_ashrrev_i32_e32 v2, 31, v1
	v_ashrrev_i32_e32 v7, 31, v6
	v_cmp_gt_u32_e64 s5, 32, v24
	v_mul_lo_u32 v25, v5, s38
	v_ashrrev_i32_e32 v5, 31, v4
	v_lshlrev_b64 v[1:2], 2, v[1:2]
	v_lshlrev_b64 v[6:7], 2, v[6:7]
	v_sub_nc_u32_e32 v9, v16, v11
	v_ashrrev_i32_e32 v11, 31, v10
	v_mad_u32_u24 v29, 0x60, v24, 64
	s_cmp_lg_u64 s[34:35], 0
	v_sub_nc_u32_e32 v8, v8, v25
	v_mul_lo_u32 v33, v9, s26
	v_lshlrev_b64 v[10:11], 2, v[10:11]
	v_mad_u32_u24 v30, 0x50, v24, 64
	v_add_nc_u32_e32 v35, v20, v21
	v_mul_lo_u32 v34, v8, s26
	v_lshlrev_b64 v[8:9], 2, v[4:5]
	v_dual_mov_b32 v19, 0 :: v_dual_lshlrev_b32 v36, 2, v19
	v_mbcnt_lo_u32_b32 v37, -1, 0
	v_mov_b32_e32 v41, 0xfeffffff
	v_mov_b32_e32 v39, 0
	s_cselect_b32 s21, -1, 0
	s_add_u32 s12, s2, 0xd0
	s_addc_u32 s13, s3, 0
.LBB59_12:                              ; =>This Inner Loop Header: Depth=1
	s_mul_hi_i32 s9, s18, s27
	s_mul_i32 s8, s18, s27
	s_delay_alu instid0(SALU_CYCLE_1) | instskip(NEXT) | instid1(SALU_CYCLE_1)
	s_lshl_b64 s[8:9], s[8:9], 2
	s_add_u32 s7, s19, s8
	s_addc_u32 s8, s41, s9
	s_and_saveexec_b32 s9, s5
	s_cbranch_execz .LBB59_14
; %bb.13:                               ;   in Loop: Header=BB59_12 Depth=1
	v_add_co_u32 v4, vcc_lo, s7, v1
	v_add_co_ci_u32_e32 v5, vcc_lo, s8, v2, vcc_lo
	global_load_b128 v[42:45], v[4:5], off offset:64
	s_waitcnt vmcnt(0)
	ds_store_b128 v29, v[42:45]
.LBB59_14:                              ;   in Loop: Header=BB59_12 Depth=1
	s_or_b32 exec_lo, exec_lo, s9
	s_and_saveexec_b32 s9, s6
	s_cbranch_execz .LBB59_16
; %bb.15:                               ;   in Loop: Header=BB59_12 Depth=1
	v_add_co_u32 v4, vcc_lo, s7, v6
	v_add_co_ci_u32_e32 v5, vcc_lo, s8, v7, vcc_lo
	s_delay_alu instid0(VALU_DEP_2) | instskip(NEXT) | instid1(VALU_DEP_2)
	v_add_co_u32 v4, vcc_lo, v4, v36
	v_add_co_ci_u32_e32 v5, vcc_lo, 0, v5, vcc_lo
	global_load_b128 v[42:45], v[4:5], off
	s_waitcnt vmcnt(0)
	ds_store_b128 v31, v[42:45]
.LBB59_16:                              ;   in Loop: Header=BB59_12 Depth=1
	s_or_b32 exec_lo, exec_lo, s9
	s_waitcnt lgkmcnt(0)
	s_barrier
	buffer_gl0_inv
	ds_load_b128 v[42:45], v28
	ds_load_b128 v[46:49], v27 offset:3168
	ds_load_b128 v[50:53], v27 offset:3248
	v_dual_mov_b32 v5, 0 :: v_dual_mov_b32 v4, 0
	v_dual_mov_b32 v25, 0 :: v_dual_add_nc_u32 v26, s18, v12
	s_and_not1_b32 vcc_lo, exec_lo, s21
	s_waitcnt lgkmcnt(1)
	;;#ASMSTART
	v_dot2_f32_f16 v5, v42, v46, v5
	;;#ASMEND
	;;#ASMSTART
	v_dot2_f32_f16 v5, v43, v47, v5
	;;#ASMEND
	;;#ASMSTART
	v_dot2_f32_f16 v5, v44, v48, v5
	;;#ASMEND
	;;#ASMSTART
	v_dot2_f32_f16 v5, v45, v49, v5
	;;#ASMEND
	s_waitcnt lgkmcnt(0)
	;;#ASMSTART
	v_dot2_f32_f16 v4, v42, v50, v4
	;;#ASMEND
	;;#ASMSTART
	v_dot2_f32_f16 v4, v43, v51, v4
	;;#ASMEND
	;;#ASMSTART
	v_dot2_f32_f16 v4, v44, v52, v4
	;;#ASMEND
	;;#ASMSTART
	v_dot2_f32_f16 v4, v45, v53, v4
	;;#ASMEND
	ds_load_b128 v[42:45], v28 offset:16
	ds_load_b128 v[46:49], v27 offset:3184
	ds_load_b128 v[50:53], v27 offset:3264
	s_waitcnt lgkmcnt(1)
	;;#ASMSTART
	v_dot2_f32_f16 v5, v42, v46, v5
	;;#ASMEND
	;;#ASMSTART
	v_dot2_f32_f16 v5, v43, v47, v5
	;;#ASMEND
	;;#ASMSTART
	v_dot2_f32_f16 v5, v44, v48, v5
	;;#ASMEND
	;;#ASMSTART
	v_dot2_f32_f16 v5, v45, v49, v5
	;;#ASMEND
	s_waitcnt lgkmcnt(0)
	;;#ASMSTART
	v_dot2_f32_f16 v4, v42, v50, v4
	;;#ASMEND
	;;#ASMSTART
	v_dot2_f32_f16 v4, v43, v51, v4
	;;#ASMEND
	;;#ASMSTART
	v_dot2_f32_f16 v4, v44, v52, v4
	;;#ASMEND
	;;#ASMSTART
	v_dot2_f32_f16 v4, v45, v53, v4
	;;#ASMEND
	ds_load_b128 v[42:45], v28 offset:32
	ds_load_b128 v[46:49], v27 offset:3200
	ds_load_b128 v[50:53], v27 offset:3280
	;; [unrolled: 29-line block ×4, first 2 shown]
	v_mov_b32_e32 v42, 0
	s_waitcnt lgkmcnt(1)
	;;#ASMSTART
	v_dot2_f32_f16 v5, v43, v47, v5
	;;#ASMEND
	;;#ASMSTART
	v_dot2_f32_f16 v5, v44, v48, v5
	;;#ASMEND
	;; [unrolled: 3-line block ×4, first 2 shown]
	s_waitcnt lgkmcnt(0)
	;;#ASMSTART
	v_dot2_f32_f16 v4, v43, v51, v4
	;;#ASMEND
	;;#ASMSTART
	v_dot2_f32_f16 v4, v44, v52, v4
	;;#ASMEND
	;; [unrolled: 3-line block ×4, first 2 shown]
	s_cbranch_vccnz .LBB59_18
; %bb.17:                               ;   in Loop: Header=BB59_12 Depth=1
	v_add_nc_u32_e32 v42, v26, v33
	s_delay_alu instid0(VALU_DEP_1) | instskip(NEXT) | instid1(VALU_DEP_1)
	v_ashrrev_i32_e32 v43, 31, v42
	v_lshlrev_b64 v[42:43], 1, v[42:43]
	s_delay_alu instid0(VALU_DEP_1) | instskip(NEXT) | instid1(VALU_DEP_2)
	v_add_co_u32 v42, vcc_lo, s34, v42
	v_add_co_ci_u32_e32 v43, vcc_lo, s35, v43, vcc_lo
	flat_load_u16 v42, v[42:43]
	s_waitcnt vmcnt(0) lgkmcnt(0)
	v_cvt_f32_f16_e32 v42, v42
	s_delay_alu instid0(VALU_DEP_1)
	v_mul_f32_e32 v42, v23, v42
.LBB59_18:                              ;   in Loop: Header=BB59_12 Depth=1
	v_xor_b32_e32 v43, 16, v37
	s_delay_alu instid0(VALU_DEP_2) | instskip(SKIP_1) | instid1(VALU_DEP_3)
	v_add_f32_e32 v42, v5, v42
	v_xor_b32_e32 v45, 8, v37
	v_cmp_gt_i32_e32 vcc_lo, 32, v43
	v_dual_max_f32 v44, v40, v40 :: v_dual_cndmask_b32 v5, v37, v43
	s_delay_alu instid0(VALU_DEP_3) | instskip(NEXT) | instid1(VALU_DEP_2)
	v_cmp_gt_i32_e32 vcc_lo, 32, v45
	v_lshlrev_b32_e32 v5, 2, v5
	v_add_f32_e32 v43, 0x40051340, v42
	s_delay_alu instid0(VALU_DEP_1) | instskip(SKIP_3) | instid1(VALU_DEP_1)
	v_dual_cndmask_b32 v45, v37, v45 :: v_dual_max_f32 v44, v44, v43
	ds_bpermute_b32 v43, v5, v44
	s_waitcnt lgkmcnt(0)
	v_dual_max_f32 v46, v43, v43 :: v_dual_lshlrev_b32 v43, 2, v45
	v_max_f32_e32 v45, v44, v46
	v_xor_b32_e32 v46, 4, v37
	ds_bpermute_b32 v44, v43, v45
	v_cmp_gt_i32_e32 vcc_lo, 32, v46
	s_waitcnt lgkmcnt(0)
	v_dual_cndmask_b32 v46, v37, v46 :: v_dual_max_f32 v47, v44, v44
	s_delay_alu instid0(VALU_DEP_1) | instskip(NEXT) | instid1(VALU_DEP_2)
	v_lshlrev_b32_e32 v44, 2, v46
	v_max_f32_e32 v46, v45, v47
	v_xor_b32_e32 v47, 2, v37
	s_delay_alu instid0(VALU_DEP_1) | instskip(SKIP_4) | instid1(VALU_DEP_1)
	v_cmp_gt_i32_e32 vcc_lo, 32, v47
	v_cndmask_b32_e32 v47, v37, v47, vcc_lo
	ds_bpermute_b32 v45, v44, v46
	s_waitcnt lgkmcnt(0)
	v_dual_max_f32 v48, v45, v45 :: v_dual_lshlrev_b32 v45, 2, v47
	v_max_f32_e32 v46, v46, v48
	v_xor_b32_e32 v48, 1, v37
	ds_bpermute_b32 v47, v45, v46
	v_cmp_gt_i32_e32 vcc_lo, 32, v48
	v_cndmask_b32_e32 v48, v37, v48, vcc_lo
	s_and_not1_b32 vcc_lo, exec_lo, s21
	s_waitcnt lgkmcnt(0)
	v_max_f32_e32 v49, v47, v47
	s_delay_alu instid0(VALU_DEP_1)
	v_dual_max_f32 v46, v46, v49 :: v_dual_lshlrev_b32 v47, 2, v48
	ds_bpermute_b32 v48, v47, v46
	s_cbranch_vccnz .LBB59_20
; %bb.19:                               ;   in Loop: Header=BB59_12 Depth=1
	v_add_nc_u32_e32 v25, v26, v34
	s_delay_alu instid0(VALU_DEP_1) | instskip(NEXT) | instid1(VALU_DEP_1)
	v_ashrrev_i32_e32 v26, 31, v25
	v_lshlrev_b64 v[25:26], 1, v[25:26]
	s_delay_alu instid0(VALU_DEP_1) | instskip(NEXT) | instid1(VALU_DEP_2)
	v_add_co_u32 v25, vcc_lo, s34, v25
	v_add_co_ci_u32_e32 v26, vcc_lo, s35, v26, vcc_lo
	flat_load_u16 v25, v[25:26]
	s_waitcnt vmcnt(0) lgkmcnt(0)
	v_cvt_f32_f16_e32 v25, v25
	s_delay_alu instid0(VALU_DEP_1)
	v_mul_f32_e32 v25, v23, v25
.LBB59_20:                              ;   in Loop: Header=BB59_12 Depth=1
	s_delay_alu instid0(VALU_DEP_1)
	v_add_f32_e32 v25, v4, v25
	v_max_f32_e32 v4, v41, v41
	s_mul_hi_i32 s43, s18, s16
	s_mul_i32 s42, s18, s16
	s_waitcnt lgkmcnt(0)
	v_add_f32_e32 v26, 0x40051340, v25
	s_lshl_b64 s[42:43], s[42:43], 2
	s_barrier
	s_add_u32 s42, s11, s42
	s_addc_u32 s43, s17, s43
	v_max_f32_e32 v4, v4, v26
	buffer_gl0_inv
	v_max_f32_e32 v26, v48, v48
	ds_bpermute_b32 v5, v5, v4
	s_waitcnt lgkmcnt(0)
	v_max_f32_e32 v5, v5, v5
	s_delay_alu instid0(VALU_DEP_1) | instskip(SKIP_4) | instid1(VALU_DEP_1)
	v_max_f32_e32 v4, v4, v5
	ds_bpermute_b32 v5, v43, v4
	v_max_f32_e32 v43, v46, v46
	s_waitcnt lgkmcnt(0)
	v_max_f32_e32 v5, v5, v5
	v_max_f32_e32 v4, v4, v5
	ds_bpermute_b32 v5, v44, v4
	s_waitcnt lgkmcnt(0)
	v_max_f32_e32 v5, v5, v5
	s_delay_alu instid0(VALU_DEP_1) | instskip(SKIP_3) | instid1(VALU_DEP_1)
	v_max_f32_e32 v4, v4, v5
	ds_bpermute_b32 v5, v45, v4
	s_waitcnt lgkmcnt(0)
	v_max_f32_e32 v5, v5, v5
	v_max_f32_e32 v5, v4, v5
	ds_bpermute_b32 v4, v47, v5
	s_waitcnt lgkmcnt(0)
	v_max_f32_e32 v44, v4, v4
	v_max_f32_e32 v4, v43, v26
	s_delay_alu instid0(VALU_DEP_1) | instskip(SKIP_1) | instid1(VALU_DEP_2)
	v_sub_f32_e32 v26, v42, v4
	v_sub_f32_e32 v40, v40, v4
	v_dual_mul_f32 v42, 0x3fb8aa3b, v26 :: v_dual_max_f32 v5, v5, v44
	v_cmp_ngt_f32_e32 vcc_lo, 0xc2ce8ed0, v26
	s_delay_alu instid0(VALU_DEP_3) | instskip(NEXT) | instid1(VALU_DEP_3)
	v_cmp_ngt_f32_e64 s9, 0xc2ce8ed0, v40
	v_fma_f32 v44, 0x3fb8aa3b, v26, -v42
	s_delay_alu instid0(VALU_DEP_4) | instskip(SKIP_1) | instid1(VALU_DEP_3)
	v_sub_f32_e32 v25, v25, v5
	v_rndne_f32_e32 v45, v42
	v_dual_sub_f32 v41, v41, v5 :: v_dual_fmac_f32 v44, 0x32a5705f, v26
	s_delay_alu instid0(VALU_DEP_2) | instskip(NEXT) | instid1(VALU_DEP_4)
	v_sub_f32_e32 v42, v42, v45
	v_mul_f32_e32 v43, 0x3fb8aa3b, v25
	s_delay_alu instid0(VALU_DEP_3) | instskip(SKIP_1) | instid1(VALU_DEP_4)
	v_cmp_ngt_f32_e64 s8, 0xc2ce8ed0, v41
	v_cmp_nlt_f32_e64 s7, 0x42b17218, v41
	v_add_f32_e32 v42, v42, v44
	s_delay_alu instid0(VALU_DEP_4) | instskip(SKIP_2) | instid1(VALU_DEP_4)
	v_fma_f32 v46, 0x3fb8aa3b, v25, -v43
	v_rndne_f32_e32 v47, v43
	v_cvt_i32_f32_e32 v44, v45
	v_exp_f32_e32 v42, v42
	s_delay_alu instid0(VALU_DEP_2) | instskip(SKIP_1) | instid1(VALU_DEP_2)
	v_dual_fmac_f32 v46, 0x32a5705f, v25 :: v_dual_sub_f32 v43, v43, v47
	v_cvt_i32_f32_e32 v45, v47
	v_add_f32_e32 v43, v43, v46
	s_waitcnt_depctr 0xfff
	v_ldexp_f32 v42, v42, v44
	v_exp_f32_e32 v43, v43
	s_delay_alu instid0(VALU_DEP_1) | instskip(SKIP_3) | instid1(VALU_DEP_1)
	v_cndmask_b32_e32 v42, 0, v42, vcc_lo
	v_cmp_ngt_f32_e32 vcc_lo, 0xc2ce8ed0, v25
	s_waitcnt_depctr 0xfff
	v_ldexp_f32 v43, v43, v45
	v_cndmask_b32_e32 v43, 0, v43, vcc_lo
	v_cmp_nlt_f32_e32 vcc_lo, 0x42b17218, v26
	v_cndmask_b32_e32 v26, 0x7f800000, v42, vcc_lo
	v_cmp_nlt_f32_e32 vcc_lo, 0x42b17218, v25
	s_delay_alu instid0(VALU_DEP_2) | instskip(SKIP_2) | instid1(VALU_DEP_2)
	v_cvt_f16_f32_e32 v42, v26
	v_cndmask_b32_e32 v25, 0x7f800000, v43, vcc_lo
	v_cmp_nlt_f32_e32 vcc_lo, 0x42b17218, v40
	v_cvt_f16_f32_e32 v43, v25
	s_delay_alu instid0(VALU_DEP_1)
	v_pack_b32_f16 v42, v42, v43
	ds_store_b32 v35, v42
	s_and_saveexec_b32 s44, s5
	s_cbranch_execz .LBB59_22
; %bb.21:                               ;   in Loop: Header=BB59_12 Depth=1
	v_add_co_u32 v42, s10, s42, v8
	s_delay_alu instid0(VALU_DEP_1)
	v_add_co_ci_u32_e64 v43, s10, s43, v9, s10
	global_load_b128 v[42:45], v[42:43], off offset:64
	s_waitcnt vmcnt(0)
	ds_store_b128 v30, v[42:45]
.LBB59_22:                              ;   in Loop: Header=BB59_12 Depth=1
	s_or_b32 exec_lo, exec_lo, s44
	s_and_saveexec_b32 s44, s6
	s_cbranch_execz .LBB59_24
; %bb.23:                               ;   in Loop: Header=BB59_12 Depth=1
	v_add_co_u32 v42, s10, s42, v10
	s_delay_alu instid0(VALU_DEP_1) | instskip(NEXT) | instid1(VALU_DEP_2)
	v_add_co_ci_u32_e64 v43, s10, s43, v11, s10
	v_add_co_u32 v42, s10, v42, v36
	s_delay_alu instid0(VALU_DEP_1)
	v_add_co_ci_u32_e64 v43, s10, 0, v43, s10
	global_load_b128 v[42:45], v[42:43], off
	s_waitcnt vmcnt(0)
	ds_store_b128 v32, v[42:45]
.LBB59_24:                              ;   in Loop: Header=BB59_12 Depth=1
	s_or_b32 exec_lo, exec_lo, s44
	v_dual_mul_f32 v42, 0x3fb8aa3b, v40 :: v_dual_mul_f32 v43, 0x3fb8aa3b, v41
	s_waitcnt lgkmcnt(0)
	s_barrier
	buffer_gl0_inv
	v_fma_f32 v44, 0x3fb8aa3b, v40, -v42
	v_rndne_f32_e32 v45, v42
	v_fma_f32 v46, 0x3fb8aa3b, v41, -v43
	v_rndne_f32_e32 v47, v43
	s_delay_alu instid0(VALU_DEP_4) | instskip(NEXT) | instid1(VALU_DEP_4)
	v_fmac_f32_e32 v44, 0x32a5705f, v40
	v_sub_f32_e32 v40, v42, v45
	s_delay_alu instid0(VALU_DEP_3) | instskip(SKIP_2) | instid1(VALU_DEP_4)
	v_dual_fmac_f32 v46, 0x32a5705f, v41 :: v_dual_sub_f32 v41, v43, v47
	v_cvt_i32_f32_e32 v45, v45
	v_cvt_i32_f32_e32 v47, v47
	v_add_f32_e32 v40, v40, v44
	s_delay_alu instid0(VALU_DEP_4) | instskip(NEXT) | instid1(VALU_DEP_2)
	v_add_f32_e32 v44, v41, v46
	v_exp_f32_e32 v46, v40
	ds_load_2addr_b32 v[48:49], v21 offset1:20
	ds_load_b128 v[40:43], v20
	v_exp_f32_e32 v44, v44
	ds_load_2addr_b32 v[50:51], v21 offset0:40 offset1:60
	ds_load_2addr_b32 v[56:57], v21 offset0:160 offset1:180
	v_ldexp_f32 v45, v46, v45
	v_ldexp_f32 v44, v44, v47
	s_delay_alu instid0(VALU_DEP_2) | instskip(NEXT) | instid1(VALU_DEP_2)
	v_cndmask_b32_e64 v45, 0, v45, s9
	v_cndmask_b32_e64 v52, 0, v44, s8
	s_delay_alu instid0(VALU_DEP_2) | instskip(SKIP_2) | instid1(VALU_DEP_3)
	v_cndmask_b32_e32 v58, 0x7f800000, v45, vcc_lo
	s_waitcnt lgkmcnt(2)
	v_pk_mul_f16 v54, v48, v40 op_sel_hi:[1,0]
	v_cndmask_b32_e64 v59, 0x7f800000, v52, s7
	v_pk_mul_f16 v40, v48, v40 op_sel:[0,1]
	ds_load_b128 v[44:47], v20 offset:16
	v_cvt_f16_f32_e32 v55, v58
	ds_load_2addr_b32 v[52:53], v21 offset0:80 offset1:100
	v_cvt_f16_f32_e32 v48, v59
	v_dual_fmac_f32 v26, v38, v58 :: v_dual_fmac_f32 v25, v39, v59
	v_pk_fma_f16 v19, v55, v19, v54 op_sel_hi:[0,1,1]
	ds_load_2addr_b32 v[54:55], v21 offset0:120 offset1:140
	v_pk_fma_f16 v17, v17, v48, v40 op_sel_hi:[1,0,1]
	v_pk_fma_f16 v19, v49, v41, v19 op_sel_hi:[1,0,1]
	s_delay_alu instid0(VALU_DEP_2) | instskip(SKIP_1) | instid1(VALU_DEP_2)
	v_pk_fma_f16 v17, v49, v41, v17 op_sel:[0,1,0]
	s_waitcnt lgkmcnt(4)
	v_pk_fma_f16 v19, v50, v42, v19 op_sel_hi:[1,0,1]
	s_delay_alu instid0(VALU_DEP_2) | instskip(NEXT) | instid1(VALU_DEP_2)
	v_pk_fma_f16 v17, v50, v42, v17 op_sel:[0,1,0]
	v_pk_fma_f16 v19, v51, v43, v19 op_sel_hi:[1,0,1]
	s_delay_alu instid0(VALU_DEP_2)
	v_pk_fma_f16 v17, v51, v43, v17 op_sel:[0,1,0]
	ds_load_b128 v[40:43], v20 offset:32
	ds_load_b128 v[48:51], v20 offset:48
	s_waitcnt lgkmcnt(3)
	v_pk_fma_f16 v19, v52, v44, v19 op_sel_hi:[1,0,1]
	v_pk_fma_f16 v17, v52, v44, v17 op_sel:[0,1,0]
	s_delay_alu instid0(VALU_DEP_2) | instskip(NEXT) | instid1(VALU_DEP_2)
	v_pk_fma_f16 v19, v53, v45, v19 op_sel_hi:[1,0,1]
	v_pk_fma_f16 v17, v53, v45, v17 op_sel:[0,1,0]
	ds_load_2addr_b32 v[44:45], v21 offset0:200 offset1:220
	s_waitcnt lgkmcnt(3)
	v_pk_fma_f16 v19, v54, v46, v19 op_sel_hi:[1,0,1]
	v_pk_fma_f16 v17, v54, v46, v17 op_sel:[0,1,0]
	v_add_nc_u32_e32 v46, 0x200, v21
	s_delay_alu instid0(VALU_DEP_3) | instskip(NEXT) | instid1(VALU_DEP_3)
	v_pk_fma_f16 v19, v55, v47, v19 op_sel_hi:[1,0,1]
	v_pk_fma_f16 v17, v55, v47, v17 op_sel:[0,1,0]
	ds_load_2addr_b32 v[46:47], v46 offset0:112 offset1:132
	s_waitcnt lgkmcnt(3)
	v_pk_fma_f16 v19, v56, v40, v19 op_sel_hi:[1,0,1]
	v_pk_fma_f16 v17, v56, v40, v17 op_sel:[0,1,0]
	v_add_nc_u32_e32 v56, 0x400, v21
	s_delay_alu instid0(VALU_DEP_3) | instskip(NEXT) | instid1(VALU_DEP_3)
	v_pk_fma_f16 v19, v57, v41, v19 op_sel_hi:[1,0,1]
	v_pk_fma_f16 v17, v57, v41, v17 op_sel:[0,1,0]
	ds_load_2addr_b32 v[52:53], v56 offset0:24 offset1:44
	ds_load_2addr_b32 v[54:55], v56 offset0:64 offset1:84
	s_waitcnt lgkmcnt(3)
	v_pk_fma_f16 v19, v44, v42, v19 op_sel_hi:[1,0,1]
	v_pk_fma_f16 v17, v44, v42, v17 op_sel:[0,1,0]
	s_delay_alu instid0(VALU_DEP_2) | instskip(NEXT) | instid1(VALU_DEP_2)
	v_pk_fma_f16 v19, v45, v43, v19 op_sel_hi:[1,0,1]
	v_pk_fma_f16 v17, v45, v43, v17 op_sel:[0,1,0]
	ds_load_b128 v[40:43], v20 offset:64
	s_waitcnt lgkmcnt(3)
	v_pk_fma_f16 v19, v46, v48, v19 op_sel_hi:[1,0,1]
	v_pk_fma_f16 v17, v46, v48, v17 op_sel:[0,1,0]
	s_delay_alu instid0(VALU_DEP_2) | instskip(NEXT) | instid1(VALU_DEP_2)
	v_pk_fma_f16 v19, v47, v49, v19 op_sel_hi:[1,0,1]
	v_pk_fma_f16 v17, v47, v49, v17 op_sel:[0,1,0]
	ds_load_2addr_b32 v[48:49], v56 offset0:104 offset1:124
	s_waitcnt lgkmcnt(3)
	v_pk_fma_f16 v19, v52, v50, v19 op_sel_hi:[1,0,1]
	v_pk_fma_f16 v17, v52, v50, v17 op_sel:[0,1,0]
	s_delay_alu instid0(VALU_DEP_2) | instskip(NEXT) | instid1(VALU_DEP_2)
	v_pk_fma_f16 v19, v53, v51, v19 op_sel_hi:[1,0,1]
	v_pk_fma_f16 v17, v53, v51, v17 op_sel:[0,1,0]
	ds_load_b128 v[44:47], v20 offset:80
	ds_load_2addr_b32 v[50:51], v56 offset0:144 offset1:164
	ds_load_2addr_b32 v[52:53], v56 offset0:184 offset1:204
	s_waitcnt lgkmcnt(4)
	v_pk_fma_f16 v19, v54, v40, v19 op_sel_hi:[1,0,1]
	v_pk_fma_f16 v17, v54, v40, v17 op_sel:[0,1,0]
	v_add_nc_u32_e32 v54, 0x800, v21
	s_delay_alu instid0(VALU_DEP_3) | instskip(NEXT) | instid1(VALU_DEP_3)
	v_pk_fma_f16 v19, v55, v41, v19 op_sel_hi:[1,0,1]
	v_pk_fma_f16 v17, v55, v41, v17 op_sel:[0,1,0]
	s_waitcnt lgkmcnt(3)
	s_delay_alu instid0(VALU_DEP_2) | instskip(NEXT) | instid1(VALU_DEP_2)
	v_pk_fma_f16 v19, v48, v42, v19 op_sel_hi:[1,0,1]
	v_pk_fma_f16 v17, v48, v42, v17 op_sel:[0,1,0]
	s_delay_alu instid0(VALU_DEP_2) | instskip(NEXT) | instid1(VALU_DEP_2)
	v_pk_fma_f16 v19, v49, v43, v19 op_sel_hi:[1,0,1]
	v_pk_fma_f16 v17, v49, v43, v17 op_sel:[0,1,0]
	ds_load_2addr_b32 v[48:49], v56 offset0:224 offset1:244
	ds_load_b128 v[40:43], v20 offset:96
	s_waitcnt lgkmcnt(3)
	v_pk_fma_f16 v19, v50, v44, v19 op_sel_hi:[1,0,1]
	v_pk_fma_f16 v17, v50, v44, v17 op_sel:[0,1,0]
	s_delay_alu instid0(VALU_DEP_2) | instskip(NEXT) | instid1(VALU_DEP_2)
	v_pk_fma_f16 v19, v51, v45, v19 op_sel_hi:[1,0,1]
	v_pk_fma_f16 v17, v51, v45, v17 op_sel:[0,1,0]
	ds_load_2addr_b32 v[50:51], v54 offset0:8 offset1:28
	s_waitcnt lgkmcnt(3)
	v_pk_fma_f16 v19, v52, v46, v19 op_sel_hi:[1,0,1]
	v_pk_fma_f16 v17, v52, v46, v17 op_sel:[0,1,0]
	s_delay_alu instid0(VALU_DEP_2) | instskip(NEXT) | instid1(VALU_DEP_2)
	v_pk_fma_f16 v19, v53, v47, v19 op_sel_hi:[1,0,1]
	v_pk_fma_f16 v17, v53, v47, v17 op_sel:[0,1,0]
	ds_load_b128 v[44:47], v20 offset:112
	ds_load_2addr_b32 v[52:53], v54 offset0:48 offset1:68
	ds_load_2addr_b32 v[54:55], v54 offset0:88 offset1:108
	s_waitcnt lgkmcnt(4)
	v_pk_fma_f16 v19, v48, v40, v19 op_sel_hi:[1,0,1]
	s_waitcnt lgkmcnt(0)
	v_pk_fma_f16 v17, v48, v40, v17 op_sel:[0,1,0]
	s_barrier
	buffer_gl0_inv
	v_pk_fma_f16 v19, v49, v41, v19 op_sel_hi:[1,0,1]
	s_load_b32 s7, s[12:13], 0x4
	v_pk_fma_f16 v17, v49, v41, v17 op_sel:[0,1,0]
	s_delay_alu instid0(VALU_DEP_2) | instskip(NEXT) | instid1(VALU_DEP_2)
	v_pk_fma_f16 v19, v50, v42, v19 op_sel_hi:[1,0,1]
	v_pk_fma_f16 v17, v50, v42, v17 op_sel:[0,1,0]
	s_delay_alu instid0(VALU_DEP_2) | instskip(NEXT) | instid1(VALU_DEP_2)
	v_pk_fma_f16 v19, v51, v43, v19 op_sel_hi:[1,0,1]
	;; [unrolled: 3-line block ×3, first 2 shown]
	v_pk_fma_f16 v17, v52, v44, v17 op_sel:[0,1,0]
	s_delay_alu instid0(VALU_DEP_2) | instskip(SKIP_2) | instid1(VALU_DEP_2)
	v_pk_fma_f16 v19, v53, v45, v19 op_sel_hi:[1,0,1]
	s_waitcnt lgkmcnt(0)
	s_lshl_b32 s7, s7, 5
	v_pk_fma_f16 v17, v53, v45, v17 op_sel:[0,1,0]
	s_add_i32 s18, s7, s18
	v_pk_fma_f16 v19, v54, v46, v19 op_sel_hi:[1,0,1]
	s_cmp_lt_i32 s18, s20
	s_delay_alu instid0(VALU_DEP_2) | instskip(NEXT) | instid1(VALU_DEP_2)
	v_pk_fma_f16 v17, v54, v46, v17 op_sel:[0,1,0]
	v_pk_fma_f16 v19, v55, v47, v19 op_sel_hi:[1,0,1]
	s_delay_alu instid0(VALU_DEP_2)
	v_pk_fma_f16 v17, v55, v47, v17 op_sel:[0,1,0]
	s_cbranch_scc0 .LBB59_27
; %bb.25:                               ;   in Loop: Header=BB59_12 Depth=1
	v_dual_mov_b32 v40, v4 :: v_dual_mov_b32 v41, v5
	v_dual_mov_b32 v38, v26 :: v_dual_mov_b32 v39, v25
	s_branch .LBB59_12
.LBB59_26:
	s_mov_b32 s47, s46
	s_delay_alu instid0(SALU_CYCLE_1)
	v_dual_mov_b32 v4, s46 :: v_dual_mov_b32 v5, s47
	v_dual_mov_b32 v26, 0 :: v_dual_mov_b32 v17, 0
.LBB59_27:
	v_lshlrev_b32_e32 v6, 1, v12
	s_cmp_gt_i32 s40, s18
	s_cbranch_scc1 .LBB59_29
; %bb.28:
	v_mbcnt_lo_u32_b32 v1, -1, 0
	v_mov_b32_e32 v30, 32
	s_delay_alu instid0(VALU_DEP_2)
	v_xor_b32_e32 v10, 16, v1
	v_xor_b32_e32 v9, 8, v1
	;; [unrolled: 1-line block ×5, first 2 shown]
	s_cbranch_execz .LBB59_30
	s_branch .LBB59_49
.LBB59_29:
                                        ; implicit-def: $vgpr1
                                        ; implicit-def: $vgpr30
                                        ; implicit-def: $vgpr10
                                        ; implicit-def: $vgpr9
                                        ; implicit-def: $vgpr11
                                        ; implicit-def: $vgpr29
                                        ; implicit-def: $vgpr31
.LBB59_30:
	s_mul_hi_i32 s7, s18, s27
	s_mul_i32 s6, s18, s27
	s_sub_i32 s10, s40, s18
	s_lshl_b64 s[12:13], s[6:7], 2
	v_cmp_gt_u32_e64 s7, 32, v24
	v_cmp_gt_i32_e64 s5, s10, v24
	s_add_u32 s9, s19, s12
	s_addc_u32 s12, s41, s13
	s_delay_alu instid0(VALU_DEP_2)
	s_and_saveexec_b32 s6, s7
	s_cbranch_execz .LBB59_32
; %bb.31:
	v_mul_lo_u32 v1, s27, v24
	v_mov_b32_e32 v7, 0
	s_mov_b64 s[20:21], src_private_base
	s_delay_alu instid0(VALU_DEP_1) | instskip(SKIP_1) | instid1(VALU_DEP_4)
	v_mov_b32_e32 v8, v7
	v_mov_b32_e32 v9, v7
	v_ashrrev_i32_e32 v2, 31, v1
	s_clause 0x1
	scratch_store_b32 off, v7, off
	scratch_store_b96 off, v[7:9], off offset:4
	v_lshlrev_b64 v[1:2], 2, v[1:2]
	s_delay_alu instid0(VALU_DEP_1) | instskip(NEXT) | instid1(VALU_DEP_2)
	v_add_co_u32 v1, vcc_lo, s9, v1
	v_add_co_ci_u32_e32 v2, vcc_lo, s12, v2, vcc_lo
	s_delay_alu instid0(VALU_DEP_2) | instskip(NEXT) | instid1(VALU_DEP_2)
	v_add_co_u32 v1, vcc_lo, v1, 64
	v_add_co_ci_u32_e32 v2, vcc_lo, 0, v2, vcc_lo
	s_delay_alu instid0(VALU_DEP_2) | instskip(NEXT) | instid1(VALU_DEP_2)
	v_cndmask_b32_e64 v1, 0, v1, s5
	v_cndmask_b32_e64 v2, s21, v2, s5
	flat_load_b128 v[7:10], v[1:2]
	v_mul_u32_u24_e32 v1, 0x60, v24
	s_waitcnt vmcnt(0) lgkmcnt(0)
	ds_store_b128 v1, v[7:10] offset:64
.LBB59_32:
	s_or_b32 exec_lo, exec_lo, s6
	v_lshl_add_u32 v32, v22, 3, v3
	v_dual_mov_b32 v2, 0 :: v_dual_and_b32 v1, 12, v21
	s_delay_alu instid0(VALU_DEP_2) | instskip(SKIP_1) | instid1(VALU_DEP_3)
	v_cmp_gt_u32_e64 s8, 32, v32
	v_cmp_gt_i32_e64 s6, s10, v32
	v_lshlrev_b32_e32 v33, 2, v1
	s_delay_alu instid0(VALU_DEP_3)
	s_and_saveexec_b32 s13, s8
	s_cbranch_execz .LBB59_34
; %bb.33:
	v_mul_lo_u32 v7, s27, v32
	s_mov_b64 s[20:21], src_private_base
	s_delay_alu instid0(VALU_DEP_1) | instskip(NEXT) | instid1(VALU_DEP_1)
	v_ashrrev_i32_e32 v8, 31, v7
	v_lshlrev_b64 v[7:8], 2, v[7:8]
	s_delay_alu instid0(VALU_DEP_1) | instskip(NEXT) | instid1(VALU_DEP_2)
	v_add_co_u32 v1, vcc_lo, s9, v7
	v_add_co_ci_u32_e32 v3, vcc_lo, s12, v8, vcc_lo
	s_delay_alu instid0(VALU_DEP_2) | instskip(NEXT) | instid1(VALU_DEP_2)
	v_add_co_u32 v7, vcc_lo, v1, v33
	v_add_co_ci_u32_e32 v8, vcc_lo, 0, v3, vcc_lo
	v_mov_b32_e32 v1, v2
	v_mov_b32_e32 v3, v2
	s_delay_alu instid0(VALU_DEP_4) | instskip(NEXT) | instid1(VALU_DEP_4)
	v_cndmask_b32_e64 v7, 0, v7, s6
	v_cndmask_b32_e64 v8, s21, v8, s6
	s_clause 0x1
	scratch_store_b32 off, v2, off
	scratch_store_b96 off, v[1:3], off offset:4
	v_mad_u32_u24 v1, 0x60, v32, v33
	flat_load_b128 v[7:10], v[7:8]
	s_waitcnt vmcnt(0) lgkmcnt(0)
	ds_store_b128 v1, v[7:10]
.LBB59_34:
	s_or_b32 exec_lo, exec_lo, s13
	s_waitcnt lgkmcnt(0)
	s_waitcnt_vscnt null, 0x0
	s_barrier
	buffer_gl0_inv
	ds_load_b128 v[7:10], v28
	ds_load_b128 v[34:37], v27 offset:3168
	ds_load_b128 v[38:41], v27 offset:3248
	v_mov_b32_e32 v3, 0
	s_cmp_lg_u64 s[34:35], 0
	v_cmp_gt_i32_e64 s9, s10, v12
	s_cselect_b32 s13, -1, 0
	v_add_nc_u32_e32 v1, s18, v12
	s_waitcnt lgkmcnt(1)
	;;#ASMSTART
	v_dot2_f32_f16 v3, v7, v34, v3
	;;#ASMEND
	;;#ASMSTART
	v_dot2_f32_f16 v3, v8, v35, v3
	;;#ASMEND
	;;#ASMSTART
	v_dot2_f32_f16 v3, v9, v36, v3
	;;#ASMEND
	;;#ASMSTART
	v_dot2_f32_f16 v3, v10, v37, v3
	;;#ASMEND
	s_waitcnt lgkmcnt(0)
	;;#ASMSTART
	v_dot2_f32_f16 v2, v7, v38, v2
	;;#ASMEND
	;;#ASMSTART
	v_dot2_f32_f16 v2, v8, v39, v2
	;;#ASMEND
	;;#ASMSTART
	v_dot2_f32_f16 v2, v9, v40, v2
	;;#ASMEND
	;;#ASMSTART
	v_dot2_f32_f16 v2, v10, v41, v2
	;;#ASMEND
	ds_load_b128 v[7:10], v28 offset:16
	ds_load_b128 v[34:37], v27 offset:3184
	ds_load_b128 v[38:41], v27 offset:3264
	s_waitcnt lgkmcnt(1)
	;;#ASMSTART
	v_dot2_f32_f16 v3, v7, v34, v3
	;;#ASMEND
	;;#ASMSTART
	v_dot2_f32_f16 v3, v8, v35, v3
	;;#ASMEND
	;;#ASMSTART
	v_dot2_f32_f16 v3, v9, v36, v3
	;;#ASMEND
	;;#ASMSTART
	v_dot2_f32_f16 v3, v10, v37, v3
	;;#ASMEND
	s_waitcnt lgkmcnt(0)
	;;#ASMSTART
	v_dot2_f32_f16 v2, v7, v38, v2
	;;#ASMEND
	;;#ASMSTART
	v_dot2_f32_f16 v2, v8, v39, v2
	;;#ASMEND
	;;#ASMSTART
	v_dot2_f32_f16 v2, v9, v40, v2
	;;#ASMEND
	;;#ASMSTART
	v_dot2_f32_f16 v2, v10, v41, v2
	;;#ASMEND
	ds_load_b128 v[7:10], v28 offset:32
	ds_load_b128 v[34:37], v27 offset:3200
	ds_load_b128 v[38:41], v27 offset:3280
	;; [unrolled: 29-line block ×4, first 2 shown]
	v_mov_b32_e32 v7, v4
	v_cndmask_b32_e64 v8, 0, 1, s13
	s_waitcnt lgkmcnt(1)
	;;#ASMSTART
	v_dot2_f32_f16 v3, v28, v34, v3
	;;#ASMEND
	;;#ASMSTART
	v_dot2_f32_f16 v3, v29, v35, v3
	;;#ASMEND
	;; [unrolled: 3-line block ×4, first 2 shown]
	s_waitcnt lgkmcnt(0)
	;;#ASMSTART
	v_dot2_f32_f16 v2, v28, v38, v2
	;;#ASMEND
	;;#ASMSTART
	v_dot2_f32_f16 v2, v29, v39, v2
	;;#ASMEND
	;; [unrolled: 3-line block ×4, first 2 shown]
	s_and_saveexec_b32 s12, s9
	s_cbranch_execz .LBB59_39
; %bb.35:
	s_and_not1_b32 vcc_lo, exec_lo, s13
	s_cbranch_vccnz .LBB59_37
; %bb.36:
	v_mul_hi_u32 v7, s36, v16
	s_delay_alu instid0(VALU_DEP_1) | instskip(NEXT) | instid1(VALU_DEP_1)
	v_add_nc_u32_e32 v7, v16, v7
	v_lshrrev_b32_e32 v7, s37, v7
	s_delay_alu instid0(VALU_DEP_1) | instskip(NEXT) | instid1(VALU_DEP_1)
	v_mul_lo_u32 v7, v7, s38
	v_sub_nc_u32_e32 v7, v16, v7
	s_delay_alu instid0(VALU_DEP_1) | instskip(NEXT) | instid1(VALU_DEP_1)
	v_mad_u64_u32 v[9:10], null, v7, s26, v[1:2]
	v_ashrrev_i32_e32 v10, 31, v9
	s_delay_alu instid0(VALU_DEP_1) | instskip(NEXT) | instid1(VALU_DEP_1)
	v_lshlrev_b64 v[9:10], 1, v[9:10]
	v_add_co_u32 v9, vcc_lo, s34, v9
	s_delay_alu instid0(VALU_DEP_2) | instskip(SKIP_3) | instid1(VALU_DEP_1)
	v_add_co_ci_u32_e32 v10, vcc_lo, s35, v10, vcc_lo
	flat_load_u16 v7, v[9:10]
	s_waitcnt vmcnt(0) lgkmcnt(0)
	v_cvt_f32_f16_e32 v7, v7
	v_mul_f32_e32 v7, v23, v7
	s_branch .LBB59_38
.LBB59_37:
	v_mov_b32_e32 v7, 0
.LBB59_38:
	s_delay_alu instid0(VALU_DEP_1) | instskip(SKIP_1) | instid1(VALU_DEP_2)
	v_add_f32_e32 v3, v3, v7
	v_max_f32_e32 v9, v4, v4
	v_add_f32_e32 v7, 0x40051340, v3
	s_delay_alu instid0(VALU_DEP_1)
	v_max_f32_e32 v7, v9, v7
.LBB59_39:
	s_or_b32 exec_lo, exec_lo, s12
	v_xor_b32_e32 v10, 16, v18
	s_delay_alu instid0(VALU_DEP_1) | instskip(SKIP_1) | instid1(VALU_DEP_1)
	v_cmp_gt_i32_e32 vcc_lo, 32, v10
	v_cndmask_b32_e32 v9, v18, v10, vcc_lo
	v_lshlrev_b32_e32 v27, 2, v9
	v_xor_b32_e32 v9, 8, v18
	ds_bpermute_b32 v11, v27, v7
	v_cmp_gt_i32_e32 vcc_lo, 32, v9
	v_dual_max_f32 v7, v7, v7 :: v_dual_cndmask_b32 v28, v18, v9
	s_waitcnt lgkmcnt(0)
	s_delay_alu instid0(VALU_DEP_1) | instskip(NEXT) | instid1(VALU_DEP_1)
	v_dual_max_f32 v11, v11, v11 :: v_dual_lshlrev_b32 v28, 2, v28
	v_max_f32_e32 v7, v7, v11
	v_xor_b32_e32 v11, 4, v18
	ds_bpermute_b32 v29, v28, v7
	v_cmp_gt_i32_e32 vcc_lo, 32, v11
	v_cndmask_b32_e32 v30, v18, v11, vcc_lo
	s_waitcnt lgkmcnt(0)
	s_delay_alu instid0(VALU_DEP_1) | instskip(NEXT) | instid1(VALU_DEP_1)
	v_dual_max_f32 v29, v29, v29 :: v_dual_lshlrev_b32 v34, 2, v30
	v_max_f32_e32 v7, v7, v29
	v_xor_b32_e32 v29, 2, v18
	ds_bpermute_b32 v30, v34, v7
	v_cmp_gt_i32_e32 vcc_lo, 32, v29
	v_cndmask_b32_e32 v31, v18, v29, vcc_lo
	s_delay_alu instid0(VALU_DEP_1) | instskip(SKIP_1) | instid1(VALU_DEP_1)
	v_lshlrev_b32_e32 v35, 2, v31
	v_xor_b32_e32 v31, 1, v18
	v_cmp_gt_i32_e32 vcc_lo, 32, v31
	s_waitcnt lgkmcnt(0)
	v_max_f32_e32 v30, v30, v30
	s_delay_alu instid0(VALU_DEP_1) | instskip(NEXT) | instid1(VALU_DEP_1)
	v_dual_cndmask_b32 v36, v18, v31 :: v_dual_max_f32 v7, v7, v30
	v_lshlrev_b32_e32 v36, 2, v36
	ds_bpermute_b32 v30, v35, v7
	s_waitcnt lgkmcnt(0)
	v_max_f32_e32 v30, v30, v30
	s_delay_alu instid0(VALU_DEP_1) | instskip(SKIP_3) | instid1(VALU_DEP_1)
	v_max_f32_e32 v7, v7, v30
	ds_bpermute_b32 v30, v36, v7
	s_waitcnt lgkmcnt(0)
	v_dual_max_f32 v37, v30, v30 :: v_dual_mov_b32 v30, 32
	v_max_f32_e32 v7, v7, v37
	v_mov_b32_e32 v37, v5
	s_and_saveexec_b32 s12, s9
	s_cbranch_execz .LBB59_44
; %bb.40:
	v_cmp_ne_u32_e32 vcc_lo, 1, v8
	s_cbranch_vccnz .LBB59_42
; %bb.41:
	v_or_b32_e32 v8, 1, v16
	s_delay_alu instid0(VALU_DEP_1) | instskip(NEXT) | instid1(VALU_DEP_1)
	v_mul_hi_u32 v37, s36, v8
	v_add_nc_u32_e32 v37, v8, v37
	s_delay_alu instid0(VALU_DEP_1) | instskip(NEXT) | instid1(VALU_DEP_1)
	v_lshrrev_b32_e32 v37, s37, v37
	v_mul_lo_u32 v37, v37, s38
	s_delay_alu instid0(VALU_DEP_1) | instskip(NEXT) | instid1(VALU_DEP_1)
	v_sub_nc_u32_e32 v8, v8, v37
	v_mad_u64_u32 v[37:38], null, v8, s26, v[1:2]
	s_delay_alu instid0(VALU_DEP_1) | instskip(NEXT) | instid1(VALU_DEP_1)
	v_ashrrev_i32_e32 v38, 31, v37
	v_lshlrev_b64 v[37:38], 1, v[37:38]
	s_delay_alu instid0(VALU_DEP_1) | instskip(NEXT) | instid1(VALU_DEP_2)
	v_add_co_u32 v37, vcc_lo, s34, v37
	v_add_co_ci_u32_e32 v38, vcc_lo, s35, v38, vcc_lo
	flat_load_u16 v1, v[37:38]
	s_waitcnt vmcnt(0) lgkmcnt(0)
	v_cvt_f32_f16_e32 v1, v1
	s_delay_alu instid0(VALU_DEP_1)
	v_mul_f32_e32 v1, v23, v1
	s_branch .LBB59_43
.LBB59_42:
	v_mov_b32_e32 v1, 0
.LBB59_43:
	s_delay_alu instid0(VALU_DEP_1) | instskip(NEXT) | instid1(VALU_DEP_1)
	v_add_f32_e32 v2, v2, v1
	v_dual_max_f32 v8, v5, v5 :: v_dual_add_f32 v1, 0x40051340, v2
	s_delay_alu instid0(VALU_DEP_1)
	v_max_f32_e32 v37, v8, v1
.LBB59_44:
	s_or_b32 exec_lo, exec_lo, s12
	ds_bpermute_b32 v1, v27, v37
	v_max_f32_e32 v8, v37, v37
	s_load_b64 s[0:1], s[0:1], 0x4
	s_waitcnt lgkmcnt(0)
	s_barrier
	buffer_gl0_inv
	v_max_f32_e32 v1, v1, v1
	s_lshr_b32 s0, s0, 16
	s_delay_alu instid0(SALU_CYCLE_1) | instskip(NEXT) | instid1(VALU_DEP_1)
	s_mul_i32 s0, s0, s1
	v_max_f32_e32 v1, v8, v1
	ds_bpermute_b32 v8, v28, v1
	s_waitcnt lgkmcnt(0)
	v_max_f32_e32 v8, v8, v8
	s_delay_alu instid0(VALU_DEP_1) | instskip(SKIP_3) | instid1(VALU_DEP_1)
	v_max_f32_e32 v1, v1, v8
	ds_bpermute_b32 v8, v34, v1
	s_waitcnt lgkmcnt(0)
	v_max_f32_e32 v8, v8, v8
	v_max_f32_e32 v1, v1, v8
	ds_bpermute_b32 v8, v35, v1
	s_waitcnt lgkmcnt(0)
	v_max_f32_e32 v8, v8, v8
	s_delay_alu instid0(VALU_DEP_1) | instskip(SKIP_3) | instid1(VALU_DEP_1)
	v_max_f32_e32 v1, v1, v8
	ds_bpermute_b32 v8, v36, v1
	s_waitcnt lgkmcnt(0)
	v_max_f32_e32 v8, v8, v8
	v_dual_max_f32 v8, v1, v8 :: v_dual_sub_f32 v1, v3, v7
	s_delay_alu instid0(VALU_DEP_1) | instskip(SKIP_1) | instid1(VALU_DEP_2)
	v_dual_sub_f32 v2, v2, v8 :: v_dual_mul_f32 v3, 0x3fb8aa3b, v1
	v_cmp_ngt_f32_e32 vcc_lo, 0xc2ce8ed0, v1
	v_mul_f32_e32 v23, 0x3fb8aa3b, v2
	s_delay_alu instid0(VALU_DEP_3) | instskip(SKIP_1) | instid1(VALU_DEP_3)
	v_fma_f32 v27, 0x3fb8aa3b, v1, -v3
	v_rndne_f32_e32 v28, v3
	v_fma_f32 v34, 0x3fb8aa3b, v2, -v23
	v_rndne_f32_e32 v35, v23
	s_delay_alu instid0(VALU_DEP_4) | instskip(NEXT) | instid1(VALU_DEP_3)
	v_fmac_f32_e32 v27, 0x32a5705f, v1
	v_dual_sub_f32 v3, v3, v28 :: v_dual_fmac_f32 v34, 0x32a5705f, v2
	s_delay_alu instid0(VALU_DEP_3) | instskip(NEXT) | instid1(VALU_DEP_2)
	v_sub_f32_e32 v23, v23, v35
	v_add_f32_e32 v3, v3, v27
	v_cvt_i32_f32_e32 v27, v28
	v_cvt_i32_f32_e32 v28, v35
	s_delay_alu instid0(VALU_DEP_4) | instskip(NEXT) | instid1(VALU_DEP_4)
	v_add_f32_e32 v23, v23, v34
	v_exp_f32_e32 v3, v3
	s_delay_alu instid0(VALU_DEP_1) | instskip(SKIP_3) | instid1(VALU_DEP_2)
	v_exp_f32_e32 v23, v23
	s_waitcnt_depctr 0xfff
	v_ldexp_f32 v3, v3, v27
	v_ldexp_f32 v23, v23, v28
	v_dual_cndmask_b32 v3, 0, v3 :: v_dual_add_nc_u32 v28, v20, v21
	v_cmp_ngt_f32_e32 vcc_lo, 0xc2ce8ed0, v2
	s_delay_alu instid0(VALU_DEP_3) | instskip(SKIP_1) | instid1(VALU_DEP_4)
	v_cndmask_b32_e32 v23, 0, v23, vcc_lo
	v_cmp_nlt_f32_e32 vcc_lo, 0x42b17218, v1
	v_cndmask_b32_e32 v1, 0x7f800000, v3, vcc_lo
	v_cmp_nlt_f32_e32 vcc_lo, 0x42b17218, v2
	v_bfe_u32 v3, v0, 20, 10
	v_cndmask_b32_e32 v2, 0x7f800000, v23, vcc_lo
	v_cmp_gt_u32_e32 vcc_lo, s10, v12
	v_mul_lo_u32 v23, s0, v12
	s_mul_i32 s0, s18, s16
	s_delay_alu instid0(VALU_DEP_3) | instskip(SKIP_2) | instid1(VALU_DEP_2)
	v_dual_cndmask_b32 v0, 0, v1 :: v_dual_cndmask_b32 v1, 0, v2
	v_mul_u32_u24_e32 v2, s1, v22
	s_mul_hi_i32 s1, s18, s16
	v_cvt_f16_f32_e32 v22, v0
	s_delay_alu instid0(VALU_DEP_3) | instskip(NEXT) | instid1(VALU_DEP_3)
	v_cvt_f16_f32_e32 v27, v1
	v_add3_u32 v2, v23, v2, v3
	s_lshl_b64 s[0:1], s[0:1], 2
	s_delay_alu instid0(SALU_CYCLE_1) | instskip(NEXT) | instid1(VALU_DEP_2)
	s_add_u32 s0, s11, s0
	v_pack_b32_f16 v3, v22, v27
	s_delay_alu instid0(VALU_DEP_2)
	v_lshlrev_b32_e32 v2, 4, v2
	s_addc_u32 s1, s17, s1
	ds_store_b32 v28, v3
	s_and_saveexec_b32 s9, s7
	s_cbranch_execz .LBB59_46
; %bb.45:
	v_mul_lo_u32 v22, s16, v24
	v_dual_mov_b32 v34, 0 :: v_dual_add_nc_u32 v27, 0x1560, v2
	s_mov_b64 s[10:11], src_shared_base
	v_add_nc_u32_e32 v28, 0x1564, v2
	v_add_nc_u32_e32 v35, 0x1400, v2
	ds_store_2addr_b32 v28, v34, v34 offset1:1
	ds_store_2addr_b32 v35, v34, v34 offset0:88 offset1:91
	v_ashrrev_i32_e32 v23, 31, v22
	s_delay_alu instid0(VALU_DEP_1) | instskip(NEXT) | instid1(VALU_DEP_1)
	v_lshlrev_b64 v[22:23], 2, v[22:23]
	v_add_co_u32 v3, vcc_lo, s0, v22
	s_delay_alu instid0(VALU_DEP_2) | instskip(NEXT) | instid1(VALU_DEP_2)
	v_add_co_ci_u32_e32 v22, vcc_lo, s1, v23, vcc_lo
	v_add_co_u32 v3, vcc_lo, v3, 64
	s_delay_alu instid0(VALU_DEP_2) | instskip(NEXT) | instid1(VALU_DEP_1)
	v_add_co_ci_u32_e32 v22, vcc_lo, 0, v22, vcc_lo
	v_cndmask_b32_e64 v23, s11, v22, s5
	s_delay_alu instid0(VALU_DEP_3)
	v_cndmask_b32_e64 v22, v27, v3, s5
	v_mul_u32_u24_e32 v3, 0x50, v24
	flat_load_b128 v[34:37], v[22:23]
	s_waitcnt vmcnt(0) lgkmcnt(0)
	ds_store_b128 v3, v[34:37] offset:64
.LBB59_46:
	s_or_b32 exec_lo, exec_lo, s9
	s_and_saveexec_b32 s5, s8
	s_cbranch_execz .LBB59_48
; %bb.47:
	v_mul_lo_u32 v22, s16, v32
	v_add_nc_u32_e32 v27, 0x2564, v2
	v_add_nc_u32_e32 v28, 0x2400, v2
	s_delay_alu instid0(VALU_DEP_3) | instskip(NEXT) | instid1(VALU_DEP_1)
	v_ashrrev_i32_e32 v23, 31, v22
	v_lshlrev_b64 v[22:23], 2, v[22:23]
	s_delay_alu instid0(VALU_DEP_1) | instskip(NEXT) | instid1(VALU_DEP_2)
	v_add_co_u32 v3, vcc_lo, s0, v22
	v_add_co_ci_u32_e32 v22, vcc_lo, s1, v23, vcc_lo
	v_add_nc_u32_e32 v23, 0x2560, v2
	s_delay_alu instid0(VALU_DEP_3) | instskip(NEXT) | instid1(VALU_DEP_3)
	v_add_co_u32 v24, vcc_lo, v3, v33
	v_add_co_ci_u32_e32 v3, vcc_lo, 0, v22, vcc_lo
	v_mov_b32_e32 v22, 0
	s_mov_b64 s[0:1], src_shared_base
	s_delay_alu instid0(VALU_DEP_3) | instskip(NEXT) | instid1(VALU_DEP_3)
	v_cndmask_b32_e64 v2, v23, v24, s6
	v_cndmask_b32_e64 v3, s1, v3, s6
	ds_store_2addr_b32 v27, v22, v22 offset1:1
	ds_store_2addr_b32 v28, v22, v22 offset0:88 offset1:91
	flat_load_b128 v[34:37], v[2:3]
	v_mad_u32_u24 v2, 0x50, v32, v33
	s_waitcnt vmcnt(0) lgkmcnt(0)
	ds_store_b128 v2, v[34:37]
.LBB59_48:
	s_or_b32 exec_lo, exec_lo, s5
	v_sub_f32_e32 v36, v5, v8
	v_sub_f32_e32 v24, v4, v7
	s_waitcnt lgkmcnt(0)
	s_barrier
	buffer_gl0_inv
	v_mul_f32_e32 v3, 0x3fb8aa3b, v36
	v_mul_f32_e32 v2, 0x3fb8aa3b, v24
	v_cmp_ngt_f32_e32 vcc_lo, 0xc2ce8ed0, v24
	s_delay_alu instid0(VALU_DEP_3) | instskip(NEXT) | instid1(VALU_DEP_3)
	v_rndne_f32_e32 v28, v3
	v_fma_f32 v4, 0x3fb8aa3b, v24, -v2
	v_rndne_f32_e32 v27, v2
	s_delay_alu instid0(VALU_DEP_2) | instskip(NEXT) | instid1(VALU_DEP_2)
	v_fmac_f32_e32 v4, 0x32a5705f, v24
	v_sub_f32_e32 v2, v2, v27
	v_cvt_i32_f32_e32 v27, v27
	s_delay_alu instid0(VALU_DEP_2) | instskip(NEXT) | instid1(VALU_DEP_1)
	v_add_f32_e32 v2, v2, v4
	v_exp_f32_e32 v33, v2
	s_waitcnt_depctr 0xfff
	v_ldexp_f32 v27, v33, v27
	s_delay_alu instid0(VALU_DEP_1) | instskip(SKIP_4) | instid1(VALU_DEP_4)
	v_cndmask_b32_e32 v33, 0, v27, vcc_lo
	v_fma_f32 v5, 0x3fb8aa3b, v36, -v3
	v_sub_f32_e32 v3, v3, v28
	v_cvt_i32_f32_e32 v28, v28
	v_cmp_ngt_f32_e32 vcc_lo, 0xc2ce8ed0, v36
	v_fmac_f32_e32 v5, 0x32a5705f, v36
	s_delay_alu instid0(VALU_DEP_1)
	v_add_f32_e32 v32, v3, v5
	ds_load_2addr_b32 v[22:23], v21 offset1:20
	ds_load_b128 v[2:5], v20
	ds_load_2addr_b32 v[40:41], v21 offset0:160 offset1:180
	v_exp_f32_e32 v32, v32
	s_waitcnt_depctr 0xfff
	v_ldexp_f32 v32, v32, v28
	ds_load_2addr_b32 v[27:28], v21 offset0:40 offset1:60
	v_cndmask_b32_e32 v37, 0, v32, vcc_lo
	v_cmp_nlt_f32_e32 vcc_lo, 0x42b17218, v24
	s_waitcnt lgkmcnt(2)
	v_pk_mul_f16 v24, v22, v2 op_sel_hi:[1,0]
	v_pk_mul_f16 v2, v22, v2 op_sel:[0,1]
	v_cndmask_b32_e32 v42, 0x7f800000, v33, vcc_lo
	v_cmp_nlt_f32_e32 vcc_lo, 0x42b17218, v36
	ds_load_b128 v[32:35], v20 offset:16
	v_cvt_f16_f32_e32 v38, v42
	v_cndmask_b32_e32 v43, 0x7f800000, v37, vcc_lo
	ds_load_2addr_b32 v[36:37], v21 offset0:80 offset1:100
	v_fmac_f32_e32 v0, v26, v42
	v_pk_fma_f16 v19, v38, v19, v24 op_sel_hi:[0,1,1]
	v_cvt_f16_f32_e32 v22, v43
	s_delay_alu instid0(VALU_DEP_3) | instskip(NEXT) | instid1(VALU_DEP_2)
	v_dual_fmac_f32 v1, v25, v43 :: v_dual_mov_b32 v26, v0
	v_pk_fma_f16 v2, v17, v22, v2 op_sel_hi:[1,0,1]
	s_delay_alu instid0(VALU_DEP_4) | instskip(NEXT) | instid1(VALU_DEP_3)
	v_pk_fma_f16 v17, v23, v3, v19 op_sel_hi:[1,0,1]
	v_mov_b32_e32 v25, v1
	v_mov_b32_e32 v1, v18
	s_delay_alu instid0(VALU_DEP_4)
	v_pk_fma_f16 v2, v23, v3, v2 op_sel:[0,1,0]
	s_waitcnt lgkmcnt(2)
	v_pk_fma_f16 v3, v27, v4, v17 op_sel_hi:[1,0,1]
	ds_load_2addr_b32 v[22:23], v21 offset0:120 offset1:140
	v_pk_fma_f16 v2, v27, v4, v2 op_sel:[0,1,0]
	v_pk_fma_f16 v3, v28, v5, v3 op_sel_hi:[1,0,1]
	s_delay_alu instid0(VALU_DEP_2) | instskip(SKIP_1) | instid1(VALU_DEP_2)
	v_pk_fma_f16 v17, v28, v5, v2 op_sel:[0,1,0]
	s_waitcnt lgkmcnt(1)
	v_pk_fma_f16 v19, v36, v32, v3 op_sel_hi:[1,0,1]
	ds_load_b128 v[2:5], v20 offset:32
	ds_load_2addr_b32 v[27:28], v21 offset0:200 offset1:220
	v_pk_fma_f16 v17, v36, v32, v17 op_sel:[0,1,0]
	v_pk_fma_f16 v19, v37, v33, v19 op_sel_hi:[1,0,1]
	s_delay_alu instid0(VALU_DEP_2)
	v_pk_fma_f16 v17, v37, v33, v17 op_sel:[0,1,0]
	ds_load_b128 v[36:39], v20 offset:48
	s_waitcnt lgkmcnt(3)
	v_pk_fma_f16 v19, v22, v34, v19 op_sel_hi:[1,0,1]
	v_pk_fma_f16 v17, v22, v34, v17 op_sel:[0,1,0]
	v_add_nc_u32_e32 v22, 0x200, v21
	s_delay_alu instid0(VALU_DEP_3) | instskip(NEXT) | instid1(VALU_DEP_3)
	v_pk_fma_f16 v19, v23, v35, v19 op_sel_hi:[1,0,1]
	v_pk_fma_f16 v17, v23, v35, v17 op_sel:[0,1,0]
	ds_load_2addr_b32 v[22:23], v22 offset0:112 offset1:132
	s_waitcnt lgkmcnt(3)
	v_pk_fma_f16 v19, v40, v2, v19 op_sel_hi:[1,0,1]
	v_pk_fma_f16 v2, v40, v2, v17 op_sel:[0,1,0]
	s_delay_alu instid0(VALU_DEP_2) | instskip(SKIP_1) | instid1(VALU_DEP_3)
	v_pk_fma_f16 v17, v41, v3, v19 op_sel_hi:[1,0,1]
	v_add_nc_u32_e32 v19, 0x400, v21
	v_pk_fma_f16 v2, v41, v3, v2 op_sel:[0,1,0]
	s_waitcnt lgkmcnt(2)
	s_delay_alu instid0(VALU_DEP_3) | instskip(SKIP_3) | instid1(VALU_DEP_2)
	v_pk_fma_f16 v3, v27, v4, v17 op_sel_hi:[1,0,1]
	ds_load_2addr_b32 v[32:33], v19 offset0:24 offset1:44
	v_pk_fma_f16 v2, v27, v4, v2 op_sel:[0,1,0]
	v_pk_fma_f16 v3, v28, v5, v3 op_sel_hi:[1,0,1]
	v_pk_fma_f16 v17, v28, v5, v2 op_sel:[0,1,0]
	ds_load_2addr_b32 v[27:28], v19 offset0:64 offset1:84
	s_waitcnt lgkmcnt(2)
	v_pk_fma_f16 v24, v22, v36, v3 op_sel_hi:[1,0,1]
	ds_load_b128 v[2:5], v20 offset:64
	v_pk_fma_f16 v17, v22, v36, v17 op_sel:[0,1,0]
	v_pk_fma_f16 v24, v23, v37, v24 op_sel_hi:[1,0,1]
	s_delay_alu instid0(VALU_DEP_2) | instskip(SKIP_4) | instid1(VALU_DEP_2)
	v_pk_fma_f16 v17, v23, v37, v17 op_sel:[0,1,0]
	ds_load_2addr_b32 v[22:23], v19 offset0:104 offset1:124
	s_waitcnt lgkmcnt(3)
	v_pk_fma_f16 v24, v32, v38, v24 op_sel_hi:[1,0,1]
	v_pk_fma_f16 v17, v32, v38, v17 op_sel:[0,1,0]
	v_pk_fma_f16 v24, v33, v39, v24 op_sel_hi:[1,0,1]
	s_delay_alu instid0(VALU_DEP_2)
	v_pk_fma_f16 v17, v33, v39, v17 op_sel:[0,1,0]
	ds_load_b128 v[32:35], v20 offset:80
	ds_load_2addr_b32 v[36:37], v19 offset0:144 offset1:164
	s_waitcnt lgkmcnt(3)
	v_pk_fma_f16 v24, v27, v2, v24 op_sel_hi:[1,0,1]
	v_pk_fma_f16 v2, v27, v2, v17 op_sel:[0,1,0]
	s_delay_alu instid0(VALU_DEP_2) | instskip(NEXT) | instid1(VALU_DEP_2)
	v_pk_fma_f16 v17, v28, v3, v24 op_sel_hi:[1,0,1]
	v_pk_fma_f16 v2, v28, v3, v2 op_sel:[0,1,0]
	ds_load_2addr_b32 v[27:28], v19 offset0:184 offset1:204
	s_waitcnt lgkmcnt(3)
	v_pk_fma_f16 v3, v22, v4, v17 op_sel_hi:[1,0,1]
	v_pk_fma_f16 v2, v22, v4, v2 op_sel:[0,1,0]
	s_delay_alu instid0(VALU_DEP_2) | instskip(NEXT) | instid1(VALU_DEP_2)
	v_pk_fma_f16 v3, v23, v5, v3 op_sel_hi:[1,0,1]
	v_pk_fma_f16 v17, v23, v5, v2 op_sel:[0,1,0]
	ds_load_2addr_b32 v[23:24], v19 offset0:224 offset1:244
	s_waitcnt lgkmcnt(2)
	v_pk_fma_f16 v19, v36, v32, v3 op_sel_hi:[1,0,1]
	ds_load_b128 v[2:5], v20 offset:96
	v_pk_fma_f16 v17, v36, v32, v17 op_sel:[0,1,0]
	v_add_nc_u32_e32 v36, 0x800, v21
	v_pk_fma_f16 v19, v37, v33, v19 op_sel_hi:[1,0,1]
	s_delay_alu instid0(VALU_DEP_3) | instskip(SKIP_4) | instid1(VALU_DEP_2)
	v_pk_fma_f16 v17, v37, v33, v17 op_sel:[0,1,0]
	ds_load_2addr_b32 v[32:33], v36 offset0:8 offset1:28
	s_waitcnt lgkmcnt(3)
	v_pk_fma_f16 v19, v27, v34, v19 op_sel_hi:[1,0,1]
	v_pk_fma_f16 v17, v27, v34, v17 op_sel:[0,1,0]
	v_pk_fma_f16 v34, v28, v35, v19 op_sel_hi:[1,0,1]
	s_delay_alu instid0(VALU_DEP_2)
	v_pk_fma_f16 v17, v28, v35, v17 op_sel:[0,1,0]
	ds_load_b128 v[19:22], v20 offset:112
	ds_load_2addr_b32 v[27:28], v36 offset0:48 offset1:68
	s_waitcnt lgkmcnt(3)
	v_pk_fma_f16 v34, v23, v2, v34 op_sel_hi:[1,0,1]
	v_pk_fma_f16 v2, v23, v2, v17 op_sel:[0,1,0]
	s_delay_alu instid0(VALU_DEP_2) | instskip(NEXT) | instid1(VALU_DEP_2)
	v_pk_fma_f16 v17, v24, v3, v34 op_sel_hi:[1,0,1]
	v_pk_fma_f16 v23, v24, v3, v2 op_sel:[0,1,0]
	ds_load_2addr_b32 v[2:3], v36 offset0:88 offset1:108
	s_waitcnt lgkmcnt(0)
	s_barrier
	v_pk_fma_f16 v17, v32, v4, v17 op_sel_hi:[1,0,1]
	v_pk_fma_f16 v4, v32, v4, v23 op_sel:[0,1,0]
	buffer_gl0_inv
	v_pk_fma_f16 v17, v33, v5, v17 op_sel_hi:[1,0,1]
	v_pk_fma_f16 v4, v33, v5, v4 op_sel:[0,1,0]
	s_delay_alu instid0(VALU_DEP_2) | instskip(NEXT) | instid1(VALU_DEP_2)
	v_pk_fma_f16 v5, v27, v19, v17 op_sel_hi:[1,0,1]
	v_pk_fma_f16 v4, v27, v19, v4 op_sel:[0,1,0]
	s_delay_alu instid0(VALU_DEP_2) | instskip(NEXT) | instid1(VALU_DEP_2)
	;; [unrolled: 3-line block ×3, first 2 shown]
	v_pk_fma_f16 v17, v2, v21, v5 op_sel_hi:[1,0,1]
	v_pk_fma_f16 v2, v2, v21, v4 op_sel:[0,1,0]
	v_dual_mov_b32 v4, v7 :: v_dual_mov_b32 v5, v8
	s_delay_alu instid0(VALU_DEP_3) | instskip(NEXT) | instid1(VALU_DEP_3)
	v_pk_fma_f16 v19, v3, v22, v17 op_sel_hi:[1,0,1]
	v_pk_fma_f16 v17, v3, v22, v2 op_sel:[0,1,0]
.LBB59_49:
	v_cmp_lt_i32_e32 vcc_lo, v10, v30
	s_cmp_eq_u64 s[24:25], 0
	s_cselect_b32 s0, -1, 0
	s_cmp_lg_u32 s14, 0
	v_cndmask_b32_e32 v0, v1, v10, vcc_lo
	v_cmp_lt_i32_e32 vcc_lo, v9, v30
	s_cselect_b32 s1, -1, 0
	s_delay_alu instid0(SALU_CYCLE_1) | instskip(SKIP_2) | instid1(VALU_DEP_2)
	s_or_b32 s0, s1, s0
	v_cndmask_b32_e32 v3, v1, v9, vcc_lo
	v_cmp_lt_i32_e32 vcc_lo, v11, v30
	v_lshlrev_b32_e32 v3, 2, v3
	v_lshlrev_b32_e32 v0, 2, v0
	v_cndmask_b32_e32 v8, v1, v11, vcc_lo
	v_cmp_lt_i32_e32 vcc_lo, v29, v30
	ds_bpermute_b32 v2, v0, v26
	ds_bpermute_b32 v0, v0, v25
	v_lshlrev_b32_e32 v8, 2, v8
	s_waitcnt lgkmcnt(1)
	v_add_f32_e32 v2, v26, v2
	s_waitcnt lgkmcnt(0)
	v_add_f32_e32 v0, v25, v0
	ds_bpermute_b32 v7, v3, v2
	ds_bpermute_b32 v3, v3, v0
	s_waitcnt lgkmcnt(1)
	v_add_f32_e32 v2, v2, v7
	s_waitcnt lgkmcnt(0)
	v_add_f32_e32 v0, v0, v3
	ds_bpermute_b32 v3, v8, v2
	ds_bpermute_b32 v7, v8, v0
	v_cndmask_b32_e32 v8, v1, v29, vcc_lo
	v_cmp_lt_i32_e32 vcc_lo, v31, v30
	s_delay_alu instid0(VALU_DEP_2) | instskip(SKIP_2) | instid1(VALU_DEP_1)
	v_dual_cndmask_b32 v1, v1, v31 :: v_dual_lshlrev_b32 v8, 2, v8
	s_and_b32 vcc_lo, exec_lo, s0
	s_waitcnt lgkmcnt(1)
	v_dual_add_f32 v2, v2, v3 :: v_dual_lshlrev_b32 v1, 2, v1
	s_waitcnt lgkmcnt(0)
	v_add_f32_e32 v0, v0, v7
	ds_bpermute_b32 v3, v8, v2
	ds_bpermute_b32 v7, v8, v0
	s_waitcnt lgkmcnt(1)
	v_add_f32_e32 v2, v2, v3
	s_waitcnt lgkmcnt(0)
	v_add_f32_e32 v3, v0, v7
	ds_bpermute_b32 v0, v1, v2
	ds_bpermute_b32 v1, v1, v3
	s_waitcnt lgkmcnt(0)
	v_dual_add_f32 v0, v2, v0 :: v_dual_add_f32 v1, v3, v1
	s_cbranch_vccnz .LBB59_52
; %bb.50:
	s_lshl_b64 s[0:1], s[22:23], 2
	v_dual_mov_b32 v2, 0 :: v_dual_max_f32 v3, v4, v4
	s_add_u32 s0, s24, s0
	s_addc_u32 s1, s25, s1
	v_max_f32_e32 v9, v5, v5
	global_load_b32 v2, v2, s[0:1]
	s_waitcnt vmcnt(0)
	v_max_f32_e32 v8, v2, v2
	s_delay_alu instid0(VALU_DEP_1) | instskip(NEXT) | instid1(VALU_DEP_1)
	v_max_f32_e32 v7, v3, v8
	v_dual_max_f32 v8, v9, v8 :: v_dual_sub_f32 v3, v4, v7
	s_delay_alu instid0(VALU_DEP_1) | instskip(NEXT) | instid1(VALU_DEP_2)
	v_dual_sub_f32 v4, v2, v7 :: v_dual_sub_f32 v5, v5, v8
	v_dual_sub_f32 v9, v2, v8 :: v_dual_mul_f32 v2, 0x3fb8aa3b, v3
	s_delay_alu instid0(VALU_DEP_2) | instskip(SKIP_1) | instid1(VALU_DEP_3)
	v_dual_mul_f32 v10, 0x3fb8aa3b, v4 :: v_dual_mul_f32 v11, 0x3fb8aa3b, v5
	v_cmp_ngt_f32_e32 vcc_lo, 0xc2ce8ed0, v3
	v_fma_f32 v20, 0x3fb8aa3b, v3, -v2
	s_delay_alu instid0(VALU_DEP_3) | instskip(NEXT) | instid1(VALU_DEP_4)
	v_fma_f32 v22, 0x3fb8aa3b, v4, -v10
	v_fma_f32 v24, 0x3fb8aa3b, v5, -v11
	v_rndne_f32_e32 v25, v11
	v_rndne_f32_e32 v23, v10
	v_fmac_f32_e32 v20, 0x32a5705f, v3
	v_fmac_f32_e32 v22, 0x32a5705f, v4
	;; [unrolled: 1-line block ×3, first 2 shown]
	v_sub_f32_e32 v11, v11, v25
	v_mul_f32_e32 v18, 0x3fb8aa3b, v9
	v_sub_f32_e32 v10, v10, v23
	v_rndne_f32_e32 v21, v2
	s_delay_alu instid0(VALU_DEP_4) | instskip(NEXT) | instid1(VALU_DEP_4)
	v_add_f32_e32 v11, v11, v24
	v_fma_f32 v26, 0x3fb8aa3b, v9, -v18
	s_delay_alu instid0(VALU_DEP_4)
	v_add_f32_e32 v10, v10, v22
	v_cvt_i32_f32_e32 v22, v25
	v_rndne_f32_e32 v27, v18
	v_exp_f32_e32 v11, v11
	v_fmac_f32_e32 v26, 0x32a5705f, v9
	v_exp_f32_e32 v10, v10
	s_delay_alu instid0(VALU_DEP_2) | instskip(NEXT) | instid1(VALU_DEP_1)
	v_sub_f32_e32 v18, v18, v27
	v_add_f32_e32 v18, v18, v26
	s_waitcnt_depctr 0xfff
	v_ldexp_f32 v11, v11, v22
	v_sub_f32_e32 v2, v2, v21
	v_exp_f32_e32 v18, v18
	s_delay_alu instid0(VALU_DEP_1) | instskip(SKIP_3) | instid1(VALU_DEP_4)
	v_add_f32_e32 v2, v2, v20
	v_cvt_i32_f32_e32 v20, v21
	v_cvt_i32_f32_e32 v21, v23
	;; [unrolled: 1-line block ×3, first 2 shown]
	v_exp_f32_e32 v2, v2
	s_delay_alu instid0(VALU_DEP_2)
	v_ldexp_f32 v10, v10, v21
	s_delay_alu instid0(TRANS32_DEP_2) | instid1(VALU_DEP_2)
	v_ldexp_f32 v18, v18, v23
	s_waitcnt_depctr 0xfff
	v_ldexp_f32 v2, v2, v20
	s_delay_alu instid0(VALU_DEP_1)
	v_cndmask_b32_e32 v2, 0, v2, vcc_lo
	v_cmp_ngt_f32_e32 vcc_lo, 0xc2ce8ed0, v4
	v_cndmask_b32_e32 v10, 0, v10, vcc_lo
	v_cmp_ngt_f32_e32 vcc_lo, 0xc2ce8ed0, v5
	;; [unrolled: 2-line block ×3, first 2 shown]
	v_cndmask_b32_e32 v18, 0, v18, vcc_lo
	v_cmp_nlt_f32_e32 vcc_lo, 0x42b17218, v3
	v_cndmask_b32_e32 v20, 0x7f800000, v2, vcc_lo
	v_cmp_nlt_f32_e32 vcc_lo, 0x42b17218, v4
	;; [unrolled: 2-line block ×3, first 2 shown]
	s_delay_alu instid0(VALU_DEP_2) | instskip(SKIP_3) | instid1(VALU_DEP_3)
	v_fmac_f32_e32 v2, v0, v20
	v_cndmask_b32_e32 v4, 0x7f800000, v11, vcc_lo
	v_cmp_nlt_f32_e32 vcc_lo, 0x42b17218, v9
	v_cvt_f16_f32_e32 v0, v20
	v_cvt_f16_f32_e32 v5, v4
	v_cndmask_b32_e32 v3, 0x7f800000, v18, vcc_lo
	s_delay_alu instid0(VALU_DEP_3) | instskip(NEXT) | instid1(VALU_DEP_3)
	v_pk_mul_f16 v19, v19, v0 op_sel_hi:[1,0]
	v_pk_mul_f16 v17, v17, v5 op_sel_hi:[1,0]
	s_delay_alu instid0(VALU_DEP_3) | instskip(SKIP_2) | instid1(VALU_DEP_3)
	v_fmac_f32_e32 v3, v1, v4
	v_mov_b32_e32 v0, v2
	v_dual_mov_b32 v4, v7 :: v_dual_mov_b32 v5, v8
	v_mov_b32_e32 v1, v3
	s_mov_b32 s0, exec_lo
	v_cmpx_gt_i32_e64 s38, v16
	s_cbranch_execnz .LBB59_53
.LBB59_51:
	s_nop 0
	s_sendmsg sendmsg(MSG_DEALLOC_VGPRS)
	s_endpgm
.LBB59_52:
	s_delay_alu instid0(VALU_DEP_1)
	v_dual_mov_b32 v2, v0 :: v_dual_mov_b32 v3, v1
	s_mov_b32 s0, exec_lo
	v_cmpx_gt_i32_e64 s38, v16
	s_cbranch_execz .LBB59_51
.LBB59_53:
	s_load_b32 s0, s[2:3], 0xd4
	v_mov_b32_e32 v9, 1.0
	s_waitcnt lgkmcnt(0)
	s_cmp_lg_u32 s0, 1
	s_cselect_b32 s3, -1, 0
	s_cmp_eq_u32 s0, 1
	s_cselect_b32 s1, -1, 0
	s_and_b32 vcc_lo, exec_lo, s3
	s_cbranch_vccnz .LBB59_55
; %bb.54:
	v_div_scale_f32 v7, null, v2, v2, 1.0
	s_delay_alu instid0(VALU_DEP_1) | instskip(SKIP_2) | instid1(VALU_DEP_1)
	v_rcp_f32_e32 v8, v7
	s_waitcnt_depctr 0xfff
	v_fma_f32 v9, -v7, v8, 1.0
	v_fmac_f32_e32 v8, v9, v8
	v_div_scale_f32 v9, vcc_lo, 1.0, v2, 1.0
	s_delay_alu instid0(VALU_DEP_1) | instskip(NEXT) | instid1(VALU_DEP_1)
	v_mul_f32_e32 v10, v9, v8
	v_fma_f32 v11, -v7, v10, v9
	s_delay_alu instid0(VALU_DEP_1) | instskip(NEXT) | instid1(VALU_DEP_1)
	v_fmac_f32_e32 v10, v11, v8
	v_fma_f32 v7, -v7, v10, v9
	s_delay_alu instid0(VALU_DEP_1) | instskip(NEXT) | instid1(VALU_DEP_1)
	v_div_fmas_f32 v7, v7, v8, v10
	v_div_fixup_f32 v9, v7, v2, 1.0
.LBB59_55:
	s_mul_i32 s2, s33, s38
	s_delay_alu instid0(SALU_CYCLE_1) | instskip(NEXT) | instid1(SALU_CYCLE_1)
	s_add_i32 s2, s2, s15
	v_add_nc_u32_e32 v2, s2, v15
	s_delay_alu instid0(VALU_DEP_1) | instskip(NEXT) | instid1(VALU_DEP_1)
	v_mad_u64_u32 v[10:11], null, v2, s39, s[22:23]
	v_mad_u64_u32 v[7:8], null, s0, v10, s[14:15]
	s_and_saveexec_b32 s5, s4
	s_cbranch_execz .LBB59_57
; %bb.56:
	s_delay_alu instid0(VALU_DEP_1) | instskip(SKIP_3) | instid1(VALU_DEP_3)
	v_mad_u64_u32 v[10:11], null, v7, 40, v[6:7]
	v_cvt_f32_f16_e32 v8, v19
	v_mov_b32_e32 v11, 0
	v_lshrrev_b32_e32 v2, 16, v19
	v_mul_f32_e32 v8, v9, v8
	s_delay_alu instid0(VALU_DEP_3) | instskip(NEXT) | instid1(VALU_DEP_3)
	v_lshlrev_b64 v[10:11], 2, v[10:11]
	v_cvt_f32_f16_e32 v2, v2
	s_delay_alu instid0(VALU_DEP_1) | instskip(NEXT) | instid1(VALU_DEP_3)
	v_mul_f32_e32 v9, v9, v2
	v_add_co_u32 v10, vcc_lo, s28, v10
	s_delay_alu instid0(VALU_DEP_4)
	v_add_co_ci_u32_e32 v11, vcc_lo, s29, v11, vcc_lo
	global_store_b64 v[10:11], v[8:9], off
.LBB59_57:
	s_or_b32 exec_lo, exec_lo, s5
	v_cmp_eq_u32_e32 vcc_lo, 0, v12
	s_and_b32 s3, vcc_lo, s3
	s_delay_alu instid0(SALU_CYCLE_1)
	s_and_saveexec_b32 s5, s3
	s_cbranch_execz .LBB59_59
; %bb.58:
	v_ashrrev_i32_e32 v8, 31, v7
	v_mov_b32_e32 v9, v4
	v_mov_b32_e32 v10, v0
	s_delay_alu instid0(VALU_DEP_3) | instskip(NEXT) | instid1(VALU_DEP_1)
	v_lshlrev_b64 v[7:8], 3, v[7:8]
	v_add_co_u32 v7, vcc_lo, s30, v7
	s_delay_alu instid0(VALU_DEP_2)
	v_add_co_ci_u32_e32 v8, vcc_lo, s31, v8, vcc_lo
	global_store_b64 v[7:8], v[9:10], off
.LBB59_59:
	s_or_b32 exec_lo, exec_lo, s5
	v_cmp_gt_i32_e32 vcc_lo, s38, v14
	s_and_b32 exec_lo, exec_lo, vcc_lo
	s_cbranch_execz .LBB59_51
; %bb.60:
	v_mov_b32_e32 v0, 1.0
	s_and_not1_b32 vcc_lo, exec_lo, s1
	s_cbranch_vccnz .LBB59_62
; %bb.61:
	v_div_scale_f32 v0, null, v3, v3, 1.0
	s_delay_alu instid0(VALU_DEP_1) | instskip(SKIP_2) | instid1(VALU_DEP_1)
	v_rcp_f32_e32 v2, v0
	s_waitcnt_depctr 0xfff
	v_fma_f32 v4, -v0, v2, 1.0
	v_fmac_f32_e32 v2, v4, v2
	v_div_scale_f32 v4, vcc_lo, 1.0, v3, 1.0
	s_delay_alu instid0(VALU_DEP_1) | instskip(NEXT) | instid1(VALU_DEP_1)
	v_mul_f32_e32 v7, v4, v2
	v_fma_f32 v8, -v0, v7, v4
	s_delay_alu instid0(VALU_DEP_1) | instskip(NEXT) | instid1(VALU_DEP_1)
	v_fmac_f32_e32 v7, v8, v2
	v_fma_f32 v0, -v0, v7, v4
	s_delay_alu instid0(VALU_DEP_1) | instskip(NEXT) | instid1(VALU_DEP_1)
	v_div_fmas_f32 v0, v0, v2, v7
	v_div_fixup_f32 v0, v0, v3, 1.0
.LBB59_62:
	v_add_nc_u32_e32 v2, s2, v13
	s_delay_alu instid0(VALU_DEP_1) | instskip(NEXT) | instid1(VALU_DEP_1)
	v_mad_u64_u32 v[7:8], null, v2, s39, s[22:23]
	v_mad_u64_u32 v[2:3], null, s0, v7, s[14:15]
	s_and_saveexec_b32 s0, s4
	s_cbranch_execz .LBB59_64
; %bb.63:
	s_delay_alu instid0(VALU_DEP_1) | instskip(SKIP_2) | instid1(VALU_DEP_2)
	v_mad_u64_u32 v[3:4], null, v2, 40, v[6:7]
	v_lshrrev_b32_e32 v6, 16, v17
	v_cvt_f32_f16_e32 v7, v17
	v_cvt_f32_f16_e32 v8, v6
	v_mov_b32_e32 v4, 0
	s_delay_alu instid0(VALU_DEP_3) | instskip(NEXT) | instid1(VALU_DEP_3)
	v_mul_f32_e32 v6, v0, v7
	v_mul_f32_e32 v7, v0, v8
	s_delay_alu instid0(VALU_DEP_3) | instskip(NEXT) | instid1(VALU_DEP_1)
	v_lshlrev_b64 v[3:4], 2, v[3:4]
	v_add_co_u32 v3, vcc_lo, s28, v3
	s_delay_alu instid0(VALU_DEP_2)
	v_add_co_ci_u32_e32 v4, vcc_lo, s29, v4, vcc_lo
	global_store_b64 v[3:4], v[6:7], off
.LBB59_64:
	s_or_b32 exec_lo, exec_lo, s0
	s_delay_alu instid0(SALU_CYCLE_1)
	s_and_b32 exec_lo, exec_lo, s3
	s_cbranch_execz .LBB59_51
; %bb.65:
	s_delay_alu instid0(VALU_DEP_1) | instskip(SKIP_1) | instid1(VALU_DEP_2)
	v_ashrrev_i32_e32 v3, 31, v2
	v_mov_b32_e32 v0, v5
	v_lshlrev_b64 v[2:3], 3, v[2:3]
	s_delay_alu instid0(VALU_DEP_1) | instskip(NEXT) | instid1(VALU_DEP_2)
	v_add_co_u32 v2, vcc_lo, s30, v2
	v_add_co_ci_u32_e32 v3, vcc_lo, s31, v3, vcc_lo
	global_store_b64 v[2:3], v[0:1], off
	s_nop 0
	s_sendmsg sendmsg(MSG_DEALLOC_VGPRS)
	s_endpgm
	.section	.rodata,"a",@progbits
	.p2align	6, 0x0
	.amdhsa_kernel _ZL15flash_attn_tileILi40ELi40ELi16ELi1ELb0EEvPKcS1_S1_S1_S1_PKiPfP15HIP_vector_typeIfLj2EEffffjfiS5_IjLj3EEiiiiiiiiiiiliiliiiiil
		.amdhsa_group_segment_fixed_size 13664
		.amdhsa_private_segment_fixed_size 32
		.amdhsa_kernarg_size 464
		.amdhsa_user_sgpr_count 13
		.amdhsa_user_sgpr_dispatch_ptr 1
		.amdhsa_user_sgpr_queue_ptr 0
		.amdhsa_user_sgpr_kernarg_segment_ptr 1
		.amdhsa_user_sgpr_dispatch_id 0
		.amdhsa_user_sgpr_private_segment_size 0
		.amdhsa_wavefront_size32 1
		.amdhsa_uses_dynamic_stack 0
		.amdhsa_enable_private_segment 1
		.amdhsa_system_sgpr_workgroup_id_x 1
		.amdhsa_system_sgpr_workgroup_id_y 1
		.amdhsa_system_sgpr_workgroup_id_z 1
		.amdhsa_system_sgpr_workgroup_info 0
		.amdhsa_system_vgpr_workitem_id 2
		.amdhsa_next_free_vgpr 60
		.amdhsa_next_free_sgpr 48
		.amdhsa_reserve_vcc 1
		.amdhsa_float_round_mode_32 0
		.amdhsa_float_round_mode_16_64 0
		.amdhsa_float_denorm_mode_32 3
		.amdhsa_float_denorm_mode_16_64 3
		.amdhsa_dx10_clamp 1
		.amdhsa_ieee_mode 1
		.amdhsa_fp16_overflow 0
		.amdhsa_workgroup_processor_mode 1
		.amdhsa_memory_ordered 1
		.amdhsa_forward_progress 0
		.amdhsa_shared_vgpr_count 0
		.amdhsa_exception_fp_ieee_invalid_op 0
		.amdhsa_exception_fp_denorm_src 0
		.amdhsa_exception_fp_ieee_div_zero 0
		.amdhsa_exception_fp_ieee_overflow 0
		.amdhsa_exception_fp_ieee_underflow 0
		.amdhsa_exception_fp_ieee_inexact 0
		.amdhsa_exception_int_div_zero 0
	.end_amdhsa_kernel
	.section	.text._ZL15flash_attn_tileILi40ELi40ELi16ELi1ELb0EEvPKcS1_S1_S1_S1_PKiPfP15HIP_vector_typeIfLj2EEffffjfiS5_IjLj3EEiiiiiiiiiiiliiliiiiil,"axG",@progbits,_ZL15flash_attn_tileILi40ELi40ELi16ELi1ELb0EEvPKcS1_S1_S1_S1_PKiPfP15HIP_vector_typeIfLj2EEffffjfiS5_IjLj3EEiiiiiiiiiiiliiliiiiil,comdat
.Lfunc_end59:
	.size	_ZL15flash_attn_tileILi40ELi40ELi16ELi1ELb0EEvPKcS1_S1_S1_S1_PKiPfP15HIP_vector_typeIfLj2EEffffjfiS5_IjLj3EEiiiiiiiiiiiliiliiiiil, .Lfunc_end59-_ZL15flash_attn_tileILi40ELi40ELi16ELi1ELb0EEvPKcS1_S1_S1_S1_PKiPfP15HIP_vector_typeIfLj2EEffffjfiS5_IjLj3EEiiiiiiiiiiiliiliiiiil
                                        ; -- End function
	.section	.AMDGPU.csdata,"",@progbits
; Kernel info:
; codeLenInByte = 11500
; NumSgprs: 50
; NumVgprs: 60
; ScratchSize: 32
; MemoryBound: 0
; FloatMode: 240
; IeeeMode: 1
; LDSByteSize: 13664 bytes/workgroup (compile time only)
; SGPRBlocks: 6
; VGPRBlocks: 7
; NumSGPRsForWavesPerEU: 50
; NumVGPRsForWavesPerEU: 60
; Occupancy: 16
; WaveLimiterHint : 1
; COMPUTE_PGM_RSRC2:SCRATCH_EN: 1
; COMPUTE_PGM_RSRC2:USER_SGPR: 13
; COMPUTE_PGM_RSRC2:TRAP_HANDLER: 0
; COMPUTE_PGM_RSRC2:TGID_X_EN: 1
; COMPUTE_PGM_RSRC2:TGID_Y_EN: 1
; COMPUTE_PGM_RSRC2:TGID_Z_EN: 1
; COMPUTE_PGM_RSRC2:TIDIG_COMP_CNT: 2
	.section	.text._ZL33flash_attn_stream_k_fixup_uniformILi40ELi16ELi1EEvPfPK15HIP_vector_typeIfLj2EEiiiiiiS1_IjLj3EES5_S5_,"axG",@progbits,_ZL33flash_attn_stream_k_fixup_uniformILi40ELi16ELi1EEvPfPK15HIP_vector_typeIfLj2EEiiiiiiS1_IjLj3EES5_S5_,comdat
	.globl	_ZL33flash_attn_stream_k_fixup_uniformILi40ELi16ELi1EEvPfPK15HIP_vector_typeIfLj2EEiiiiiiS1_IjLj3EES5_S5_ ; -- Begin function _ZL33flash_attn_stream_k_fixup_uniformILi40ELi16ELi1EEvPfPK15HIP_vector_typeIfLj2EEiiiiiiS1_IjLj3EES5_S5_
	.p2align	8
	.type	_ZL33flash_attn_stream_k_fixup_uniformILi40ELi16ELi1EEvPfPK15HIP_vector_typeIfLj2EEiiiiiiS1_IjLj3EES5_S5_,@function
_ZL33flash_attn_stream_k_fixup_uniformILi40ELi16ELi1EEvPfPK15HIP_vector_typeIfLj2EEiiiiiiS1_IjLj3EES5_S5_: ; @_ZL33flash_attn_stream_k_fixup_uniformILi40ELi16ELi1EEvPfPK15HIP_vector_typeIfLj2EEiiiiiiS1_IjLj3EES5_S5_
; %bb.0:
	s_clause 0x1
	s_load_b256 s[4:11], s[0:1], 0x1c
	s_load_b128 s[16:19], s[0:1], 0x3c
	s_waitcnt lgkmcnt(0)
	s_mul_hi_u32 s2, s7, s13
	s_delay_alu instid0(SALU_CYCLE_1) | instskip(NEXT) | instid1(SALU_CYCLE_1)
	s_add_i32 s2, s13, s2
	s_lshr_b32 s2, s2, s8
	s_delay_alu instid0(SALU_CYCLE_1) | instskip(SKIP_2) | instid1(SALU_CYCLE_1)
	s_mul_i32 s3, s2, s9
	s_load_b64 s[8:9], s[0:1], 0x10
	s_sub_i32 s3, s13, s3
	s_mul_hi_u32 s7, s3, s10
	s_delay_alu instid0(SALU_CYCLE_1) | instskip(NEXT) | instid1(SALU_CYCLE_1)
	s_add_i32 s7, s3, s7
	s_lshr_b32 s7, s7, s11
	s_delay_alu instid0(SALU_CYCLE_1) | instskip(NEXT) | instid1(SALU_CYCLE_1)
	s_mul_i32 s10, s7, s16
	s_sub_i32 s3, s3, s10
	s_delay_alu instid0(SALU_CYCLE_1) | instskip(NEXT) | instid1(SALU_CYCLE_1)
	s_mul_hi_u32 s10, s3, s17
	s_add_i32 s10, s3, s10
	s_delay_alu instid0(SALU_CYCLE_1) | instskip(NEXT) | instid1(SALU_CYCLE_1)
	s_lshr_b32 s11, s10, s18
	s_mul_i32 s10, s11, s19
	s_delay_alu instid0(SALU_CYCLE_1) | instskip(NEXT) | instid1(SALU_CYCLE_1)
	s_sub_i32 s10, s3, s10
	s_lshl_b32 s3, s10, 4
	s_delay_alu instid0(SALU_CYCLE_1) | instskip(SKIP_4) | instid1(SALU_CYCLE_1)
	s_add_i32 s3, s3, s14
	s_waitcnt lgkmcnt(0)
	s_cmp_lt_i32 s3, s8
	s_cselect_b32 s3, -1, 0
	s_add_i32 s11, s11, s15
	s_cmp_lt_i32 s11, s5
	s_cselect_b32 s12, -1, 0
	s_delay_alu instid0(SALU_CYCLE_1) | instskip(NEXT) | instid1(SALU_CYCLE_1)
	s_and_b32 s3, s3, s12
	s_and_not1_b32 vcc_lo, exec_lo, s3
	s_cbranch_vccnz .LBB60_6
; %bb.1:
	s_mul_i32 s8, s2, s8
	s_mul_i32 s7, s7, s5
	s_add_i32 s8, s8, s14
	s_add_i32 s5, s11, s7
	s_mul_i32 s8, s8, s9
	s_load_b128 s[0:3], s[0:1], 0x0
	s_mul_i32 s7, s9, s10
	s_add_i32 s5, s5, s8
	s_mulk_i32 s7, 0x280
	s_mul_i32 s5, s5, 40
	s_add_i32 s10, s14, s15
	v_add3_u32 v1, s5, s7, v0
	s_mul_i32 s5, s13, s6
	s_delay_alu instid0(SALU_CYCLE_1) | instskip(NEXT) | instid1(VALU_DEP_1)
	s_add_i32 s9, s5, s6
	v_ashrrev_i32_e32 v2, 31, v1
	s_delay_alu instid0(VALU_DEP_1) | instskip(SKIP_1) | instid1(VALU_DEP_1)
	v_lshlrev_b64 v[1:2], 2, v[1:2]
	s_waitcnt lgkmcnt(0)
	v_add_co_u32 v1, vcc_lo, s0, v1
	s_delay_alu instid0(VALU_DEP_2) | instskip(SKIP_1) | instid1(SALU_CYCLE_1)
	v_add_co_ci_u32_e32 v2, vcc_lo, s1, v2, vcc_lo
	s_lshl_b32 s0, s9, 4
	s_add_i32 s0, s10, s0
	global_load_b32 v5, v[1:2], off
	s_add_i32 s0, s0, -16
	s_delay_alu instid0(SALU_CYCLE_1) | instskip(NEXT) | instid1(SALU_CYCLE_1)
	s_ashr_i32 s1, s0, 31
	s_lshl_b64 s[0:1], s[0:1], 3
	s_delay_alu instid0(SALU_CYCLE_1)
	s_add_u32 s0, s2, s0
	s_addc_u32 s1, s3, s1
	s_add_i32 s7, s9, -2
	s_load_b32 s11, s[0:1], 0x4
	s_cmp_lt_i32 s7, s5
	s_cbranch_scc1 .LBB60_4
; %bb.2:
	s_load_b32 s12, s[0:1], 0x0
	s_lshl_b32 s0, s4, 6
	s_waitcnt lgkmcnt(0)
	v_mov_b32_e32 v6, s11
	s_ashr_i32 s1, s0, 31
	s_delay_alu instid0(SALU_CYCLE_1) | instskip(NEXT) | instid1(SALU_CYCLE_1)
	s_lshl_b64 s[0:1], s[0:1], 2
	s_add_u32 s7, s2, s0
	s_addc_u32 s8, s3, s1
	s_add_i32 s13, s13, 1
	s_mul_i32 s1, s10, 40
	s_mul_i32 s0, s6, s13
	s_delay_alu instid0(SALU_CYCLE_1)
	s_lshl_b32 s6, s0, 4
	s_mulk_i32 s0, 0x280
	s_add_i32 s6, s10, s6
	s_add_i32 s1, s1, s0
	s_lshl_b32 s0, s4, 4
	v_add3_u32 v3, s1, v0, 0xfffffb00
	s_add_i32 s6, s6, s0
	v_mov_b32_e32 v0, s12
	s_add_i32 s4, s9, -1
	s_sub_i32 s0, s6, 32
.LBB60_3:                               ; =>This Inner Loop Header: Depth=1
	s_delay_alu instid0(VALU_DEP_2) | instskip(SKIP_1) | instid1(SALU_CYCLE_1)
	v_ashrrev_i32_e32 v4, 31, v3
	s_ashr_i32 s1, s0, 31
	s_lshl_b64 s[10:11], s[0:1], 3
	s_delay_alu instid0(SALU_CYCLE_1) | instskip(NEXT) | instid1(VALU_DEP_1)
	s_add_u32 s10, s2, s10
	v_lshlrev_b64 v[7:8], 2, v[3:4]
	s_addc_u32 s11, s3, s11
	s_add_i32 s4, s4, -1
	s_add_i32 s0, s0, -16
	s_cmp_le_i32 s4, s5
	s_load_b64 s[10:11], s[10:11], 0x0
	v_add_co_u32 v7, vcc_lo, s7, v7
	v_add_co_ci_u32_e32 v8, vcc_lo, s8, v8, vcc_lo
	global_load_b32 v4, v[7:8], off
	v_max_f32_e32 v7, v0, v0
	s_waitcnt lgkmcnt(0)
	v_max_f32_e64 v8, s10, s10
	s_delay_alu instid0(VALU_DEP_1) | instskip(NEXT) | instid1(VALU_DEP_1)
	v_max_f32_e32 v7, v7, v8
	v_sub_f32_e32 v8, s10, v7
	s_delay_alu instid0(VALU_DEP_1) | instskip(NEXT) | instid1(VALU_DEP_1)
	v_dual_sub_f32 v0, v0, v7 :: v_dual_mul_f32 v9, 0x3fb8aa3b, v8
	v_fma_f32 v10, 0x3fb8aa3b, v8, -v9
	v_rndne_f32_e32 v11, v9
	s_delay_alu instid0(VALU_DEP_3) | instskip(NEXT) | instid1(VALU_DEP_2)
	v_mul_f32_e32 v12, 0x3fb8aa3b, v0
	v_dual_fmac_f32 v10, 0x32a5705f, v8 :: v_dual_sub_f32 v9, v9, v11
	v_cvt_i32_f32_e32 v11, v11
	s_delay_alu instid0(VALU_DEP_3) | instskip(SKIP_1) | instid1(VALU_DEP_4)
	v_fma_f32 v13, 0x3fb8aa3b, v0, -v12
	v_rndne_f32_e32 v14, v12
	v_add_f32_e32 v9, v9, v10
	v_cmp_ngt_f32_e32 vcc_lo, 0xc2ce8ed0, v8
	s_delay_alu instid0(VALU_DEP_3) | instskip(NEXT) | instid1(VALU_DEP_3)
	v_sub_f32_e32 v10, v12, v14
	v_exp_f32_e32 v9, v9
	s_waitcnt_depctr 0xfff
	v_ldexp_f32 v9, v9, v11
	v_cvt_i32_f32_e32 v11, v14
	s_delay_alu instid0(VALU_DEP_2) | instskip(SKIP_1) | instid1(VALU_DEP_2)
	v_cndmask_b32_e32 v9, 0, v9, vcc_lo
	v_cmp_nlt_f32_e32 vcc_lo, 0x42b17218, v8
	v_cndmask_b32_e32 v9, 0x7f800000, v9, vcc_lo
	v_cmp_ngt_f32_e32 vcc_lo, 0xc2ce8ed0, v0
	v_fmac_f32_e32 v13, 0x32a5705f, v0
	s_delay_alu instid0(VALU_DEP_1) | instskip(NEXT) | instid1(VALU_DEP_1)
	v_add_f32_e32 v10, v10, v13
	v_exp_f32_e32 v10, v10
	s_waitcnt_depctr 0xfff
	v_ldexp_f32 v10, v10, v11
	s_delay_alu instid0(VALU_DEP_1)
	v_dual_mov_b32 v11, v6 :: v_dual_cndmask_b32 v10, 0, v10
	v_cmp_le_f32_e32 vcc_lo, 0xc1a00000, v8
	s_waitcnt vmcnt(1)
	v_dual_cndmask_b32 v8, 0, v9 :: v_dual_mov_b32 v9, v5
	v_cmp_nlt_f32_e32 vcc_lo, 0x42b17218, v0
	v_cndmask_b32_e32 v5, 0x7f800000, v10, vcc_lo
	s_delay_alu instid0(VALU_DEP_3) | instskip(SKIP_2) | instid1(VALU_DEP_3)
	v_mul_f32_e32 v10, s11, v8
	v_cmp_le_f32_e32 vcc_lo, 0xc1a00000, v0
	v_mov_b32_e32 v0, v7
	v_mov_b32_e32 v6, v10
	s_waitcnt vmcnt(0)
	v_dual_cndmask_b32 v12, 0, v5 :: v_dual_mul_f32 v5, v4, v8
	s_delay_alu instid0(VALU_DEP_1) | instskip(NEXT) | instid1(VALU_DEP_2)
	v_dual_fmac_f32 v6, v11, v12 :: v_dual_add_nc_u32 v3, 0xfffffd80, v3
	v_fmac_f32_e32 v5, v9, v12
	s_cbranch_scc0 .LBB60_3
	s_branch .LBB60_5
.LBB60_4:
	s_waitcnt lgkmcnt(0)
	v_mov_b32_e32 v6, s11
.LBB60_5:
	s_waitcnt vmcnt(0)
	s_delay_alu instid0(VALU_DEP_1) | instskip(NEXT) | instid1(VALU_DEP_1)
	v_div_scale_f32 v0, null, v6, v6, v5
	v_rcp_f32_e32 v3, v0
	s_waitcnt_depctr 0xfff
	v_fma_f32 v4, -v0, v3, 1.0
	s_delay_alu instid0(VALU_DEP_1) | instskip(SKIP_1) | instid1(VALU_DEP_1)
	v_fmac_f32_e32 v3, v4, v3
	v_div_scale_f32 v4, vcc_lo, v5, v6, v5
	v_mul_f32_e32 v7, v4, v3
	s_delay_alu instid0(VALU_DEP_1) | instskip(NEXT) | instid1(VALU_DEP_1)
	v_fma_f32 v8, -v0, v7, v4
	v_fmac_f32_e32 v7, v8, v3
	s_delay_alu instid0(VALU_DEP_1) | instskip(NEXT) | instid1(VALU_DEP_1)
	v_fma_f32 v0, -v0, v7, v4
	v_div_fmas_f32 v0, v0, v3, v7
	s_delay_alu instid0(VALU_DEP_1)
	v_div_fixup_f32 v0, v0, v6, v5
	global_store_b32 v[1:2], v0, off
.LBB60_6:
	s_nop 0
	s_sendmsg sendmsg(MSG_DEALLOC_VGPRS)
	s_endpgm
	.section	.rodata,"a",@progbits
	.p2align	6, 0x0
	.amdhsa_kernel _ZL33flash_attn_stream_k_fixup_uniformILi40ELi16ELi1EEvPfPK15HIP_vector_typeIfLj2EEiiiiiiS1_IjLj3EES5_S5_
		.amdhsa_group_segment_fixed_size 0
		.amdhsa_private_segment_fixed_size 0
		.amdhsa_kernarg_size 76
		.amdhsa_user_sgpr_count 13
		.amdhsa_user_sgpr_dispatch_ptr 0
		.amdhsa_user_sgpr_queue_ptr 0
		.amdhsa_user_sgpr_kernarg_segment_ptr 1
		.amdhsa_user_sgpr_dispatch_id 0
		.amdhsa_user_sgpr_private_segment_size 0
		.amdhsa_wavefront_size32 1
		.amdhsa_uses_dynamic_stack 0
		.amdhsa_enable_private_segment 0
		.amdhsa_system_sgpr_workgroup_id_x 1
		.amdhsa_system_sgpr_workgroup_id_y 1
		.amdhsa_system_sgpr_workgroup_id_z 1
		.amdhsa_system_sgpr_workgroup_info 0
		.amdhsa_system_vgpr_workitem_id 0
		.amdhsa_next_free_vgpr 15
		.amdhsa_next_free_sgpr 20
		.amdhsa_reserve_vcc 1
		.amdhsa_float_round_mode_32 0
		.amdhsa_float_round_mode_16_64 0
		.amdhsa_float_denorm_mode_32 3
		.amdhsa_float_denorm_mode_16_64 3
		.amdhsa_dx10_clamp 1
		.amdhsa_ieee_mode 1
		.amdhsa_fp16_overflow 0
		.amdhsa_workgroup_processor_mode 1
		.amdhsa_memory_ordered 1
		.amdhsa_forward_progress 0
		.amdhsa_shared_vgpr_count 0
		.amdhsa_exception_fp_ieee_invalid_op 0
		.amdhsa_exception_fp_denorm_src 0
		.amdhsa_exception_fp_ieee_div_zero 0
		.amdhsa_exception_fp_ieee_overflow 0
		.amdhsa_exception_fp_ieee_underflow 0
		.amdhsa_exception_fp_ieee_inexact 0
		.amdhsa_exception_int_div_zero 0
	.end_amdhsa_kernel
	.section	.text._ZL33flash_attn_stream_k_fixup_uniformILi40ELi16ELi1EEvPfPK15HIP_vector_typeIfLj2EEiiiiiiS1_IjLj3EES5_S5_,"axG",@progbits,_ZL33flash_attn_stream_k_fixup_uniformILi40ELi16ELi1EEvPfPK15HIP_vector_typeIfLj2EEiiiiiiS1_IjLj3EES5_S5_,comdat
.Lfunc_end60:
	.size	_ZL33flash_attn_stream_k_fixup_uniformILi40ELi16ELi1EEvPfPK15HIP_vector_typeIfLj2EEiiiiiiS1_IjLj3EES5_S5_, .Lfunc_end60-_ZL33flash_attn_stream_k_fixup_uniformILi40ELi16ELi1EEvPfPK15HIP_vector_typeIfLj2EEiiiiiiS1_IjLj3EES5_S5_
                                        ; -- End function
	.section	.AMDGPU.csdata,"",@progbits
; Kernel info:
; codeLenInByte = 972
; NumSgprs: 22
; NumVgprs: 15
; ScratchSize: 0
; MemoryBound: 0
; FloatMode: 240
; IeeeMode: 1
; LDSByteSize: 0 bytes/workgroup (compile time only)
; SGPRBlocks: 2
; VGPRBlocks: 1
; NumSGPRsForWavesPerEU: 22
; NumVGPRsForWavesPerEU: 15
; Occupancy: 16
; WaveLimiterHint : 0
; COMPUTE_PGM_RSRC2:SCRATCH_EN: 0
; COMPUTE_PGM_RSRC2:USER_SGPR: 13
; COMPUTE_PGM_RSRC2:TRAP_HANDLER: 0
; COMPUTE_PGM_RSRC2:TGID_X_EN: 1
; COMPUTE_PGM_RSRC2:TGID_Y_EN: 1
; COMPUTE_PGM_RSRC2:TGID_Z_EN: 1
; COMPUTE_PGM_RSRC2:TIDIG_COMP_CNT: 0
	.section	.text._ZL33flash_attn_stream_k_fixup_generalILi40ELi16ELi1EEvPfPK15HIP_vector_typeIfLj2EEiiiiS1_IjLj3EES5_S5_S5_,"axG",@progbits,_ZL33flash_attn_stream_k_fixup_generalILi40ELi16ELi1EEvPfPK15HIP_vector_typeIfLj2EEiiiiS1_IjLj3EES5_S5_S5_,comdat
	.globl	_ZL33flash_attn_stream_k_fixup_generalILi40ELi16ELi1EEvPfPK15HIP_vector_typeIfLj2EEiiiiS1_IjLj3EES5_S5_S5_ ; -- Begin function _ZL33flash_attn_stream_k_fixup_generalILi40ELi16ELi1EEvPfPK15HIP_vector_typeIfLj2EEiiiiS1_IjLj3EES5_S5_S5_
	.p2align	8
	.type	_ZL33flash_attn_stream_k_fixup_generalILi40ELi16ELi1EEvPfPK15HIP_vector_typeIfLj2EEiiiiS1_IjLj3EES5_S5_S5_,@function
_ZL33flash_attn_stream_k_fixup_generalILi40ELi16ELi1EEvPfPK15HIP_vector_typeIfLj2EEiiiiS1_IjLj3EES5_S5_S5_: ; @_ZL33flash_attn_stream_k_fixup_generalILi40ELi16ELi1EEvPfPK15HIP_vector_typeIfLj2EEiiiiS1_IjLj3EES5_S5_S5_
; %bb.0:
	s_clause 0x1
	s_load_b128 s[4:7], s[0:1], 0x10
	s_load_b32 s20, s[0:1], 0x50
	s_mov_b32 s2, 0
	s_waitcnt lgkmcnt(0)
	s_mul_hi_i32 s3, s7, s13
	s_mul_i32 s12, s7, s13
	s_cmp_lg_u64 s[2:3], 0
	s_cbranch_scc0 .LBB61_21
; %bb.1:
	v_cvt_f32_ubyte0_e32 v1, 0
	v_cvt_f32_u32_e32 v2, s20
	s_sub_u32 s10, 0, s20
	s_subb_u32 s11, 0, 0
	s_delay_alu instid0(VALU_DEP_1) | instskip(NEXT) | instid1(VALU_DEP_1)
	v_fmamk_f32 v1, v1, 0x4f800000, v2
	v_rcp_f32_e32 v1, v1
	s_waitcnt_depctr 0xfff
	v_mul_f32_e32 v1, 0x5f7ffffc, v1
	s_delay_alu instid0(VALU_DEP_1) | instskip(NEXT) | instid1(VALU_DEP_1)
	v_mul_f32_e32 v2, 0x2f800000, v1
	v_trunc_f32_e32 v2, v2
	s_delay_alu instid0(VALU_DEP_1) | instskip(SKIP_1) | instid1(VALU_DEP_2)
	v_fmamk_f32 v1, v2, 0xcf800000, v1
	v_cvt_u32_f32_e32 v2, v2
	v_cvt_u32_f32_e32 v1, v1
	s_delay_alu instid0(VALU_DEP_2) | instskip(NEXT) | instid1(VALU_DEP_2)
	v_readfirstlane_b32 s8, v2
	v_readfirstlane_b32 s9, v1
	s_delay_alu instid0(VALU_DEP_2) | instskip(NEXT) | instid1(VALU_DEP_1)
	s_mul_i32 s16, s10, s8
	s_mul_hi_u32 s18, s10, s9
	s_mul_i32 s17, s11, s9
	s_add_i32 s16, s18, s16
	s_mul_i32 s19, s10, s9
	s_add_i32 s16, s16, s17
	s_mul_hi_u32 s18, s9, s19
	s_mul_hi_u32 s21, s8, s19
	s_mul_i32 s17, s8, s19
	s_mul_hi_u32 s19, s9, s16
	s_mul_i32 s9, s9, s16
	s_mul_hi_u32 s22, s8, s16
	s_add_u32 s9, s18, s9
	s_addc_u32 s18, 0, s19
	s_add_u32 s9, s9, s17
	s_mul_i32 s16, s8, s16
	s_addc_u32 s9, s18, s21
	s_addc_u32 s17, s22, 0
	s_add_u32 s9, s9, s16
	s_addc_u32 s16, 0, s17
	v_add_co_u32 v1, s9, v1, s9
	s_delay_alu instid0(VALU_DEP_1) | instskip(SKIP_1) | instid1(VALU_DEP_1)
	s_cmp_lg_u32 s9, 0
	s_addc_u32 s8, s8, s16
	v_readfirstlane_b32 s9, v1
	s_mul_i32 s16, s10, s8
	s_delay_alu instid0(VALU_DEP_1)
	s_mul_hi_u32 s17, s10, s9
	s_mul_i32 s11, s11, s9
	s_add_i32 s16, s17, s16
	s_mul_i32 s10, s10, s9
	s_add_i32 s16, s16, s11
	s_mul_hi_u32 s17, s8, s10
	s_mul_i32 s18, s8, s10
	s_mul_hi_u32 s10, s9, s10
	s_mul_hi_u32 s19, s9, s16
	s_mul_i32 s9, s9, s16
	s_mul_hi_u32 s11, s8, s16
	s_add_u32 s9, s10, s9
	s_addc_u32 s10, 0, s19
	s_add_u32 s9, s9, s18
	s_mul_i32 s16, s8, s16
	s_addc_u32 s9, s10, s17
	s_addc_u32 s10, s11, 0
	s_add_u32 s9, s9, s16
	s_addc_u32 s10, 0, s10
	v_add_co_u32 v1, s9, v1, s9
	s_delay_alu instid0(VALU_DEP_1) | instskip(SKIP_2) | instid1(SALU_CYCLE_1)
	s_cmp_lg_u32 s9, 0
	s_addc_u32 s16, s8, s10
	s_ashr_i32 s8, s3, 31
	s_add_u32 s10, s12, s8
	s_addc_u32 s11, s3, s8
	v_readfirstlane_b32 s3, v1
	s_mov_b32 s9, s8
	s_delay_alu instid0(SALU_CYCLE_1) | instskip(NEXT) | instid1(SALU_CYCLE_1)
	s_xor_b64 s[10:11], s[10:11], s[8:9]
	s_mul_i32 s18, s10, s16
	s_delay_alu instid0(VALU_DEP_1)
	s_mul_hi_u32 s19, s10, s3
	s_mul_hi_u32 s17, s10, s16
	;; [unrolled: 1-line block ×3, first 2 shown]
	s_mul_i32 s3, s11, s3
	s_add_u32 s18, s19, s18
	s_addc_u32 s17, 0, s17
	s_mul_hi_u32 s21, s11, s16
	s_add_u32 s3, s18, s3
	s_mul_i32 s16, s11, s16
	s_addc_u32 s3, s17, s22
	s_addc_u32 s17, s21, 0
	s_add_u32 s3, s3, s16
	s_addc_u32 s16, 0, s17
	s_mul_i32 s18, s20, s3
	s_add_u32 s17, s3, 1
	v_sub_co_u32 v1, s10, s10, s18
	s_mul_hi_u32 s18, s20, s3
	s_addc_u32 s19, s16, 0
	s_mul_i32 s21, s20, s16
	s_delay_alu instid0(VALU_DEP_1)
	v_sub_co_u32 v2, s22, v1, s20
	s_add_u32 s23, s3, 2
	s_addc_u32 s24, s16, 0
	s_add_i32 s18, s18, s21
	s_cmp_lg_u32 s10, 0
	v_readfirstlane_b32 s10, v2
	s_subb_u32 s11, s11, s18
	s_cmp_lg_u32 s22, 0
	s_subb_u32 s18, s11, 0
	s_delay_alu instid0(VALU_DEP_1) | instskip(SKIP_4) | instid1(SALU_CYCLE_1)
	s_cmp_ge_u32 s10, s20
	s_cselect_b32 s10, -1, 0
	s_cmp_eq_u32 s18, 0
	v_readfirstlane_b32 s18, v1
	s_cselect_b32 s10, s10, -1
	s_cmp_lg_u32 s10, 0
	s_cselect_b32 s10, s23, s17
	s_cselect_b32 s17, s24, s19
	s_cmp_ge_u32 s18, s20
	s_cselect_b32 s18, -1, 0
	s_cmp_eq_u32 s11, 0
	s_cselect_b32 s11, s18, -1
	s_delay_alu instid0(SALU_CYCLE_1) | instskip(SKIP_2) | instid1(SALU_CYCLE_1)
	s_cmp_lg_u32 s11, 0
	s_cselect_b32 s11, s17, s16
	s_cselect_b32 s10, s10, s3
	s_xor_b64 s[10:11], s[10:11], s[8:9]
	s_delay_alu instid0(SALU_CYCLE_1)
	s_sub_u32 s16, s10, s8
	s_load_b128 s[8:11], s[0:1], 0x44
	s_and_not1_b32 vcc_lo, exec_lo, s2
	s_cbranch_vccnz .LBB61_3
.LBB61_2:
	v_cvt_f32_u32_e32 v1, s20
	s_sub_i32 s3, 0, s20
	s_delay_alu instid0(VALU_DEP_1) | instskip(SKIP_2) | instid1(VALU_DEP_1)
	v_rcp_iflag_f32_e32 v1, v1
	s_waitcnt_depctr 0xfff
	v_mul_f32_e32 v1, 0x4f7ffffe, v1
	v_cvt_u32_f32_e32 v1, v1
	s_delay_alu instid0(VALU_DEP_1) | instskip(NEXT) | instid1(VALU_DEP_1)
	v_readfirstlane_b32 s2, v1
	s_mul_i32 s3, s3, s2
	s_delay_alu instid0(SALU_CYCLE_1) | instskip(NEXT) | instid1(SALU_CYCLE_1)
	s_mul_hi_u32 s3, s2, s3
	s_add_i32 s2, s2, s3
	s_delay_alu instid0(SALU_CYCLE_1) | instskip(NEXT) | instid1(SALU_CYCLE_1)
	s_mul_hi_u32 s2, s12, s2
	s_mul_i32 s3, s2, s20
	s_waitcnt lgkmcnt(0)
	s_add_i32 s11, s2, 1
	s_sub_i32 s3, s12, s3
	s_delay_alu instid0(SALU_CYCLE_1)
	s_sub_i32 s12, s3, s20
	s_cmp_ge_u32 s3, s20
	s_cselect_b32 s2, s11, s2
	s_cselect_b32 s3, s12, s3
	s_add_i32 s11, s2, 1
	s_cmp_ge_u32 s3, s20
	s_cselect_b32 s16, s11, s2
.LBB61_3:
	s_waitcnt lgkmcnt(0)
	s_add_i32 s11, s13, 1
	s_mov_b32 s2, 0
	s_mul_hi_i32 s3, s7, s11
	s_mul_i32 s11, s7, s11
	s_cmp_lg_u64 s[2:3], 0
	s_cbranch_scc0 .LBB61_22
; %bb.4:
	v_cvt_f32_ubyte0_e32 v1, 0
	v_cvt_f32_u32_e32 v2, s20
	s_sub_u32 s18, 0, s20
	s_subb_u32 s19, 0, 0
	s_delay_alu instid0(VALU_DEP_1) | instskip(NEXT) | instid1(VALU_DEP_1)
	v_fmamk_f32 v1, v1, 0x4f800000, v2
	v_rcp_f32_e32 v1, v1
	s_waitcnt_depctr 0xfff
	v_mul_f32_e32 v1, 0x5f7ffffc, v1
	s_delay_alu instid0(VALU_DEP_1) | instskip(NEXT) | instid1(VALU_DEP_1)
	v_mul_f32_e32 v2, 0x2f800000, v1
	v_trunc_f32_e32 v2, v2
	s_delay_alu instid0(VALU_DEP_1) | instskip(SKIP_1) | instid1(VALU_DEP_2)
	v_fmamk_f32 v1, v2, 0xcf800000, v1
	v_cvt_u32_f32_e32 v2, v2
	v_cvt_u32_f32_e32 v1, v1
	s_delay_alu instid0(VALU_DEP_2) | instskip(NEXT) | instid1(VALU_DEP_2)
	v_readfirstlane_b32 s12, v2
	v_readfirstlane_b32 s17, v1
	s_delay_alu instid0(VALU_DEP_2) | instskip(NEXT) | instid1(VALU_DEP_1)
	s_mul_i32 s21, s18, s12
	s_mul_hi_u32 s23, s18, s17
	s_mul_i32 s22, s19, s17
	s_add_i32 s21, s23, s21
	s_mul_i32 s24, s18, s17
	s_add_i32 s21, s21, s22
	s_mul_hi_u32 s23, s17, s24
	s_mul_hi_u32 s25, s12, s24
	s_mul_i32 s22, s12, s24
	s_mul_hi_u32 s24, s17, s21
	s_mul_i32 s17, s17, s21
	s_mul_hi_u32 s26, s12, s21
	s_add_u32 s17, s23, s17
	s_addc_u32 s23, 0, s24
	s_add_u32 s17, s17, s22
	s_mul_i32 s21, s12, s21
	s_addc_u32 s17, s23, s25
	s_addc_u32 s22, s26, 0
	s_add_u32 s17, s17, s21
	s_addc_u32 s21, 0, s22
	v_add_co_u32 v1, s17, v1, s17
	s_delay_alu instid0(VALU_DEP_1) | instskip(SKIP_1) | instid1(VALU_DEP_1)
	s_cmp_lg_u32 s17, 0
	s_addc_u32 s12, s12, s21
	v_readfirstlane_b32 s17, v1
	s_mul_i32 s21, s18, s12
	s_delay_alu instid0(VALU_DEP_1)
	s_mul_hi_u32 s22, s18, s17
	s_mul_i32 s19, s19, s17
	s_add_i32 s21, s22, s21
	s_mul_i32 s18, s18, s17
	s_add_i32 s21, s21, s19
	s_mul_hi_u32 s22, s12, s18
	s_mul_i32 s23, s12, s18
	s_mul_hi_u32 s18, s17, s18
	s_mul_hi_u32 s24, s17, s21
	s_mul_i32 s17, s17, s21
	s_mul_hi_u32 s19, s12, s21
	s_add_u32 s17, s18, s17
	s_addc_u32 s18, 0, s24
	s_add_u32 s17, s17, s23
	s_mul_i32 s21, s12, s21
	s_addc_u32 s17, s18, s22
	s_addc_u32 s18, s19, 0
	s_add_u32 s17, s17, s21
	s_addc_u32 s18, 0, s18
	v_add_co_u32 v1, s17, v1, s17
	s_delay_alu instid0(VALU_DEP_1) | instskip(SKIP_2) | instid1(SALU_CYCLE_1)
	s_cmp_lg_u32 s17, 0
	s_addc_u32 s12, s12, s18
	s_ashr_i32 s18, s3, 31
	s_add_u32 s22, s11, s18
	s_addc_u32 s23, s3, s18
	v_readfirstlane_b32 s3, v1
	s_mov_b32 s19, s18
	s_delay_alu instid0(SALU_CYCLE_1) | instskip(NEXT) | instid1(SALU_CYCLE_1)
	s_xor_b64 s[22:23], s[22:23], s[18:19]
	s_mul_i32 s21, s22, s12
	s_delay_alu instid0(VALU_DEP_1)
	s_mul_hi_u32 s24, s22, s3
	s_mul_hi_u32 s17, s22, s12
	;; [unrolled: 1-line block ×3, first 2 shown]
	s_mul_i32 s3, s23, s3
	s_add_u32 s21, s24, s21
	s_addc_u32 s17, 0, s17
	s_mul_hi_u32 s25, s23, s12
	s_add_u32 s3, s21, s3
	s_mul_i32 s12, s23, s12
	s_addc_u32 s3, s17, s26
	s_addc_u32 s17, s25, 0
	s_add_u32 s3, s3, s12
	s_addc_u32 s12, 0, s17
	s_mul_i32 s21, s20, s3
	s_add_u32 s17, s3, 1
	v_sub_co_u32 v1, s21, s22, s21
	s_mul_hi_u32 s22, s20, s3
	s_addc_u32 s24, s12, 0
	s_mul_i32 s25, s20, s12
	s_delay_alu instid0(VALU_DEP_1)
	v_sub_co_u32 v2, s26, v1, s20
	s_add_u32 s27, s3, 2
	s_addc_u32 s28, s12, 0
	s_add_i32 s22, s22, s25
	s_cmp_lg_u32 s21, 0
	v_readfirstlane_b32 s21, v2
	s_subb_u32 s22, s23, s22
	s_cmp_lg_u32 s26, 0
	s_subb_u32 s23, s22, 0
	s_delay_alu instid0(VALU_DEP_1) | instskip(SKIP_4) | instid1(SALU_CYCLE_1)
	s_cmp_ge_u32 s21, s20
	s_cselect_b32 s21, -1, 0
	s_cmp_eq_u32 s23, 0
	v_readfirstlane_b32 s23, v1
	s_cselect_b32 s21, s21, -1
	s_cmp_lg_u32 s21, 0
	s_cselect_b32 s17, s27, s17
	s_cselect_b32 s21, s28, s24
	s_cmp_ge_u32 s23, s20
	s_cselect_b32 s23, -1, 0
	s_cmp_eq_u32 s22, 0
	s_cselect_b32 s22, s23, -1
	s_delay_alu instid0(SALU_CYCLE_1) | instskip(SKIP_2) | instid1(SALU_CYCLE_1)
	s_cmp_lg_u32 s22, 0
	s_cselect_b32 s23, s21, s12
	s_cselect_b32 s22, s17, s3
	s_xor_b64 s[22:23], s[22:23], s[18:19]
	s_delay_alu instid0(SALU_CYCLE_1)
	s_sub_u32 s18, s22, s18
	s_and_not1_b32 vcc_lo, exec_lo, s2
	s_cbranch_vccnz .LBB61_6
.LBB61_5:
	v_cvt_f32_u32_e32 v1, s20
	s_sub_i32 s3, 0, s20
	s_delay_alu instid0(VALU_DEP_1) | instskip(SKIP_2) | instid1(VALU_DEP_1)
	v_rcp_iflag_f32_e32 v1, v1
	s_waitcnt_depctr 0xfff
	v_mul_f32_e32 v1, 0x4f7ffffe, v1
	v_cvt_u32_f32_e32 v1, v1
	s_delay_alu instid0(VALU_DEP_1) | instskip(NEXT) | instid1(VALU_DEP_1)
	v_readfirstlane_b32 s2, v1
	s_mul_i32 s3, s3, s2
	s_delay_alu instid0(SALU_CYCLE_1) | instskip(NEXT) | instid1(SALU_CYCLE_1)
	s_mul_hi_u32 s3, s2, s3
	s_add_i32 s2, s2, s3
	s_delay_alu instid0(SALU_CYCLE_1) | instskip(NEXT) | instid1(SALU_CYCLE_1)
	s_mul_hi_u32 s2, s11, s2
	s_mul_i32 s3, s2, s20
	s_delay_alu instid0(SALU_CYCLE_1)
	s_sub_i32 s3, s11, s3
	s_add_i32 s11, s2, 1
	s_sub_i32 s12, s3, s20
	s_cmp_ge_u32 s3, s20
	s_cselect_b32 s2, s11, s2
	s_cselect_b32 s3, s12, s3
	s_add_i32 s11, s2, 1
	s_cmp_ge_u32 s3, s20
	s_cselect_b32 s18, s11, s2
.LBB61_6:
	s_delay_alu instid0(SALU_CYCLE_1) | instskip(SKIP_3) | instid1(SALU_CYCLE_1)
	s_cmp_eq_u32 s16, s18
	s_mul_hi_u32 s2, s16, s8
	s_cselect_b32 s3, -1, 0
	s_add_i32 s2, s2, s16
	s_lshr_b32 s11, s2, s9
	s_delay_alu instid0(SALU_CYCLE_1) | instskip(NEXT) | instid1(SALU_CYCLE_1)
	s_mul_i32 s2, s11, s10
	s_cmp_eq_u32 s2, s16
	s_mul_hi_u32 s2, s18, s8
	s_cselect_b32 s12, -1, 0
	s_add_i32 s2, s2, s18
	s_delay_alu instid0(SALU_CYCLE_1) | instskip(NEXT) | instid1(SALU_CYCLE_1)
	s_lshr_b32 s2, s2, s9
	s_cmp_eq_u32 s11, s2
	s_mul_i32 s2, s2, s10
	s_cselect_b32 s17, -1, 0
	s_cmp_lg_u32 s2, s18
	s_cselect_b32 s2, -1, 0
	s_or_b32 s3, s3, s12
	s_and_b32 s2, s17, s2
	s_delay_alu instid0(SALU_CYCLE_1) | instskip(NEXT) | instid1(SALU_CYCLE_1)
	s_or_b32 s2, s3, s2
	s_and_b32 vcc_lo, exec_lo, s2
	s_cbranch_vccnz .LBB61_24
; %bb.7:
	s_load_b256 s[24:31], s[0:1], 0x20
	s_waitcnt lgkmcnt(0)
	s_mul_hi_u32 s2, s16, s24
	s_delay_alu instid0(SALU_CYCLE_1) | instskip(NEXT) | instid1(SALU_CYCLE_1)
	s_add_i32 s2, s2, s16
	s_lshr_b32 s17, s2, s25
	s_load_b32 s2, s[0:1], 0x40
	s_mul_i32 s3, s17, s26
	s_delay_alu instid0(SALU_CYCLE_1) | instskip(NEXT) | instid1(SALU_CYCLE_1)
	s_sub_i32 s3, s16, s3
	s_mul_hi_u32 s12, s3, s27
	s_delay_alu instid0(SALU_CYCLE_1) | instskip(NEXT) | instid1(SALU_CYCLE_1)
	s_add_i32 s12, s3, s12
	s_lshr_b32 s19, s12, s28
	s_delay_alu instid0(SALU_CYCLE_1) | instskip(NEXT) | instid1(SALU_CYCLE_1)
	s_mul_i32 s12, s19, s29
	s_sub_i32 s3, s3, s12
	s_delay_alu instid0(SALU_CYCLE_1) | instskip(NEXT) | instid1(SALU_CYCLE_1)
	s_mul_hi_u32 s12, s3, s30
	s_add_i32 s12, s3, s12
	s_delay_alu instid0(SALU_CYCLE_1) | instskip(SKIP_3) | instid1(SALU_CYCLE_1)
	s_lshr_b32 s21, s12, s31
	s_mov_b32 s12, 0
	s_waitcnt lgkmcnt(0)
	s_mul_i32 s2, s21, s2
	s_sub_i32 s2, s3, s2
	s_delay_alu instid0(SALU_CYCLE_1) | instskip(NEXT) | instid1(SALU_CYCLE_1)
	s_mul_hi_u32 s3, s2, s8
	s_add_i32 s2, s2, s3
	s_delay_alu instid0(SALU_CYCLE_1) | instskip(NEXT) | instid1(SALU_CYCLE_1)
	s_lshr_b32 s18, s2, s9
	s_lshl_b32 s2, s18, 4
	s_delay_alu instid0(SALU_CYCLE_1) | instskip(NEXT) | instid1(SALU_CYCLE_1)
	s_add_i32 s2, s2, s14
	s_cmp_lt_i32 s2, s4
	s_cselect_b32 s2, -1, 0
	s_add_i32 s21, s21, s15
	s_delay_alu instid0(SALU_CYCLE_1) | instskip(SKIP_1) | instid1(SALU_CYCLE_1)
	s_cmp_lt_i32 s21, s6
	s_cselect_b32 s3, -1, 0
	s_and_b32 s2, s2, s3
	s_delay_alu instid0(SALU_CYCLE_1)
	s_and_not1_b32 vcc_lo, exec_lo, s2
	s_cbranch_vccnz .LBB61_24
; %bb.8:
	s_load_b128 s[0:3], s[0:1], 0x0
	s_lshl_b32 s22, s20, 6
	s_mov_b32 s23, s12
	s_add_i32 s15, s14, s15
	s_lshl_b64 s[22:23], s[22:23], 2
	s_mul_i32 s4, s17, s4
	s_mul_i32 s19, s19, s6
	v_cvt_f32_ubyte0_e32 v3, 0
	v_cvt_f32_u32_e32 v4, s20
	s_waitcnt lgkmcnt(0)
	s_add_u32 s6, s2, s22
	s_addc_u32 s17, s3, s23
	s_add_i32 s4, s4, s14
	s_add_i32 s14, s21, s19
	s_mul_i32 s4, s4, s5
	s_mul_i32 s5, s5, s18
	s_add_i32 s4, s14, s4
	s_mulk_i32 s5, 0x280
	s_mul_i32 s4, s4, 40
	s_delay_alu instid0(SALU_CYCLE_1) | instskip(NEXT) | instid1(VALU_DEP_1)
	v_add3_u32 v1, s5, s4, v0
	v_ashrrev_i32_e32 v2, 31, v1
	s_delay_alu instid0(VALU_DEP_1) | instskip(NEXT) | instid1(VALU_DEP_1)
	v_lshlrev_b64 v[1:2], 2, v[1:2]
	v_add_co_u32 v1, vcc_lo, s0, v1
	s_delay_alu instid0(VALU_DEP_2) | instskip(SKIP_1) | instid1(SALU_CYCLE_1)
	v_add_co_ci_u32_e32 v2, vcc_lo, s1, v2, vcc_lo
	s_lshl_b32 s0, s13, 4
	s_add_i32 s0, s0, s15
	global_load_b32 v5, v[1:2], off
	s_ashr_i32 s1, s0, 31
	s_delay_alu instid0(SALU_CYCLE_1) | instskip(NEXT) | instid1(SALU_CYCLE_1)
	s_lshl_b64 s[0:1], s[0:1], 3
	s_add_u32 s0, s2, s0
	s_addc_u32 s1, s3, s1
	s_add_i32 s18, s13, -1
	s_load_b64 s[0:1], s[0:1], 0x0
	v_fmac_f32_e32 v4, 0x4f800000, v3
	s_sub_i32 s14, 0, s20
	s_delay_alu instid0(VALU_DEP_1)
	v_rcp_f32_e32 v3, v4
	s_waitcnt_depctr 0xfff
	v_mul_f32_e32 v6, 0x5f7ffffc, v3
	v_cvt_f32_u32_e32 v3, s20
	s_waitcnt lgkmcnt(0)
	v_mov_b32_e32 v8, s0
	s_delay_alu instid0(VALU_DEP_3) | instskip(NEXT) | instid1(VALU_DEP_3)
	v_mul_f32_e32 v4, 0x2f800000, v6
	v_rcp_iflag_f32_e32 v7, v3
	s_delay_alu instid0(VALU_DEP_1) | instskip(SKIP_1) | instid1(VALU_DEP_2)
	v_trunc_f32_e32 v9, v4
	v_mad_u64_u32 v[3:4], null, s15, 40, v[0:1]
	v_fmac_f32_e32 v6, 0xcf800000, v9
	s_waitcnt_depctr 0xfff
	v_dual_mul_f32 v10, 0x4f7ffffe, v7 :: v_dual_mov_b32 v7, s1
	v_cvt_u32_f32_e32 v4, v9
	v_cvt_u32_f32_e32 v0, v6
	s_delay_alu instid0(VALU_DEP_3)
	v_cvt_u32_f32_e32 v6, v10
.LBB61_9:                               ; =>This Inner Loop Header: Depth=1
	s_mul_hi_i32 s13, s18, s7
	s_mul_i32 s4, s18, s7
	s_cmp_lg_u64 s[12:13], 0
	s_mov_b32 s5, -1
                                        ; implicit-def: $sgpr0_sgpr1
	s_cbranch_scc0 .LBB61_11
; %bb.10:                               ;   in Loop: Header=BB61_9 Depth=1
	v_readfirstlane_b32 s0, v0
	v_readfirstlane_b32 s1, v4
	s_sub_u32 s5, 0, s20
	s_subb_u32 s19, 0, 0
	s_delay_alu instid0(VALU_DEP_2) | instskip(NEXT) | instid1(VALU_DEP_1)
	s_mul_hi_u32 s21, s5, s0
	s_mul_i32 s22, s5, s1
	s_mul_i32 s23, s19, s0
	s_add_i32 s21, s21, s22
	s_mul_i32 s22, s5, s0
	s_add_i32 s21, s21, s23
	s_mul_hi_u32 s23, s0, s22
	s_mul_i32 s24, s0, s21
	s_mul_hi_u32 s0, s0, s21
	s_add_u32 s23, s23, s24
	s_mul_i32 s25, s1, s22
	s_addc_u32 s0, 0, s0
	s_mul_hi_u32 s22, s1, s22
	s_mul_hi_u32 s24, s1, s21
	s_add_u32 s23, s23, s25
	s_addc_u32 s0, s0, s22
	s_mul_i32 s21, s1, s21
	s_addc_u32 s22, s24, 0
	s_add_u32 s0, s0, s21
	s_addc_u32 s21, 0, s22
	v_add_co_u32 v9, s0, v0, s0
	s_delay_alu instid0(VALU_DEP_1) | instskip(SKIP_1) | instid1(VALU_DEP_1)
	s_cmp_lg_u32 s0, 0
	s_addc_u32 s1, s1, s21
	v_readfirstlane_b32 s0, v9
	s_mul_i32 s21, s5, s1
	s_delay_alu instid0(VALU_DEP_1)
	s_mul_hi_u32 s22, s5, s0
	s_mul_i32 s19, s19, s0
	s_add_i32 s21, s22, s21
	s_mul_i32 s5, s5, s0
	s_add_i32 s21, s21, s19
	s_mul_hi_u32 s19, s1, s5
	s_mul_i32 s23, s1, s5
	s_mul_i32 s24, s0, s21
	s_mul_hi_u32 s5, s0, s5
	s_mul_hi_u32 s0, s0, s21
	s_add_u32 s5, s5, s24
	s_addc_u32 s0, 0, s0
	s_mul_hi_u32 s22, s1, s21
	s_add_u32 s5, s5, s23
	s_addc_u32 s0, s0, s19
	s_mul_i32 s5, s1, s21
	s_addc_u32 s19, s22, 0
	s_add_u32 s0, s0, s5
	s_addc_u32 s5, 0, s19
	v_add_co_u32 v9, s0, v9, s0
	s_delay_alu instid0(VALU_DEP_1) | instskip(SKIP_2) | instid1(SALU_CYCLE_1)
	s_cmp_lg_u32 s0, 0
	s_addc_u32 s5, s1, s5
	s_ashr_i32 s0, s13, 31
	s_add_u32 s22, s4, s0
	s_addc_u32 s23, s13, s0
	v_readfirstlane_b32 s13, v9
	s_mov_b32 s1, s0
	s_delay_alu instid0(SALU_CYCLE_1) | instskip(NEXT) | instid1(SALU_CYCLE_1)
	s_xor_b64 s[22:23], s[22:23], s[0:1]
	s_mul_i32 s19, s22, s5
	s_delay_alu instid0(VALU_DEP_1)
	s_mul_hi_u32 s21, s22, s13
	s_mul_hi_u32 s24, s22, s5
	s_add_u32 s19, s21, s19
	s_mul_i32 s25, s23, s13
	s_addc_u32 s21, 0, s24
	s_mul_hi_u32 s13, s23, s13
	s_mul_hi_u32 s24, s23, s5
	s_add_u32 s19, s19, s25
	s_addc_u32 s13, s21, s13
	s_mul_i32 s5, s23, s5
	s_addc_u32 s19, s24, 0
	s_add_u32 s5, s13, s5
	s_addc_u32 s13, 0, s19
	s_mul_i32 s21, s20, s5
	s_add_u32 s19, s5, 1
	v_sub_co_u32 v9, s21, s22, s21
	s_addc_u32 s22, s13, 0
	s_mul_i32 s25, s20, s13
	s_mul_hi_u32 s27, s20, s5
	s_delay_alu instid0(VALU_DEP_1)
	v_sub_co_u32 v10, s26, v9, s20
	s_add_u32 s24, s5, 2
	s_addc_u32 s28, s13, 0
	s_add_i32 s27, s27, s25
	s_cmp_lg_u32 s21, 0
	v_readfirstlane_b32 s21, v10
	s_subb_u32 s23, s23, s27
	s_cmp_lg_u32 s26, 0
	s_subb_u32 s25, s23, 0
	s_delay_alu instid0(VALU_DEP_1) | instskip(SKIP_4) | instid1(SALU_CYCLE_1)
	s_cmp_ge_u32 s21, s20
	s_cselect_b32 s21, -1, 0
	s_cmp_eq_u32 s25, 0
	v_readfirstlane_b32 s25, v9
	s_cselect_b32 s21, s21, -1
	s_cmp_lg_u32 s21, 0
	s_cselect_b32 s19, s24, s19
	s_cselect_b32 s21, s28, s22
	s_cmp_ge_u32 s25, s20
	s_cselect_b32 s22, -1, 0
	s_cmp_eq_u32 s23, 0
	s_cselect_b32 s22, s22, -1
	s_delay_alu instid0(SALU_CYCLE_1) | instskip(SKIP_4) | instid1(SALU_CYCLE_1)
	s_cmp_lg_u32 s22, 0
	s_cselect_b32 s23, s21, s13
	s_cselect_b32 s22, s19, s5
	s_mov_b32 s5, 0
	s_xor_b64 s[22:23], s[22:23], s[0:1]
	s_sub_u32 s0, s22, s0
.LBB61_11:                              ;   in Loop: Header=BB61_9 Depth=1
	s_and_not1_b32 vcc_lo, exec_lo, s5
	s_cbranch_vccnz .LBB61_13
; %bb.12:                               ;   in Loop: Header=BB61_9 Depth=1
	v_readfirstlane_b32 s0, v6
	s_delay_alu instid0(VALU_DEP_1) | instskip(NEXT) | instid1(SALU_CYCLE_1)
	s_mul_i32 s1, s14, s0
	s_mul_hi_u32 s1, s0, s1
	s_delay_alu instid0(SALU_CYCLE_1) | instskip(NEXT) | instid1(SALU_CYCLE_1)
	s_add_i32 s0, s0, s1
	s_mul_hi_u32 s0, s4, s0
	s_delay_alu instid0(SALU_CYCLE_1) | instskip(NEXT) | instid1(SALU_CYCLE_1)
	s_mul_i32 s1, s0, s20
	s_sub_i32 s1, s4, s1
	s_add_i32 s4, s0, 1
	s_sub_i32 s5, s1, s20
	s_cmp_ge_u32 s1, s20
	s_cselect_b32 s0, s4, s0
	s_cselect_b32 s1, s5, s1
	s_add_i32 s4, s0, 1
	s_cmp_ge_u32 s1, s20
	s_cselect_b32 s0, s4, s0
.LBB61_13:                              ;   in Loop: Header=BB61_9 Depth=1
	s_delay_alu instid0(SALU_CYCLE_1)
	s_cmp_lg_u32 s16, s0
	s_cbranch_scc0 .LBB61_17
; %bb.14:                               ;   in Loop: Header=BB61_9 Depth=1
	s_add_i32 s1, s18, s20
	s_mov_b32 s5, s12
	s_lshl_b32 s1, s1, 4
	s_mov_b32 s19, s16
	s_add_i32 s4, s1, s15
	s_mul_hi_u32 s1, s0, s8
	s_lshl_b64 s[4:5], s[4:5], 3
	s_delay_alu instid0(SALU_CYCLE_1) | instskip(SKIP_2) | instid1(SALU_CYCLE_1)
	s_add_u32 s4, s2, s4
	s_addc_u32 s5, s3, s5
	s_add_i32 s1, s1, s0
	s_lshr_b32 s1, s1, s9
	s_delay_alu instid0(SALU_CYCLE_1) | instskip(NEXT) | instid1(SALU_CYCLE_1)
	s_mul_i32 s13, s1, s10
	s_cmp_eq_u32 s13, s0
	s_cselect_b32 s13, -1, 0
	s_cmp_lt_u32 s1, s11
	s_cselect_b32 s1, -1, 0
	s_delay_alu instid0(SALU_CYCLE_1)
	s_or_b32 s1, s1, s13
	s_mov_b32 s13, -1
	s_and_b32 vcc_lo, exec_lo, s1
	s_mov_b32 s1, s18
	s_cbranch_vccnz .LBB61_16
; %bb.15:                               ;   in Loop: Header=BB61_9 Depth=1
	s_add_i32 s1, s18, -1
	s_mov_b32 s13, 0
	s_mov_b32 s19, s0
.LBB61_16:                              ;   in Loop: Header=BB61_9 Depth=1
	v_mad_u64_u32 v[9:10], null, 0x280, s18, v[3:4]
	s_load_b64 s[4:5], s[4:5], 0x0
	s_delay_alu instid0(VALU_DEP_1) | instskip(NEXT) | instid1(VALU_DEP_1)
	v_ashrrev_i32_e32 v10, 31, v9
	v_lshlrev_b64 v[9:10], 2, v[9:10]
	s_delay_alu instid0(VALU_DEP_1) | instskip(NEXT) | instid1(VALU_DEP_2)
	v_add_co_u32 v9, vcc_lo, s6, v9
	v_add_co_ci_u32_e32 v10, vcc_lo, s17, v10, vcc_lo
	s_waitcnt lgkmcnt(0)
	v_max_f32_e64 v11, s4, s4
	global_load_b32 v10, v[9:10], off
	v_max_f32_e32 v9, v8, v8
	s_delay_alu instid0(VALU_DEP_1) | instskip(NEXT) | instid1(VALU_DEP_1)
	v_max_f32_e32 v9, v9, v11
	v_sub_f32_e32 v12, v8, v9
	s_delay_alu instid0(VALU_DEP_1) | instskip(NEXT) | instid1(VALU_DEP_1)
	v_dual_mul_f32 v14, 0x3fb8aa3b, v12 :: v_dual_sub_f32 v11, s4, v9
	v_rndne_f32_e32 v18, v14
	s_delay_alu instid0(VALU_DEP_2) | instskip(SKIP_2) | instid1(VALU_DEP_4)
	v_mul_f32_e32 v13, 0x3fb8aa3b, v11
	v_fma_f32 v17, 0x3fb8aa3b, v12, -v14
	v_cmp_ngt_f32_e32 vcc_lo, 0xc2ce8ed0, v11
	v_sub_f32_e32 v14, v14, v18
	s_delay_alu instid0(VALU_DEP_4) | instskip(SKIP_2) | instid1(VALU_DEP_3)
	v_fma_f32 v15, 0x3fb8aa3b, v11, -v13
	v_rndne_f32_e32 v16, v13
	v_fmac_f32_e32 v17, 0x32a5705f, v12
	v_fmac_f32_e32 v15, 0x32a5705f, v11
	s_delay_alu instid0(VALU_DEP_2) | instskip(NEXT) | instid1(VALU_DEP_1)
	v_dual_sub_f32 v13, v13, v16 :: v_dual_add_f32 v14, v14, v17
	v_add_f32_e32 v13, v13, v15
	s_delay_alu instid0(VALU_DEP_2) | instskip(SKIP_2) | instid1(VALU_DEP_3)
	v_exp_f32_e32 v14, v14
	v_cvt_i32_f32_e32 v15, v16
	v_cvt_i32_f32_e32 v16, v18
	v_exp_f32_e32 v13, v13
	s_waitcnt_depctr 0xfff
	v_ldexp_f32 v14, v14, v16
	v_ldexp_f32 v13, v13, v15
	s_delay_alu instid0(VALU_DEP_1) | instskip(SKIP_1) | instid1(VALU_DEP_4)
	v_cndmask_b32_e32 v13, 0, v13, vcc_lo
	v_cmp_ngt_f32_e32 vcc_lo, 0xc2ce8ed0, v12
	v_cndmask_b32_e32 v14, 0, v14, vcc_lo
	v_cmp_nlt_f32_e32 vcc_lo, 0x42b17218, v11
	s_delay_alu instid0(VALU_DEP_4) | instskip(SKIP_1) | instid1(VALU_DEP_4)
	v_cndmask_b32_e32 v13, 0x7f800000, v13, vcc_lo
	v_cmp_nlt_f32_e32 vcc_lo, 0x42b17218, v12
	v_cndmask_b32_e32 v14, 0x7f800000, v14, vcc_lo
	v_cmp_le_f32_e32 vcc_lo, 0xc1a00000, v11
	s_delay_alu instid0(VALU_DEP_4) | instskip(SKIP_1) | instid1(VALU_DEP_4)
	v_cndmask_b32_e32 v11, 0, v13, vcc_lo
	v_cmp_le_f32_e32 vcc_lo, 0xc1a00000, v12
	v_cndmask_b32_e32 v12, 0, v14, vcc_lo
	s_waitcnt vmcnt(0)
	s_delay_alu instid0(VALU_DEP_3) | instskip(NEXT) | instid1(VALU_DEP_1)
	v_mul_f32_e32 v10, v10, v11
	v_dual_mul_f32 v11, s5, v11 :: v_dual_fmac_f32 v10, v5, v12
	s_delay_alu instid0(VALU_DEP_1)
	v_fmac_f32_e32 v11, v7, v12
	s_cbranch_execz .LBB61_18
	s_branch .LBB61_19
.LBB61_17:                              ;   in Loop: Header=BB61_9 Depth=1
                                        ; implicit-def: $sgpr13
                                        ; implicit-def: $vgpr10
                                        ; implicit-def: $vgpr9
                                        ; implicit-def: $vgpr11
                                        ; implicit-def: $sgpr1
                                        ; implicit-def: $sgpr19
.LBB61_18:                              ;   in Loop: Header=BB61_9 Depth=1
	s_waitcnt vmcnt(0)
	v_dual_mov_b32 v11, v7 :: v_dual_mov_b32 v10, v5
	v_mov_b32_e32 v9, v8
	s_add_i32 s1, s18, -1
	s_mov_b32 s13, 0
	s_mov_b32 s19, s16
.LBB61_19:                              ;   in Loop: Header=BB61_9 Depth=1
	s_and_not1_b32 vcc_lo, exec_lo, s13
	s_cbranch_vccz .LBB61_23
; %bb.20:                               ;   in Loop: Header=BB61_9 Depth=1
	v_dual_mov_b32 v7, v11 :: v_dual_mov_b32 v8, v9
	s_waitcnt vmcnt(0)
	v_mov_b32_e32 v5, v10
	s_mov_b32 s16, s19
	s_mov_b32 s18, s1
	s_branch .LBB61_9
.LBB61_21:
                                        ; implicit-def: $sgpr16_sgpr17
	s_load_b128 s[8:11], s[0:1], 0x44
	s_branch .LBB61_2
.LBB61_22:
                                        ; implicit-def: $sgpr18_sgpr19
	s_branch .LBB61_5
.LBB61_23:
	v_div_scale_f32 v0, null, v11, v11, v10
	s_delay_alu instid0(VALU_DEP_1) | instskip(SKIP_2) | instid1(VALU_DEP_1)
	v_rcp_f32_e32 v3, v0
	s_waitcnt_depctr 0xfff
	v_fma_f32 v4, -v0, v3, 1.0
	v_fmac_f32_e32 v3, v4, v3
	v_div_scale_f32 v4, vcc_lo, v10, v11, v10
	s_waitcnt vmcnt(0)
	s_delay_alu instid0(VALU_DEP_1) | instskip(NEXT) | instid1(VALU_DEP_1)
	v_mul_f32_e32 v5, v4, v3
	v_fma_f32 v6, -v0, v5, v4
	s_delay_alu instid0(VALU_DEP_1) | instskip(NEXT) | instid1(VALU_DEP_1)
	v_fmac_f32_e32 v5, v6, v3
	v_fma_f32 v0, -v0, v5, v4
	s_delay_alu instid0(VALU_DEP_1) | instskip(NEXT) | instid1(VALU_DEP_1)
	v_div_fmas_f32 v0, v0, v3, v5
	v_div_fixup_f32 v0, v0, v11, v10
	global_store_b32 v[1:2], v0, off
.LBB61_24:
	s_nop 0
	s_sendmsg sendmsg(MSG_DEALLOC_VGPRS)
	s_endpgm
	.section	.rodata,"a",@progbits
	.p2align	6, 0x0
	.amdhsa_kernel _ZL33flash_attn_stream_k_fixup_generalILi40ELi16ELi1EEvPfPK15HIP_vector_typeIfLj2EEiiiiS1_IjLj3EES5_S5_S5_
		.amdhsa_group_segment_fixed_size 0
		.amdhsa_private_segment_fixed_size 0
		.amdhsa_kernarg_size 336
		.amdhsa_user_sgpr_count 13
		.amdhsa_user_sgpr_dispatch_ptr 0
		.amdhsa_user_sgpr_queue_ptr 0
		.amdhsa_user_sgpr_kernarg_segment_ptr 1
		.amdhsa_user_sgpr_dispatch_id 0
		.amdhsa_user_sgpr_private_segment_size 0
		.amdhsa_wavefront_size32 1
		.amdhsa_uses_dynamic_stack 0
		.amdhsa_enable_private_segment 0
		.amdhsa_system_sgpr_workgroup_id_x 1
		.amdhsa_system_sgpr_workgroup_id_y 1
		.amdhsa_system_sgpr_workgroup_id_z 1
		.amdhsa_system_sgpr_workgroup_info 0
		.amdhsa_system_vgpr_workitem_id 0
		.amdhsa_next_free_vgpr 19
		.amdhsa_next_free_sgpr 32
		.amdhsa_reserve_vcc 1
		.amdhsa_float_round_mode_32 0
		.amdhsa_float_round_mode_16_64 0
		.amdhsa_float_denorm_mode_32 3
		.amdhsa_float_denorm_mode_16_64 3
		.amdhsa_dx10_clamp 1
		.amdhsa_ieee_mode 1
		.amdhsa_fp16_overflow 0
		.amdhsa_workgroup_processor_mode 1
		.amdhsa_memory_ordered 1
		.amdhsa_forward_progress 0
		.amdhsa_shared_vgpr_count 0
		.amdhsa_exception_fp_ieee_invalid_op 0
		.amdhsa_exception_fp_denorm_src 0
		.amdhsa_exception_fp_ieee_div_zero 0
		.amdhsa_exception_fp_ieee_overflow 0
		.amdhsa_exception_fp_ieee_underflow 0
		.amdhsa_exception_fp_ieee_inexact 0
		.amdhsa_exception_int_div_zero 0
	.end_amdhsa_kernel
	.section	.text._ZL33flash_attn_stream_k_fixup_generalILi40ELi16ELi1EEvPfPK15HIP_vector_typeIfLj2EEiiiiS1_IjLj3EES5_S5_S5_,"axG",@progbits,_ZL33flash_attn_stream_k_fixup_generalILi40ELi16ELi1EEvPfPK15HIP_vector_typeIfLj2EEiiiiS1_IjLj3EES5_S5_S5_,comdat
.Lfunc_end61:
	.size	_ZL33flash_attn_stream_k_fixup_generalILi40ELi16ELi1EEvPfPK15HIP_vector_typeIfLj2EEiiiiS1_IjLj3EES5_S5_S5_, .Lfunc_end61-_ZL33flash_attn_stream_k_fixup_generalILi40ELi16ELi1EEvPfPK15HIP_vector_typeIfLj2EEiiiiS1_IjLj3EES5_S5_S5_
                                        ; -- End function
	.section	.AMDGPU.csdata,"",@progbits
; Kernel info:
; codeLenInByte = 3216
; NumSgprs: 34
; NumVgprs: 19
; ScratchSize: 0
; MemoryBound: 0
; FloatMode: 240
; IeeeMode: 1
; LDSByteSize: 0 bytes/workgroup (compile time only)
; SGPRBlocks: 4
; VGPRBlocks: 2
; NumSGPRsForWavesPerEU: 34
; NumVGPRsForWavesPerEU: 19
; Occupancy: 16
; WaveLimiterHint : 0
; COMPUTE_PGM_RSRC2:SCRATCH_EN: 0
; COMPUTE_PGM_RSRC2:USER_SGPR: 13
; COMPUTE_PGM_RSRC2:TRAP_HANDLER: 0
; COMPUTE_PGM_RSRC2:TGID_X_EN: 1
; COMPUTE_PGM_RSRC2:TGID_Y_EN: 1
; COMPUTE_PGM_RSRC2:TGID_Z_EN: 1
; COMPUTE_PGM_RSRC2:TIDIG_COMP_CNT: 0
	.section	.text._ZL15flash_attn_tileILi40ELi40ELi8ELi1ELb0EEvPKcS1_S1_S1_S1_PKiPfP15HIP_vector_typeIfLj2EEffffjfiS5_IjLj3EEiiiiiiiiiiiliiliiiiil,"axG",@progbits,_ZL15flash_attn_tileILi40ELi40ELi8ELi1ELb0EEvPKcS1_S1_S1_S1_PKiPfP15HIP_vector_typeIfLj2EEffffjfiS5_IjLj3EEiiiiiiiiiiiliiliiiiil,comdat
	.globl	_ZL15flash_attn_tileILi40ELi40ELi8ELi1ELb0EEvPKcS1_S1_S1_S1_PKiPfP15HIP_vector_typeIfLj2EEffffjfiS5_IjLj3EEiiiiiiiiiiiliiliiiiil ; -- Begin function _ZL15flash_attn_tileILi40ELi40ELi8ELi1ELb0EEvPKcS1_S1_S1_S1_PKiPfP15HIP_vector_typeIfLj2EEffffjfiS5_IjLj3EEiiiiiiiiiiiliiliiiiil
	.p2align	8
	.type	_ZL15flash_attn_tileILi40ELi40ELi8ELi1ELb0EEvPKcS1_S1_S1_S1_PKiPfP15HIP_vector_typeIfLj2EEffffjfiS5_IjLj3EEiiiiiiiiiiiliiliiiiil,@function
_ZL15flash_attn_tileILi40ELi40ELi8ELi1ELb0EEvPKcS1_S1_S1_S1_PKiPfP15HIP_vector_typeIfLj2EEffffjfiS5_IjLj3EEiiiiiiiiiiiliiliiiiil: ; @_ZL15flash_attn_tileILi40ELi40ELi8ELi1ELb0EEvPKcS1_S1_S1_S1_PKiPfP15HIP_vector_typeIfLj2EEffffjfiS5_IjLj3EEiiiiiiiiiiiliiliiiiil
; %bb.0:
	s_clause 0x1
	s_load_b128 s[36:39], s[2:3], 0x5c
	s_load_b64 s[42:43], s[2:3], 0x80
	s_mov_b64 s[40:41], 0
	s_waitcnt lgkmcnt(0)
	v_cvt_f32_u32_e32 v1, s39
	s_sub_i32 s5, 0, s39
	s_delay_alu instid0(VALU_DEP_1) | instskip(SKIP_2) | instid1(VALU_DEP_1)
	v_rcp_iflag_f32_e32 v1, v1
	s_waitcnt_depctr 0xfff
	v_mul_f32_e32 v1, 0x4f7ffffe, v1
	v_cvt_u32_f32_e32 v1, v1
	s_delay_alu instid0(VALU_DEP_1) | instskip(NEXT) | instid1(VALU_DEP_1)
	v_readfirstlane_b32 s4, v1
	s_mul_i32 s5, s5, s4
	s_delay_alu instid0(SALU_CYCLE_1) | instskip(NEXT) | instid1(SALU_CYCLE_1)
	s_mul_hi_u32 s5, s4, s5
	s_add_i32 s4, s4, s5
	s_delay_alu instid0(SALU_CYCLE_1) | instskip(NEXT) | instid1(SALU_CYCLE_1)
	s_mul_hi_u32 s4, s15, s4
	s_mul_i32 s5, s4, s39
	s_add_i32 s6, s4, 1
	s_sub_i32 s5, s15, s5
	s_delay_alu instid0(SALU_CYCLE_1)
	s_sub_i32 s7, s5, s39
	s_cmp_ge_u32 s5, s39
	s_cselect_b32 s4, s6, s4
	s_cselect_b32 s5, s7, s5
	s_add_i32 s6, s4, 1
	s_cmp_ge_u32 s5, s39
	s_cselect_b32 s12, s6, s4
	s_abs_i32 s4, s43
	s_abs_i32 s8, s39
	v_cvt_f32_u32_e32 v1, s4
	s_sub_i32 s6, 0, s4
	s_xor_b32 s7, s39, s43
	s_delay_alu instid0(SALU_CYCLE_1) | instskip(NEXT) | instid1(VALU_DEP_1)
	s_ashr_i32 s7, s7, 31
	v_rcp_iflag_f32_e32 v1, v1
	s_waitcnt_depctr 0xfff
	v_mul_f32_e32 v1, 0x4f7ffffe, v1
	s_delay_alu instid0(VALU_DEP_1) | instskip(NEXT) | instid1(VALU_DEP_1)
	v_cvt_u32_f32_e32 v1, v1
	v_readfirstlane_b32 s5, v1
	s_delay_alu instid0(VALU_DEP_1) | instskip(NEXT) | instid1(SALU_CYCLE_1)
	s_mul_i32 s6, s6, s5
	s_mul_hi_u32 s6, s5, s6
	s_delay_alu instid0(SALU_CYCLE_1) | instskip(SKIP_4) | instid1(SALU_CYCLE_1)
	s_add_i32 s5, s5, s6
	s_mul_i32 s6, s12, s39
	s_mul_hi_u32 s5, s8, s5
	s_sub_i32 s34, s15, s6
	s_mul_i32 s9, s5, s4
	s_sub_i32 s6, s8, s9
	s_add_i32 s8, s5, 1
	s_sub_i32 s9, s6, s4
	s_cmp_ge_u32 s6, s4
	s_cselect_b32 s5, s8, s5
	s_cselect_b32 s6, s9, s6
	s_add_i32 s8, s5, 1
	s_cmp_ge_u32 s6, s4
	s_cselect_b32 s4, s8, s5
	s_delay_alu instid0(SALU_CYCLE_1) | instskip(NEXT) | instid1(SALU_CYCLE_1)
	s_xor_b32 s4, s4, s7
	s_sub_i32 s33, s4, s7
	s_clause 0x1
	s_load_b512 s[16:31], s[2:3], 0x0
	s_load_b64 s[6:7], s[2:3], 0xb8
	s_abs_i32 s15, s33
	s_delay_alu instid0(SALU_CYCLE_1) | instskip(SKIP_1) | instid1(VALU_DEP_1)
	v_cvt_f32_u32_e32 v1, s15
	s_sub_i32 s5, 0, s15
	v_rcp_iflag_f32_e32 v1, v1
	s_waitcnt_depctr 0xfff
	v_mul_f32_e32 v1, 0x4f7ffffe, v1
	s_waitcnt lgkmcnt(0)
	s_cmp_eq_u64 s[22:23], 0
	s_delay_alu instid0(VALU_DEP_1) | instskip(NEXT) | instid1(VALU_DEP_1)
	v_cvt_u32_f32_e32 v1, v1
	v_readfirstlane_b32 s4, v1
	s_delay_alu instid0(VALU_DEP_1) | instskip(NEXT) | instid1(SALU_CYCLE_1)
	s_mul_i32 s5, s5, s4
	s_mul_hi_u32 s5, s4, s5
	s_cbranch_scc1 .LBB62_2
; %bb.1:
	s_abs_i32 s6, s6
	s_abs_i32 s10, s12
	v_cvt_f32_u32_e32 v1, s6
	s_sub_i32 s9, 0, s6
	s_delay_alu instid0(VALU_DEP_1) | instskip(SKIP_2) | instid1(VALU_DEP_1)
	v_rcp_iflag_f32_e32 v1, v1
	s_waitcnt_depctr 0xfff
	v_mul_f32_e32 v1, 0x4f7ffffe, v1
	v_cvt_u32_f32_e32 v1, v1
	s_delay_alu instid0(VALU_DEP_1) | instskip(NEXT) | instid1(VALU_DEP_1)
	v_readfirstlane_b32 s8, v1
	s_mul_i32 s9, s9, s8
	s_delay_alu instid0(SALU_CYCLE_1) | instskip(NEXT) | instid1(SALU_CYCLE_1)
	s_mul_hi_u32 s9, s8, s9
	s_add_i32 s11, s8, s9
	s_load_b64 s[8:9], s[2:3], 0xc8
	s_mul_hi_u32 s11, s10, s11
	s_delay_alu instid0(SALU_CYCLE_1) | instskip(NEXT) | instid1(SALU_CYCLE_1)
	s_mul_i32 s11, s11, s6
	s_sub_i32 s10, s10, s11
	s_ashr_i32 s11, s12, 31
	s_sub_i32 s35, s10, s6
	s_cmp_ge_u32 s10, s6
	s_cselect_b32 s10, s35, s10
	s_delay_alu instid0(SALU_CYCLE_1) | instskip(SKIP_2) | instid1(SALU_CYCLE_1)
	s_sub_i32 s35, s10, s6
	s_cmp_ge_u32 s10, s6
	s_cselect_b32 s6, s35, s10
	s_xor_b32 s6, s6, s11
	s_delay_alu instid0(SALU_CYCLE_1)
	s_sub_i32 s6, s6, s11
	s_waitcnt lgkmcnt(0)
	s_mul_i32 s9, s6, s9
	s_mul_hi_u32 s10, s6, s8
	s_ashr_i32 s11, s6, 31
	s_add_i32 s9, s10, s9
	s_mul_i32 s11, s11, s8
	s_mul_i32 s6, s6, s8
	s_add_i32 s9, s9, s11
	s_add_u32 s40, s22, s6
	s_addc_u32 s41, s23, s9
.LBB62_2:
	s_clause 0x1
	s_load_b128 s[8:11], s[2:3], 0x40
	s_load_b32 s6, s[2:3], 0x50
	v_mov_b32_e32 v17, 1.0
	s_abs_i32 s22, s34
	s_waitcnt lgkmcnt(0)
	v_cmp_le_f32_e64 s9, s9, 0
	s_delay_alu instid0(VALU_DEP_1)
	s_and_b32 vcc_lo, exec_lo, s9
	s_add_i32 s9, s4, s5
	s_cbranch_vccnz .LBB62_4
; %bb.3:
	s_sub_i32 s4, s34, s6
	s_add_i32 s5, s34, 1
	s_lshl_b32 s4, s4, 1
	v_mov_b32_e32 v1, s10
	s_or_b32 s4, s4, 1
	s_cmp_lt_u32 s34, s6
	s_cselect_b32 vcc_lo, -1, 0
	s_delay_alu instid0(VALU_DEP_1)
	v_cndmask_b32_e32 v3, s11, v1, vcc_lo
	s_and_b32 s6, vcc_lo, exec_lo
	s_cselect_b32 s4, s5, s4
	s_mov_b32 s5, 0x3e76c4e1
	v_cvt_f32_i32_e32 v1, s4
	v_cmp_neq_f32_e32 vcc_lo, 1.0, v3
	s_delay_alu instid0(VALU_DEP_2) | instskip(NEXT) | instid1(VALU_DEP_1)
	v_cndmask_b32_e32 v4, 1.0, v1, vcc_lo
	v_cmp_eq_f32_e32 vcc_lo, 0, v4
	v_cndmask_b32_e64 v5, |v3|, 1.0, vcc_lo
	s_delay_alu instid0(VALU_DEP_1) | instskip(NEXT) | instid1(VALU_DEP_1)
	v_frexp_mant_f32_e32 v1, v5
	v_cmp_gt_f32_e64 s4, 0x3f2aaaab, v1
	s_delay_alu instid0(VALU_DEP_1) | instskip(NEXT) | instid1(VALU_DEP_1)
	v_cndmask_b32_e64 v2, 1.0, 2.0, s4
	v_mul_f32_e32 v1, v1, v2
	s_delay_alu instid0(VALU_DEP_1) | instskip(SKIP_1) | instid1(VALU_DEP_2)
	v_add_f32_e32 v2, 1.0, v1
	v_add_f32_e32 v7, -1.0, v1
	v_rcp_f32_e32 v6, v2
	s_waitcnt_depctr 0xfff
	v_mul_f32_e32 v8, v7, v6
	s_delay_alu instid0(VALU_DEP_1) | instskip(NEXT) | instid1(VALU_DEP_1)
	v_dual_add_f32 v9, -1.0, v2 :: v_dual_mul_f32 v10, v2, v8
	v_sub_f32_e32 v1, v1, v9
	v_cndmask_b32_e64 v3, v3, 1.0, vcc_lo
	s_delay_alu instid0(VALU_DEP_3) | instskip(NEXT) | instid1(VALU_DEP_2)
	v_fma_f32 v2, v8, v2, -v10
	v_cmp_eq_f32_e64 s6, 0, v3
	s_delay_alu instid0(VALU_DEP_2) | instskip(NEXT) | instid1(VALU_DEP_1)
	v_fmac_f32_e32 v2, v8, v1
	v_add_f32_e32 v1, v10, v2
	s_delay_alu instid0(VALU_DEP_1) | instskip(NEXT) | instid1(VALU_DEP_1)
	v_dual_sub_f32 v10, v1, v10 :: v_dual_sub_f32 v9, v7, v1
	v_dual_sub_f32 v2, v10, v2 :: v_dual_sub_f32 v7, v7, v9
	s_delay_alu instid0(VALU_DEP_1) | instskip(NEXT) | instid1(VALU_DEP_1)
	v_sub_f32_e32 v1, v7, v1
	v_add_f32_e32 v1, v2, v1
	s_delay_alu instid0(VALU_DEP_1) | instskip(NEXT) | instid1(VALU_DEP_1)
	v_add_f32_e32 v1, v9, v1
	v_mul_f32_e32 v1, v6, v1
	s_delay_alu instid0(VALU_DEP_1) | instskip(NEXT) | instid1(VALU_DEP_1)
	v_add_f32_e32 v6, v8, v1
	v_sub_f32_e32 v2, v6, v8
	v_mul_f32_e32 v7, v6, v6
	s_delay_alu instid0(VALU_DEP_2) | instskip(NEXT) | instid1(VALU_DEP_2)
	v_sub_f32_e32 v8, v1, v2
	v_fma_f32 v9, v6, v6, -v7
	s_delay_alu instid0(VALU_DEP_2) | instskip(NEXT) | instid1(VALU_DEP_1)
	v_add_f32_e32 v1, v8, v8
	v_fmac_f32_e32 v9, v6, v1
	v_cvt_f64_f32_e32 v[1:2], v5
	s_delay_alu instid0(VALU_DEP_2) | instskip(NEXT) | instid1(VALU_DEP_1)
	v_add_f32_e32 v10, v7, v9
	v_fmaak_f32 v11, s5, v10, 0x3e91f4c4
	v_sub_f32_e32 v7, v10, v7
	v_mul_f32_e32 v14, v6, v10
	s_delay_alu instid0(VALU_DEP_3) | instskip(NEXT) | instid1(VALU_DEP_3)
	v_fmaak_f32 v11, v10, v11, 0x3ecccdef
	v_sub_f32_e32 v7, v9, v7
	s_delay_alu instid0(VALU_DEP_2) | instskip(NEXT) | instid1(VALU_DEP_1)
	v_mul_f32_e32 v12, v10, v11
	v_fma_f32 v9, v10, v11, -v12
	s_delay_alu instid0(VALU_DEP_1) | instskip(NEXT) | instid1(VALU_DEP_1)
	v_fmac_f32_e32 v9, v7, v11
	v_add_f32_e32 v11, v12, v9
	v_frexp_exp_i32_f64_e32 v1, v[1:2]
	s_delay_alu instid0(VALU_DEP_2) | instskip(NEXT) | instid1(VALU_DEP_1)
	v_sub_f32_e32 v12, v11, v12
	v_sub_f32_e32 v2, v9, v12
	v_fma_f32 v12, v10, v6, -v14
	s_delay_alu instid0(VALU_DEP_2) | instskip(NEXT) | instid1(VALU_DEP_2)
	v_add_f32_e32 v2, 0x31739010, v2
	v_dual_add_f32 v13, 0x3f2aaaaa, v11 :: v_dual_fmac_f32 v12, v10, v8
	v_ldexp_f32 v8, v8, 1
	s_delay_alu instid0(VALU_DEP_2) | instskip(NEXT) | instid1(VALU_DEP_1)
	v_dual_add_f32 v9, 0xbf2aaaaa, v13 :: v_dual_fmac_f32 v12, v7, v6
	v_sub_f32_e32 v9, v11, v9
	s_delay_alu instid0(VALU_DEP_1) | instskip(NEXT) | instid1(VALU_DEP_3)
	v_add_f32_e32 v2, v2, v9
	v_add_f32_e32 v9, v14, v12
	s_delay_alu instid0(VALU_DEP_2) | instskip(NEXT) | instid1(VALU_DEP_1)
	v_add_f32_e32 v7, v13, v2
	v_sub_f32_e32 v10, v13, v7
	s_delay_alu instid0(VALU_DEP_3) | instskip(SKIP_2) | instid1(VALU_DEP_4)
	v_mul_f32_e32 v11, v9, v7
	v_sub_f32_e32 v13, v9, v14
	v_subrev_co_ci_u32_e64 v1, s4, 0, v1, s4
	v_add_f32_e32 v2, v2, v10
	s_delay_alu instid0(VALU_DEP_4) | instskip(NEXT) | instid1(VALU_DEP_4)
	v_fma_f32 v10, v9, v7, -v11
	v_sub_f32_e32 v12, v12, v13
	s_delay_alu instid0(VALU_DEP_4) | instskip(NEXT) | instid1(VALU_DEP_3)
	v_cvt_f32_i32_e32 v1, v1
	v_fmac_f32_e32 v10, v9, v2
	v_ldexp_f32 v2, v6, 1
	s_delay_alu instid0(VALU_DEP_2) | instskip(NEXT) | instid1(VALU_DEP_1)
	v_fmac_f32_e32 v10, v12, v7
	v_add_f32_e32 v6, v11, v10
	s_delay_alu instid0(VALU_DEP_1) | instskip(NEXT) | instid1(VALU_DEP_1)
	v_add_f32_e32 v7, v2, v6
	v_dual_sub_f32 v2, v7, v2 :: v_dual_sub_f32 v9, v6, v11
	s_delay_alu instid0(VALU_DEP_1) | instskip(NEXT) | instid1(VALU_DEP_2)
	v_sub_f32_e32 v2, v6, v2
	v_sub_f32_e32 v9, v10, v9
	s_delay_alu instid0(VALU_DEP_1) | instskip(NEXT) | instid1(VALU_DEP_1)
	v_add_f32_e32 v6, v8, v9
	v_dual_mul_f32 v11, 0x3f317218, v1 :: v_dual_add_f32 v2, v6, v2
	s_delay_alu instid0(VALU_DEP_1) | instskip(NEXT) | instid1(VALU_DEP_2)
	v_fma_f32 v10, 0x3f317218, v1, -v11
	v_add_f32_e32 v8, v7, v2
	s_delay_alu instid0(VALU_DEP_1) | instskip(NEXT) | instid1(VALU_DEP_1)
	v_sub_f32_e32 v7, v8, v7
	v_dual_fmamk_f32 v1, v1, 0xb102e308, v10 :: v_dual_sub_f32 v2, v2, v7
	s_delay_alu instid0(VALU_DEP_1) | instskip(NEXT) | instid1(VALU_DEP_1)
	v_add_f32_e32 v6, v11, v1
	v_add_f32_e32 v9, v6, v8
	s_delay_alu instid0(VALU_DEP_1) | instskip(NEXT) | instid1(VALU_DEP_1)
	v_dual_sub_f32 v11, v6, v11 :: v_dual_sub_f32 v10, v9, v6
	v_sub_f32_e32 v12, v9, v10
	s_delay_alu instid0(VALU_DEP_2) | instskip(NEXT) | instid1(VALU_DEP_2)
	v_sub_f32_e32 v1, v1, v11
	v_dual_sub_f32 v7, v8, v10 :: v_dual_sub_f32 v6, v6, v12
	s_delay_alu instid0(VALU_DEP_2) | instskip(NEXT) | instid1(VALU_DEP_2)
	v_add_f32_e32 v8, v1, v2
	v_add_f32_e32 v6, v7, v6
	s_delay_alu instid0(VALU_DEP_1) | instskip(NEXT) | instid1(VALU_DEP_1)
	v_add_f32_e32 v6, v8, v6
	v_dual_sub_f32 v7, v8, v1 :: v_dual_add_f32 v10, v9, v6
	s_delay_alu instid0(VALU_DEP_1) | instskip(SKIP_1) | instid1(VALU_DEP_3)
	v_sub_f32_e32 v8, v8, v7
	v_sub_f32_e32 v2, v2, v7
	;; [unrolled: 1-line block ×3, first 2 shown]
	s_delay_alu instid0(VALU_DEP_3) | instskip(NEXT) | instid1(VALU_DEP_1)
	v_sub_f32_e32 v1, v1, v8
	v_add_f32_e32 v1, v2, v1
	s_delay_alu instid0(VALU_DEP_3) | instskip(NEXT) | instid1(VALU_DEP_1)
	v_sub_f32_e32 v2, v6, v7
	v_add_f32_e32 v1, v1, v2
	s_delay_alu instid0(VALU_DEP_1) | instskip(NEXT) | instid1(VALU_DEP_1)
	v_add_f32_e32 v2, v10, v1
	v_mul_f32_e32 v7, v4, v2
	v_sub_f32_e32 v6, v2, v10
	s_delay_alu instid0(VALU_DEP_2) | instskip(NEXT) | instid1(VALU_DEP_2)
	v_fma_f32 v2, v4, v2, -v7
	v_sub_f32_e32 v1, v1, v6
	v_cmp_class_f32_e64 s4, v7, 0x204
	s_delay_alu instid0(VALU_DEP_2) | instskip(NEXT) | instid1(VALU_DEP_1)
	v_fmac_f32_e32 v2, v4, v1
	v_add_f32_e32 v1, v7, v2
	s_delay_alu instid0(VALU_DEP_1) | instskip(NEXT) | instid1(VALU_DEP_1)
	v_cndmask_b32_e64 v6, v1, v7, s4
	v_cmp_eq_f32_e64 s4, 0x42b17218, v6
	s_delay_alu instid0(VALU_DEP_1) | instskip(SKIP_1) | instid1(VALU_DEP_2)
	v_cndmask_b32_e64 v8, 0, 0x37000000, s4
	v_cmp_neq_f32_e64 s4, 0x7f800000, |v6|
	v_sub_f32_e32 v9, v6, v8
	v_trunc_f32_e32 v6, v4
	s_delay_alu instid0(VALU_DEP_2) | instskip(NEXT) | instid1(VALU_DEP_1)
	v_mul_f32_e32 v10, 0x3fb8aa3b, v9
	v_fma_f32 v11, 0x3fb8aa3b, v9, -v10
	v_rndne_f32_e32 v12, v10
	s_delay_alu instid0(VALU_DEP_1) | instskip(NEXT) | instid1(VALU_DEP_1)
	v_dual_fmamk_f32 v11, v9, 0x32a5705f, v11 :: v_dual_sub_f32 v10, v10, v12
	v_add_f32_e32 v10, v10, v11
	v_sub_f32_e32 v1, v1, v7
	v_cvt_i32_f32_e32 v7, v12
	s_delay_alu instid0(VALU_DEP_3) | instskip(NEXT) | instid1(VALU_DEP_2)
	v_exp_f32_e32 v10, v10
	v_sub_f32_e32 v1, v2, v1
	s_delay_alu instid0(VALU_DEP_1)
	v_cndmask_b32_e64 v1, 0, v1, s4
	v_cmp_ngt_f32_e64 s4, 0xc2ce8ed0, v9
	s_waitcnt_depctr 0xfff
	v_ldexp_f32 v2, v10, v7
	v_mul_f32_e32 v7, 0.5, v4
	v_add_f32_e32 v1, v8, v1
	s_delay_alu instid0(VALU_DEP_3) | instskip(NEXT) | instid1(VALU_DEP_3)
	v_cndmask_b32_e64 v2, 0, v2, s4
	v_trunc_f32_e32 v10, v7
	v_cmp_nlt_f32_e64 s4, 0x42b17218, v9
	s_delay_alu instid0(VALU_DEP_2) | instskip(NEXT) | instid1(VALU_DEP_2)
	v_cmp_neq_f32_e64 s5, v10, v7
	v_cndmask_b32_e64 v2, 0x7f800000, v2, s4
	v_cmp_eq_f32_e64 s4, v6, v4
	s_delay_alu instid0(VALU_DEP_2) | instskip(NEXT) | instid1(VALU_DEP_2)
	v_fma_f32 v1, v2, v1, v2
	s_and_b32 vcc_lo, s4, s5
	v_cmp_class_f32_e64 s5, v2, 0x204
	v_cndmask_b32_e32 v6, 1.0, v3, vcc_lo
	s_delay_alu instid0(VALU_DEP_2) | instskip(SKIP_1) | instid1(VALU_DEP_2)
	v_cndmask_b32_e64 v1, v1, v2, s5
	v_cmp_gt_f32_e64 s5, 0, v4
	v_bfi_b32 v1, 0x7fffffff, v1, v6
	v_cndmask_b32_e32 v6, 0, v3, vcc_lo
	s_delay_alu instid0(VALU_DEP_3)
	s_xor_b32 s5, s5, s6
	v_cmp_eq_f32_e32 vcc_lo, 0x7f800000, v5
	v_cndmask_b32_e64 v2, 0x7f800000, 0, s5
	v_cndmask_b32_e64 v4, 0x7fc00000, v1, s4
	v_cmp_gt_f32_e64 s4, 0, v3
	s_or_b32 vcc_lo, vcc_lo, s6
	s_delay_alu instid0(VALU_DEP_3) | instskip(NEXT) | instid1(VALU_DEP_2)
	v_bfi_b32 v2, 0x7fffffff, v2, v6
	v_cndmask_b32_e64 v1, v1, v4, s4
	s_delay_alu instid0(VALU_DEP_1) | instskip(SKIP_1) | instid1(VALU_DEP_2)
	v_cndmask_b32_e32 v1, v1, v2, vcc_lo
	v_cmp_o_f32_e32 vcc_lo, v3, v3
	v_cndmask_b32_e32 v17, 0x7fc00000, v1, vcc_lo
.LBB62_4:
	v_and_b32_e32 v4, 0x3ff, v0
	v_bfe_u32 v16, v0, 10, 10
	s_lshl_b32 s5, s13, 3
	s_delay_alu instid0(VALU_DEP_2) | instskip(NEXT) | instid1(VALU_DEP_2)
	v_cmp_gt_u32_e64 s4, 20, v4
	v_add_nc_u32_e32 v5, s5, v16
	s_mul_hi_u32 s5, s22, s9
	s_delay_alu instid0(VALU_DEP_2)
	s_and_saveexec_b32 s6, s4
	s_cbranch_execz .LBB62_6
; %bb.5:
	s_load_b128 s[44:47], s[2:3], 0x70
	v_mul_hi_u32 v1, s36, v5
	s_delay_alu instid0(VALU_DEP_1) | instskip(NEXT) | instid1(VALU_DEP_1)
	v_add_nc_u32_e32 v1, v5, v1
	v_lshrrev_b32_e32 v1, s37, v1
	s_delay_alu instid0(VALU_DEP_1)
	v_mul_lo_u32 v1, v1, s38
	s_waitcnt lgkmcnt(0)
	s_mul_i32 s9, s12, s46
	s_mul_i32 s10, s34, s45
	s_ashr_i32 s11, s9, 31
	s_add_u32 s9, s16, s9
	s_addc_u32 s11, s17, s11
	s_ashr_i32 s16, s10, 31
	s_add_u32 s9, s9, s10
	s_addc_u32 s10, s11, s16
	s_ashr_i32 s11, s44, 31
	v_sub_nc_u32_e32 v3, v5, v1
	v_alignbit_b32 v6, s11, s44, 2
	s_lshr_b32 s11, s11, 2
	s_delay_alu instid0(VALU_DEP_1) | instskip(NEXT) | instid1(VALU_DEP_1)
	v_mad_u64_u32 v[1:2], null, v6, v3, 0
	v_mad_u64_u32 v[6:7], null, s11, v3, v[2:3]
	s_delay_alu instid0(VALU_DEP_1) | instskip(NEXT) | instid1(VALU_DEP_1)
	v_dual_mov_b32 v2, v6 :: v_dual_lshlrev_b32 v3, 3, v4
	v_lshlrev_b64 v[1:2], 2, v[1:2]
	s_delay_alu instid0(VALU_DEP_1) | instskip(NEXT) | instid1(VALU_DEP_2)
	v_add_co_u32 v1, vcc_lo, s9, v1
	v_add_co_ci_u32_e32 v2, vcc_lo, s10, v2, vcc_lo
	s_delay_alu instid0(VALU_DEP_2) | instskip(NEXT) | instid1(VALU_DEP_2)
	v_add_co_u32 v1, vcc_lo, v1, v3
	v_add_co_ci_u32_e32 v2, vcc_lo, 0, v2, vcc_lo
	v_mul_u32_u24_e32 v3, 20, v16
	global_load_b64 v[1:2], v[1:2], off
	s_waitcnt vmcnt(0)
	v_fma_mixlo_f16 v1, v1, s8, 0
	s_delay_alu instid0(VALU_DEP_1)
	v_fma_mixhi_f16 v1, v2, s8, 0
	v_add_lshl_u32 v2, v3, v4, 2
	ds_store_b32 v2, v1 offset:3168
.LBB62_6:
	s_or_b32 exec_lo, exec_lo, s6
	s_ashr_i32 s35, s34, 31
	s_ashr_i32 s6, s33, 31
	s_cmp_eq_u64 s[26:27], 0
	s_waitcnt lgkmcnt(0)
	s_barrier
	buffer_gl0_inv
	s_cbranch_scc1 .LBB62_8
; %bb.7:
	s_load_b32 s8, s[2:3], 0xd0
	s_mov_b32 s9, 0
	s_waitcnt lgkmcnt(0)
	s_mul_i32 s8, s8, s12
	s_delay_alu instid0(SALU_CYCLE_1) | instskip(NEXT) | instid1(SALU_CYCLE_1)
	s_add_i32 s8, s8, s13
	s_lshl_b64 s[8:9], s[8:9], 2
	s_delay_alu instid0(SALU_CYCLE_1)
	s_add_u32 s8, s26, s8
	s_addc_u32 s9, s27, s9
	s_load_b32 s42, s[8:9], 0x0
.LBB62_8:
	s_clause 0x2
	s_load_b64 s[26:27], s[2:3], 0x8c
	s_load_b128 s[8:11], s[2:3], 0x98
	s_load_b64 s[44:45], s[2:3], 0xa8
	s_ashr_i32 s16, s7, 1
	s_ashr_i32 s7, s12, 31
	s_mul_i32 s13, s5, s15
	v_lshrrev_b32_e32 v3, 2, v4
	v_mul_u32_u24_e32 v19, 0x60, v4
	v_mul_u32_u24_e32 v20, 0x50, v16
	v_lshlrev_b32_e32 v15, 2, v4
	v_mbcnt_lo_u32_b32 v14, -1, 0
	s_waitcnt lgkmcnt(0)
	s_ashr_i32 s17, s26, 2
	s_mul_i32 s9, s12, s9
	s_mul_hi_u32 s23, s12, s8
	s_mul_i32 s26, s7, s8
	s_add_i32 s9, s23, s9
	s_mul_i32 s8, s12, s8
	s_ashr_i32 s10, s10, 2
	s_add_i32 s9, s9, s26
	s_add_u32 s8, s18, s8
	s_addc_u32 s9, s19, s9
	s_sub_i32 s13, s22, s13
	s_xor_b32 s6, s35, s6
	s_add_i32 s18, s5, 1
	s_sub_i32 s19, s13, s15
	s_cmp_ge_u32 s13, s15
	s_cselect_b32 s5, s18, s5
	s_cselect_b32 s13, s19, s13
	s_add_i32 s18, s5, 1
	s_cmp_ge_u32 s13, s15
	s_mul_i32 s13, s12, s45
	s_cselect_b32 s5, s18, s5
	s_mul_hi_u32 s15, s12, s44
	s_xor_b32 s5, s5, s6
	s_mul_i32 s19, s12, s44
	s_sub_i32 s5, s5, s6
	s_mul_i32 s6, s7, s44
	s_mul_i32 s7, s5, s27
	;; [unrolled: 1-line block ×3, first 2 shown]
	s_ashr_i32 s18, s7, 31
	s_add_u32 s7, s8, s7
	s_addc_u32 s18, s9, s18
	s_add_i32 s8, s15, s13
	s_delay_alu instid0(SALU_CYCLE_1)
	s_add_i32 s8, s8, s6
	s_add_u32 s6, s20, s19
	s_addc_u32 s8, s21, s8
	s_ashr_i32 s9, s5, 31
	s_add_u32 s11, s6, s5
	s_addc_u32 s13, s8, s9
	s_lshl_b32 s15, s14, 5
	s_sub_i32 s19, s42, 32
	s_delay_alu instid0(SALU_CYCLE_1)
	s_cmp_ge_i32 s15, s19
	s_cbranch_scc1 .LBB62_23
; %bb.9:
	v_mul_hi_u32 v1, s36, v5
	v_lshl_add_u32 v2, v16, 5, v4
	v_lshl_add_u32 v6, v16, 3, v3
	v_dual_mov_b32 v13, 0 :: v_dual_and_b32 v18, 12, v15
	v_lshl_add_u32 v22, v16, 6, 0xee0
	s_delay_alu instid0(VALU_DEP_4) | instskip(NEXT) | instid1(VALU_DEP_4)
	v_mul_lo_u32 v10, s10, v2
	v_mul_lo_u32 v8, s17, v6
	v_dual_mov_b32 v30, 0 :: v_dual_add_nc_u32 v1, v5, v1
	v_mul_lo_u32 v28, s10, v6
	v_mad_u32_u24 v23, 0x60, v2, 64
	v_lshlrev_b32_e32 v11, 4, v2
	s_delay_alu instid0(VALU_DEP_4)
	v_lshrrev_b32_e32 v9, s37, v1
	v_mul_lo_u32 v1, s17, v2
	v_lshlrev_b32_e32 v7, 2, v18
	v_cmp_gt_u32_e64 s5, 32, v2
	v_sub_nc_u32_e32 v26, v23, v11
	v_mul_lo_u32 v12, v9, s38
	v_ashrrev_i32_e32 v9, 31, v8
	v_ashrrev_i32_e32 v11, 31, v10
	;; [unrolled: 1-line block ×4, first 2 shown]
	v_cmp_gt_u32_e64 s6, 32, v6
	v_mad_u32_u24 v25, 0x60, v6, v7
	v_mad_u32_u24 v27, 0x50, v6, v7
	v_sub_nc_u32_e32 v12, v5, v12
	v_lshlrev_b64 v[1:2], 2, v[1:2]
	s_cmp_lg_u64 s[40:41], 0
	v_mov_b32_e32 v31, 0xfeffffff
	v_lshl_add_u32 v24, v4, 1, v22
	v_mad_u64_u32 v[6:7], null, v12, s16, v[4:5]
	v_lshlrev_b64 v[7:8], 2, v[8:9]
	v_lshlrev_b64 v[9:10], 2, v[10:11]
	v_lshlrev_b64 v[11:12], 2, v[28:29]
	v_lshlrev_b32_e32 v28, 2, v18
	v_mbcnt_lo_u32_b32 v29, -1, 0
	s_cselect_b32 s20, -1, 0
	s_add_u32 s8, s2, 0xd0
	s_addc_u32 s9, s3, 0
.LBB62_10:                              ; =>This Inner Loop Header: Depth=1
	s_mul_hi_i32 s23, s15, s17
	s_mul_i32 s22, s15, s17
	s_delay_alu instid0(SALU_CYCLE_1) | instskip(NEXT) | instid1(SALU_CYCLE_1)
	s_lshl_b64 s[22:23], s[22:23], 2
	s_add_u32 s21, s7, s22
	s_addc_u32 s22, s18, s23
	s_and_saveexec_b32 s23, s5
	s_cbranch_execz .LBB62_12
; %bb.11:                               ;   in Loop: Header=BB62_10 Depth=1
	v_add_co_u32 v32, vcc_lo, s21, v1
	v_add_co_ci_u32_e32 v33, vcc_lo, s22, v2, vcc_lo
	global_load_b128 v[32:35], v[32:33], off offset:64
	s_waitcnt vmcnt(0)
	ds_store_b128 v23, v[32:35]
.LBB62_12:                              ;   in Loop: Header=BB62_10 Depth=1
	s_or_b32 exec_lo, exec_lo, s23
	s_and_saveexec_b32 s23, s6
	s_cbranch_execz .LBB62_14
; %bb.13:                               ;   in Loop: Header=BB62_10 Depth=1
	v_add_co_u32 v18, vcc_lo, s21, v7
	v_add_co_ci_u32_e32 v21, vcc_lo, s22, v8, vcc_lo
	s_delay_alu instid0(VALU_DEP_2) | instskip(NEXT) | instid1(VALU_DEP_2)
	v_add_co_u32 v32, vcc_lo, v18, v28
	v_add_co_ci_u32_e32 v33, vcc_lo, 0, v21, vcc_lo
	global_load_b128 v[32:35], v[32:33], off
	s_waitcnt vmcnt(0)
	ds_store_b128 v25, v[32:35]
.LBB62_14:                              ;   in Loop: Header=BB62_10 Depth=1
	s_or_b32 exec_lo, exec_lo, s23
	s_waitcnt lgkmcnt(0)
	s_barrier
	buffer_gl0_inv
	ds_load_b128 v[32:35], v19
	ds_load_b128 v[36:39], v20 offset:3168
	v_mov_b32_e32 v18, 0
	s_and_not1_b32 vcc_lo, exec_lo, s20
	s_waitcnt lgkmcnt(0)
	;;#ASMSTART
	v_dot2_f32_f16 v18, v32, v36, v18
	;;#ASMEND
	;;#ASMSTART
	v_dot2_f32_f16 v18, v33, v37, v18
	;;#ASMEND
	;;#ASMSTART
	v_dot2_f32_f16 v18, v34, v38, v18
	;;#ASMEND
	;;#ASMSTART
	v_dot2_f32_f16 v18, v35, v39, v18
	;;#ASMEND
	ds_load_b128 v[32:35], v19 offset:16
	ds_load_b128 v[36:39], v20 offset:3184
	s_waitcnt lgkmcnt(0)
	;;#ASMSTART
	v_dot2_f32_f16 v18, v32, v36, v18
	;;#ASMEND
	;;#ASMSTART
	v_dot2_f32_f16 v18, v33, v37, v18
	;;#ASMEND
	;;#ASMSTART
	v_dot2_f32_f16 v18, v34, v38, v18
	;;#ASMEND
	;;#ASMSTART
	v_dot2_f32_f16 v18, v35, v39, v18
	;;#ASMEND
	ds_load_b128 v[32:35], v19 offset:32
	ds_load_b128 v[36:39], v20 offset:3200
	;; [unrolled: 15-line block ×4, first 2 shown]
	s_waitcnt lgkmcnt(0)
	;;#ASMSTART
	v_dot2_f32_f16 v18, v32, v36, v18
	;;#ASMEND
	;;#ASMSTART
	v_dot2_f32_f16 v18, v33, v37, v18
	;;#ASMEND
	;;#ASMSTART
	v_dot2_f32_f16 v18, v34, v38, v18
	;;#ASMEND
	;;#ASMSTART
	v_dot2_f32_f16 v18, v35, v39, v18
	;;#ASMEND
	s_cbranch_vccnz .LBB62_16
; %bb.15:                               ;   in Loop: Header=BB62_10 Depth=1
	v_add_nc_u32_e32 v32, s15, v6
	s_delay_alu instid0(VALU_DEP_1) | instskip(NEXT) | instid1(VALU_DEP_1)
	v_ashrrev_i32_e32 v33, 31, v32
	v_lshlrev_b64 v[32:33], 1, v[32:33]
	s_delay_alu instid0(VALU_DEP_1) | instskip(NEXT) | instid1(VALU_DEP_2)
	v_add_co_u32 v32, vcc_lo, s40, v32
	v_add_co_ci_u32_e32 v33, vcc_lo, s41, v33, vcc_lo
	flat_load_u16 v21, v[32:33]
	s_waitcnt vmcnt(0) lgkmcnt(0)
	v_cvt_f32_f16_e32 v21, v21
	s_delay_alu instid0(VALU_DEP_1)
	v_mul_f32_e32 v21, v17, v21
	s_branch .LBB62_17
.LBB62_16:                              ;   in Loop: Header=BB62_10 Depth=1
	v_mov_b32_e32 v21, 0
.LBB62_17:                              ;   in Loop: Header=BB62_10 Depth=1
	s_delay_alu instid0(VALU_DEP_1)
	v_add_f32_e32 v18, v18, v21
	v_xor_b32_e32 v21, 16, v29
	v_max_f32_e32 v32, v31, v31
	s_mul_hi_i32 s23, s15, s10
	s_mul_i32 s22, s15, s10
	v_add_f32_e32 v33, 0x40051340, v18
	v_cmp_gt_i32_e32 vcc_lo, 32, v21
	s_lshl_b64 s[22:23], s[22:23], 2
	s_delay_alu instid0(SALU_CYCLE_1) | instskip(NEXT) | instid1(VALU_DEP_2)
	s_add_u32 s21, s11, s22
	v_max_f32_e32 v32, v32, v33
	v_cndmask_b32_e32 v21, v29, v21, vcc_lo
	v_xor_b32_e32 v33, 8, v29
	s_addc_u32 s22, s13, s23
	s_barrier
	buffer_gl0_inv
	v_lshlrev_b32_e32 v21, 2, v21
	v_cmp_gt_i32_e32 vcc_lo, 32, v33
	ds_bpermute_b32 v21, v21, v32
	v_cndmask_b32_e32 v33, v29, v33, vcc_lo
	s_delay_alu instid0(VALU_DEP_1) | instskip(SKIP_2) | instid1(VALU_DEP_1)
	v_lshlrev_b32_e32 v33, 2, v33
	s_waitcnt lgkmcnt(0)
	v_max_f32_e32 v21, v21, v21
	v_max_f32_e32 v21, v32, v21
	ds_bpermute_b32 v32, v33, v21
	v_xor_b32_e32 v33, 4, v29
	s_delay_alu instid0(VALU_DEP_1) | instskip(SKIP_2) | instid1(VALU_DEP_1)
	v_cmp_gt_i32_e32 vcc_lo, 32, v33
	v_cndmask_b32_e32 v33, v29, v33, vcc_lo
	s_waitcnt lgkmcnt(0)
	v_dual_max_f32 v32, v32, v32 :: v_dual_lshlrev_b32 v33, 2, v33
	s_delay_alu instid0(VALU_DEP_1) | instskip(SKIP_2) | instid1(VALU_DEP_1)
	v_max_f32_e32 v21, v21, v32
	ds_bpermute_b32 v32, v33, v21
	v_xor_b32_e32 v33, 2, v29
	v_cmp_gt_i32_e32 vcc_lo, 32, v33
	v_cndmask_b32_e32 v33, v29, v33, vcc_lo
	s_waitcnt lgkmcnt(0)
	s_delay_alu instid0(VALU_DEP_1) | instskip(NEXT) | instid1(VALU_DEP_1)
	v_dual_max_f32 v32, v32, v32 :: v_dual_lshlrev_b32 v33, 2, v33
	v_max_f32_e32 v21, v21, v32
	ds_bpermute_b32 v32, v33, v21
	v_xor_b32_e32 v33, 1, v29
	s_delay_alu instid0(VALU_DEP_1) | instskip(SKIP_2) | instid1(VALU_DEP_1)
	v_cmp_gt_i32_e32 vcc_lo, 32, v33
	v_cndmask_b32_e32 v33, v29, v33, vcc_lo
	s_waitcnt lgkmcnt(0)
	v_dual_max_f32 v32, v32, v32 :: v_dual_lshlrev_b32 v33, 2, v33
	s_delay_alu instid0(VALU_DEP_1) | instskip(SKIP_3) | instid1(VALU_DEP_1)
	v_max_f32_e32 v21, v21, v32
	ds_bpermute_b32 v32, v33, v21
	s_waitcnt lgkmcnt(0)
	v_max_f32_e32 v32, v32, v32
	v_max_f32_e32 v21, v21, v32
	s_delay_alu instid0(VALU_DEP_1) | instskip(NEXT) | instid1(VALU_DEP_1)
	v_sub_f32_e32 v18, v18, v21
	v_mul_f32_e32 v32, 0x3fb8aa3b, v18
	v_cmp_ngt_f32_e32 vcc_lo, 0xc2ce8ed0, v18
	s_delay_alu instid0(VALU_DEP_2) | instskip(SKIP_1) | instid1(VALU_DEP_2)
	v_fma_f32 v33, 0x3fb8aa3b, v18, -v32
	v_rndne_f32_e32 v34, v32
	v_fmac_f32_e32 v33, 0x32a5705f, v18
	s_delay_alu instid0(VALU_DEP_2) | instskip(NEXT) | instid1(VALU_DEP_1)
	v_sub_f32_e32 v32, v32, v34
	v_add_f32_e32 v32, v32, v33
	v_cvt_i32_f32_e32 v33, v34
	s_delay_alu instid0(VALU_DEP_2) | instskip(SKIP_2) | instid1(VALU_DEP_1)
	v_exp_f32_e32 v32, v32
	s_waitcnt_depctr 0xfff
	v_ldexp_f32 v32, v32, v33
	v_cndmask_b32_e32 v32, 0, v32, vcc_lo
	v_cmp_nlt_f32_e32 vcc_lo, 0x42b17218, v18
	s_delay_alu instid0(VALU_DEP_2) | instskip(NEXT) | instid1(VALU_DEP_1)
	v_cndmask_b32_e32 v18, 0x7f800000, v32, vcc_lo
	v_cvt_f16_f32_e32 v32, v18
	ds_store_b16 v24, v32
	s_and_saveexec_b32 s23, s5
	s_cbranch_execz .LBB62_19
; %bb.18:                               ;   in Loop: Header=BB62_10 Depth=1
	v_add_co_u32 v32, vcc_lo, s21, v9
	v_add_co_ci_u32_e32 v33, vcc_lo, s22, v10, vcc_lo
	global_load_b128 v[32:35], v[32:33], off offset:64
	s_waitcnt vmcnt(0)
	ds_store_b128 v26, v[32:35]
.LBB62_19:                              ;   in Loop: Header=BB62_10 Depth=1
	s_or_b32 exec_lo, exec_lo, s23
	s_and_saveexec_b32 s23, s6
	s_cbranch_execz .LBB62_21
; %bb.20:                               ;   in Loop: Header=BB62_10 Depth=1
	v_add_co_u32 v32, vcc_lo, s21, v11
	v_add_co_ci_u32_e32 v33, vcc_lo, s22, v12, vcc_lo
	s_delay_alu instid0(VALU_DEP_2) | instskip(NEXT) | instid1(VALU_DEP_2)
	v_add_co_u32 v32, vcc_lo, v32, v28
	v_add_co_ci_u32_e32 v33, vcc_lo, 0, v33, vcc_lo
	global_load_b128 v[32:35], v[32:33], off
	s_waitcnt vmcnt(0)
	ds_store_b128 v27, v[32:35]
.LBB62_21:                              ;   in Loop: Header=BB62_10 Depth=1
	s_or_b32 exec_lo, exec_lo, s23
	v_sub_f32_e32 v35, v31, v21
	s_waitcnt lgkmcnt(0)
	s_barrier
	buffer_gl0_inv
	v_mul_f32_e32 v31, 0x3fb8aa3b, v35
	v_cmp_ngt_f32_e32 vcc_lo, 0xc2ce8ed0, v35
	s_delay_alu instid0(VALU_DEP_2) | instskip(SKIP_1) | instid1(VALU_DEP_1)
	v_fma_f32 v32, 0x3fb8aa3b, v35, -v31
	v_rndne_f32_e32 v36, v31
	v_dual_fmac_f32 v32, 0x32a5705f, v35 :: v_dual_sub_f32 v31, v31, v36
	v_cvt_i32_f32_e32 v36, v36
	s_delay_alu instid0(VALU_DEP_2) | instskip(NEXT) | instid1(VALU_DEP_1)
	v_add_f32_e32 v31, v31, v32
	v_exp_f32_e32 v37, v31
	ds_load_2addr_b32 v[39:40], v15 offset1:20
	ds_load_b128 v[31:34], v22
	ds_load_2addr_b32 v[41:42], v15 offset0:40 offset1:60
	ds_load_2addr_b32 v[43:44], v15 offset0:80 offset1:100
	v_ldexp_f32 v36, v37, v36
	s_delay_alu instid0(VALU_DEP_1) | instskip(SKIP_1) | instid1(VALU_DEP_2)
	v_cndmask_b32_e32 v36, 0, v36, vcc_lo
	v_cmp_nlt_f32_e32 vcc_lo, 0x42b17218, v35
	v_cndmask_b32_e32 v45, 0x7f800000, v36, vcc_lo
	s_waitcnt lgkmcnt(2)
	v_pk_mul_f16 v39, v39, v31 op_sel_hi:[1,0]
	ds_load_b128 v[35:38], v22 offset:16
	v_cvt_f16_f32_e32 v46, v45
	v_fmac_f32_e32 v18, v30, v45
	s_delay_alu instid0(VALU_DEP_2) | instskip(SKIP_1) | instid1(VALU_DEP_2)
	v_pk_fma_f16 v13, v13, v46, v39 op_sel_hi:[1,0,1]
	v_add_nc_u32_e32 v46, 0x400, v15
	v_pk_fma_f16 v13, v40, v31, v13 op_sel:[0,1,0]
	ds_load_2addr_b32 v[39:40], v15 offset0:120 offset1:140
	s_waitcnt lgkmcnt(3)
	v_pk_fma_f16 v13, v41, v32, v13 op_sel_hi:[1,0,1]
	s_delay_alu instid0(VALU_DEP_1) | instskip(SKIP_4) | instid1(VALU_DEP_1)
	v_pk_fma_f16 v13, v42, v32, v13 op_sel:[0,1,0]
	ds_load_2addr_b32 v[31:32], v15 offset0:160 offset1:180
	ds_load_2addr_b32 v[41:42], v15 offset0:200 offset1:220
	s_waitcnt lgkmcnt(4)
	v_pk_fma_f16 v13, v43, v33, v13 op_sel_hi:[1,0,1]
	v_pk_fma_f16 v13, v44, v33, v13 op_sel:[0,1,0]
	v_add_nc_u32_e32 v33, 0x200, v15
	ds_load_2addr_b32 v[43:44], v46 offset0:24 offset1:44
	s_waitcnt lgkmcnt(3)
	v_pk_fma_f16 v13, v39, v34, v13 op_sel_hi:[1,0,1]
	s_delay_alu instid0(VALU_DEP_1) | instskip(SKIP_3) | instid1(VALU_DEP_1)
	v_pk_fma_f16 v13, v40, v34, v13 op_sel:[0,1,0]
	ds_load_2addr_b32 v[39:40], v33 offset0:112 offset1:132
	s_waitcnt lgkmcnt(3)
	v_pk_fma_f16 v13, v31, v35, v13 op_sel_hi:[1,0,1]
	v_pk_fma_f16 v13, v32, v35, v13 op_sel:[0,1,0]
	ds_load_b128 v[31:34], v22 offset:32
	s_waitcnt lgkmcnt(3)
	v_pk_fma_f16 v13, v41, v36, v13 op_sel_hi:[1,0,1]
	s_delay_alu instid0(VALU_DEP_1) | instskip(SKIP_3) | instid1(VALU_DEP_1)
	v_pk_fma_f16 v13, v42, v36, v13 op_sel:[0,1,0]
	ds_load_2addr_b32 v[41:42], v46 offset0:64 offset1:84
	s_waitcnt lgkmcnt(2)
	v_pk_fma_f16 v13, v39, v37, v13 op_sel_hi:[1,0,1]
	v_pk_fma_f16 v13, v40, v37, v13 op_sel:[0,1,0]
	ds_load_2addr_b32 v[39:40], v46 offset0:104 offset1:124
	v_pk_fma_f16 v13, v43, v38, v13 op_sel_hi:[1,0,1]
	s_delay_alu instid0(VALU_DEP_1) | instskip(SKIP_4) | instid1(VALU_DEP_1)
	v_pk_fma_f16 v13, v44, v38, v13 op_sel:[0,1,0]
	ds_load_b128 v[35:38], v22 offset:48
	ds_load_2addr_b32 v[43:44], v46 offset0:144 offset1:164
	s_waitcnt lgkmcnt(3)
	v_pk_fma_f16 v13, v41, v31, v13 op_sel_hi:[1,0,1]
	v_pk_fma_f16 v13, v42, v31, v13 op_sel:[0,1,0]
	ds_load_2addr_b32 v[41:42], v46 offset0:184 offset1:204
	s_waitcnt lgkmcnt(3)
	v_pk_fma_f16 v13, v39, v32, v13 op_sel_hi:[1,0,1]
	s_delay_alu instid0(VALU_DEP_1) | instskip(SKIP_4) | instid1(VALU_DEP_2)
	v_pk_fma_f16 v13, v40, v32, v13 op_sel:[0,1,0]
	ds_load_2addr_b32 v[31:32], v46 offset0:224 offset1:244
	s_waitcnt lgkmcnt(2)
	v_pk_fma_f16 v13, v43, v33, v13 op_sel_hi:[1,0,1]
	v_add_nc_u32_e32 v43, 0x800, v15
	v_pk_fma_f16 v13, v44, v33, v13 op_sel:[0,1,0]
	ds_load_2addr_b32 v[39:40], v43 offset0:8 offset1:28
	s_waitcnt lgkmcnt(2)
	v_pk_fma_f16 v13, v41, v34, v13 op_sel_hi:[1,0,1]
	s_delay_alu instid0(VALU_DEP_1) | instskip(SKIP_3) | instid1(VALU_DEP_1)
	v_pk_fma_f16 v13, v42, v34, v13 op_sel:[0,1,0]
	ds_load_2addr_b32 v[33:34], v43 offset0:48 offset1:68
	s_waitcnt lgkmcnt(2)
	v_pk_fma_f16 v13, v31, v35, v13 op_sel_hi:[1,0,1]
	v_pk_fma_f16 v13, v32, v35, v13 op_sel:[0,1,0]
	ds_load_2addr_b32 v[31:32], v43 offset0:88 offset1:108
	s_waitcnt lgkmcnt(0)
	s_barrier
	buffer_gl0_inv
	v_pk_fma_f16 v13, v39, v36, v13 op_sel_hi:[1,0,1]
	s_load_b32 s21, s[8:9], 0x4
	s_delay_alu instid0(VALU_DEP_1) | instskip(NEXT) | instid1(VALU_DEP_1)
	v_pk_fma_f16 v13, v40, v36, v13 op_sel:[0,1,0]
	v_pk_fma_f16 v13, v33, v37, v13 op_sel_hi:[1,0,1]
	s_delay_alu instid0(VALU_DEP_1) | instskip(NEXT) | instid1(VALU_DEP_1)
	v_pk_fma_f16 v13, v34, v37, v13 op_sel:[0,1,0]
	v_pk_fma_f16 v13, v31, v38, v13 op_sel_hi:[1,0,1]
	s_waitcnt lgkmcnt(0)
	s_lshl_b32 s21, s21, 5
	s_delay_alu instid0(SALU_CYCLE_1) | instskip(NEXT) | instid1(VALU_DEP_1)
	s_add_i32 s15, s21, s15
	v_pk_fma_f16 v13, v32, v38, v13 op_sel:[0,1,0]
	s_cmp_lt_i32 s15, s19
	s_cbranch_scc0 .LBB62_24
; %bb.22:                               ;   in Loop: Header=BB62_10 Depth=1
	v_dual_mov_b32 v31, v21 :: v_dual_mov_b32 v30, v18
	s_branch .LBB62_10
.LBB62_23:
	v_dual_mov_b32 v13, 0 :: v_dual_mov_b32 v18, 0
	v_mov_b32_e32 v21, 0xfeffffff
.LBB62_24:
	s_cmp_gt_i32 s42, s15
	s_cbranch_scc1 .LBB62_26
; %bb.25:
	v_mbcnt_lo_u32_b32 v6, -1, 0
	v_mov_b32_e32 v1, 32
	s_delay_alu instid0(VALU_DEP_2)
	v_xor_b32_e32 v7, 16, v6
	v_xor_b32_e32 v8, 8, v6
	;; [unrolled: 1-line block ×5, first 2 shown]
	v_mov_b32_e32 v2, v21
	s_cbranch_execz .LBB62_27
	s_branch .LBB62_41
.LBB62_26:
                                        ; implicit-def: $vgpr6
                                        ; implicit-def: $vgpr1
                                        ; implicit-def: $vgpr7
                                        ; implicit-def: $vgpr8
                                        ; implicit-def: $vgpr9
                                        ; implicit-def: $vgpr11
                                        ; implicit-def: $vgpr22
	s_delay_alu instid0(VALU_DEP_1)
	v_mov_b32_e32 v2, v21
.LBB62_27:
	v_lshlrev_b32_e32 v23, 5, v16
	s_mul_hi_i32 s21, s15, s17
	s_mul_i32 s20, s15, s17
	s_sub_i32 s9, s42, s15
	s_lshl_b64 s[20:21], s[20:21], 2
	v_add_nc_u32_e32 v6, v23, v4
	s_add_u32 s8, s7, s20
	s_addc_u32 s18, s18, s21
	s_delay_alu instid0(VALU_DEP_1) | instskip(SKIP_1) | instid1(VALU_DEP_2)
	v_cmp_gt_u32_e64 s6, 32, v6
	v_cmp_gt_i32_e32 vcc_lo, s9, v6
	s_and_saveexec_b32 s7, s6
	s_cbranch_execz .LBB62_29
; %bb.28:
	v_mul_lo_u32 v1, s17, v6
	s_mov_b64 s[20:21], src_private_base
	s_delay_alu instid0(VALU_DEP_1) | instskip(NEXT) | instid1(VALU_DEP_1)
	v_ashrrev_i32_e32 v2, 31, v1
	v_lshlrev_b64 v[1:2], 2, v[1:2]
	s_delay_alu instid0(VALU_DEP_1) | instskip(NEXT) | instid1(VALU_DEP_1)
	v_add_co_u32 v1, s5, s8, v1
	v_add_co_ci_u32_e64 v2, s5, s18, v2, s5
	s_delay_alu instid0(VALU_DEP_2) | instskip(NEXT) | instid1(VALU_DEP_1)
	v_add_co_u32 v1, s5, v1, 64
	v_add_co_ci_u32_e64 v2, s5, 0, v2, s5
	v_mov_b32_e32 v7, 0
	s_delay_alu instid0(VALU_DEP_3) | instskip(NEXT) | instid1(VALU_DEP_3)
	v_cndmask_b32_e32 v1, 0, v1, vcc_lo
	v_cndmask_b32_e32 v2, s21, v2, vcc_lo
	s_delay_alu instid0(VALU_DEP_3)
	v_mov_b32_e32 v8, v7
	v_mov_b32_e32 v9, v7
	s_clause 0x1
	scratch_store_b32 off, v7, off
	scratch_store_b96 off, v[7:9], off offset:4
	flat_load_b128 v[7:10], v[1:2]
	v_mul_u32_u24_e32 v1, 0x60, v6
	s_waitcnt vmcnt(0) lgkmcnt(0)
	ds_store_b128 v1, v[7:10] offset:64
.LBB62_29:
	s_or_b32 exec_lo, exec_lo, s7
	v_lshl_add_u32 v10, v16, 3, v3
	v_dual_mov_b32 v1, 0 :: v_dual_and_b32 v2, 12, v15
	s_delay_alu instid0(VALU_DEP_2) | instskip(SKIP_1) | instid1(VALU_DEP_3)
	v_cmp_gt_u32_e64 s7, 32, v10
	v_cmp_gt_i32_e64 s5, s9, v10
	v_lshlrev_b32_e32 v12, 2, v2
	s_delay_alu instid0(VALU_DEP_3)
	s_and_saveexec_b32 s19, s7
	s_cbranch_execz .LBB62_31
; %bb.30:
	v_mul_lo_u32 v2, s17, v10
	s_mov_b64 s[20:21], src_private_base
	s_delay_alu instid0(VALU_DEP_1) | instskip(NEXT) | instid1(VALU_DEP_1)
	v_ashrrev_i32_e32 v3, 31, v2
	v_lshlrev_b64 v[2:3], 2, v[2:3]
	s_delay_alu instid0(VALU_DEP_1) | instskip(NEXT) | instid1(VALU_DEP_1)
	v_add_co_u32 v2, s8, s8, v2
	v_add_co_ci_u32_e64 v3, s8, s18, v3, s8
	s_delay_alu instid0(VALU_DEP_2) | instskip(NEXT) | instid1(VALU_DEP_1)
	v_add_co_u32 v7, s8, v2, v12
	v_add_co_ci_u32_e64 v8, s8, 0, v3, s8
	v_mov_b32_e32 v2, v1
	v_mov_b32_e32 v3, v1
	s_delay_alu instid0(VALU_DEP_4) | instskip(NEXT) | instid1(VALU_DEP_4)
	v_cndmask_b32_e64 v7, 0, v7, s5
	v_cndmask_b32_e64 v8, s21, v8, s5
	s_clause 0x1
	scratch_store_b32 off, v1, off
	scratch_store_b96 off, v[1:3], off offset:4
	v_mad_u32_u24 v2, 0x60, v10, v12
	flat_load_b128 v[24:27], v[7:8]
	s_waitcnt vmcnt(0) lgkmcnt(0)
	ds_store_b128 v2, v[24:27]
.LBB62_31:
	s_or_b32 exec_lo, exec_lo, s19
	s_waitcnt lgkmcnt(0)
	s_waitcnt_vscnt null, 0x0
	s_barrier
	buffer_gl0_inv
	ds_load_b128 v[24:27], v19
	ds_load_b128 v[28:31], v20 offset:3168
	v_mov_b32_e32 v2, v21
	s_mov_b32 s17, exec_lo
	s_waitcnt lgkmcnt(0)
	;;#ASMSTART
	v_dot2_f32_f16 v1, v24, v28, v1
	;;#ASMEND
	;;#ASMSTART
	v_dot2_f32_f16 v1, v25, v29, v1
	;;#ASMEND
	;;#ASMSTART
	v_dot2_f32_f16 v1, v26, v30, v1
	;;#ASMEND
	;;#ASMSTART
	v_dot2_f32_f16 v1, v27, v31, v1
	;;#ASMEND
	ds_load_b128 v[24:27], v19 offset:16
	ds_load_b128 v[28:31], v20 offset:3184
	s_waitcnt lgkmcnt(0)
	;;#ASMSTART
	v_dot2_f32_f16 v1, v24, v28, v1
	;;#ASMEND
	;;#ASMSTART
	v_dot2_f32_f16 v1, v25, v29, v1
	;;#ASMEND
	;;#ASMSTART
	v_dot2_f32_f16 v1, v26, v30, v1
	;;#ASMEND
	;;#ASMSTART
	v_dot2_f32_f16 v1, v27, v31, v1
	;;#ASMEND
	ds_load_b128 v[24:27], v19 offset:32
	ds_load_b128 v[28:31], v20 offset:3200
	;; [unrolled: 15-line block ×4, first 2 shown]
	s_waitcnt lgkmcnt(0)
	;;#ASMSTART
	v_dot2_f32_f16 v1, v24, v28, v1
	;;#ASMEND
	;;#ASMSTART
	v_dot2_f32_f16 v1, v25, v29, v1
	;;#ASMEND
	;;#ASMSTART
	v_dot2_f32_f16 v1, v26, v30, v1
	;;#ASMEND
	;;#ASMSTART
	v_dot2_f32_f16 v1, v27, v31, v1
	;;#ASMEND
	v_cmpx_gt_i32_e64 s9, v4
	s_cbranch_execz .LBB62_36
; %bb.32:
	s_cmp_eq_u64 s[40:41], 0
	s_cbranch_scc1 .LBB62_34
; %bb.33:
	v_mul_hi_u32 v2, s36, v5
	s_delay_alu instid0(VALU_DEP_1) | instskip(NEXT) | instid1(VALU_DEP_1)
	v_add_nc_u32_e32 v2, v5, v2
	v_lshrrev_b32_e32 v2, s37, v2
	s_delay_alu instid0(VALU_DEP_1) | instskip(NEXT) | instid1(VALU_DEP_1)
	v_mul_lo_u32 v2, v2, s38
	v_sub_nc_u32_e32 v2, v5, v2
	s_delay_alu instid0(VALU_DEP_1) | instskip(NEXT) | instid1(VALU_DEP_1)
	v_mul_lo_u32 v2, v2, s16
	v_add3_u32 v2, v2, v4, s15
	s_delay_alu instid0(VALU_DEP_1) | instskip(NEXT) | instid1(VALU_DEP_1)
	v_ashrrev_i32_e32 v3, 31, v2
	v_lshlrev_b64 v[2:3], 1, v[2:3]
	s_delay_alu instid0(VALU_DEP_1) | instskip(NEXT) | instid1(VALU_DEP_1)
	v_add_co_u32 v2, s8, s40, v2
	v_add_co_ci_u32_e64 v3, s8, s41, v3, s8
	flat_load_u16 v2, v[2:3]
	s_waitcnt vmcnt(0) lgkmcnt(0)
	v_cvt_f32_f16_e32 v2, v2
	s_delay_alu instid0(VALU_DEP_1)
	v_mul_f32_e32 v2, v17, v2
	s_branch .LBB62_35
.LBB62_34:
	v_mov_b32_e32 v2, 0
.LBB62_35:
	s_delay_alu instid0(VALU_DEP_1) | instskip(SKIP_1) | instid1(VALU_DEP_2)
	v_add_f32_e32 v1, v1, v2
	v_max_f32_e32 v3, v21, v21
	v_add_f32_e32 v2, 0x40051340, v1
	s_delay_alu instid0(VALU_DEP_1)
	v_max_f32_e32 v2, v3, v2
.LBB62_36:
	s_or_b32 exec_lo, exec_lo, s17
	v_xor_b32_e32 v7, 16, v14
	v_xor_b32_e32 v8, 8, v14
	;; [unrolled: 1-line block ×3, first 2 shown]
	s_load_b64 s[0:1], s[0:1], 0x4
	s_waitcnt lgkmcnt(0)
	v_cmp_gt_i32_e64 s8, 32, v7
	s_barrier
	buffer_gl0_inv
	v_cndmask_b32_e64 v3, v14, v7, s8
	v_cmp_gt_i32_e64 s8, 32, v8
	s_delay_alu instid0(VALU_DEP_2) | instskip(NEXT) | instid1(VALU_DEP_2)
	v_lshlrev_b32_e32 v3, 2, v3
	v_cndmask_b32_e64 v9, v14, v8, s8
	ds_bpermute_b32 v3, v3, v2
	v_max_f32_e32 v2, v2, v2
	v_mul_u32_u24_e32 v16, s1, v16
	s_waitcnt lgkmcnt(0)
	v_max_f32_e32 v3, v3, v3
	s_delay_alu instid0(VALU_DEP_1) | instskip(SKIP_2) | instid1(VALU_DEP_1)
	v_dual_max_f32 v2, v2, v3 :: v_dual_lshlrev_b32 v9, 2, v9
	ds_bpermute_b32 v3, v9, v2
	v_xor_b32_e32 v9, 4, v14
	v_cmp_gt_i32_e64 s8, 32, v9
	s_delay_alu instid0(VALU_DEP_1) | instskip(NEXT) | instid1(VALU_DEP_1)
	v_cndmask_b32_e64 v11, v14, v9, s8
	v_lshlrev_b32_e32 v11, 2, v11
	s_waitcnt lgkmcnt(0)
	v_max_f32_e32 v3, v3, v3
	s_delay_alu instid0(VALU_DEP_1) | instskip(SKIP_2) | instid1(VALU_DEP_1)
	v_max_f32_e32 v2, v2, v3
	ds_bpermute_b32 v3, v11, v2
	v_xor_b32_e32 v11, 2, v14
	v_cmp_gt_i32_e64 s8, 32, v11
	s_delay_alu instid0(VALU_DEP_1) | instskip(SKIP_1) | instid1(VALU_DEP_2)
	v_cndmask_b32_e64 v17, v14, v11, s8
	v_cmp_gt_i32_e64 s8, 32, v22
	v_lshlrev_b32_e32 v17, 2, v17
	s_waitcnt lgkmcnt(0)
	v_max_f32_e32 v3, v3, v3
	s_delay_alu instid0(VALU_DEP_1) | instskip(SKIP_3) | instid1(SALU_CYCLE_1)
	v_max_f32_e32 v2, v2, v3
	ds_bpermute_b32 v3, v17, v2
	v_cndmask_b32_e64 v17, v14, v22, s8
	s_lshr_b32 s8, s0, 16
	s_mul_i32 s8, s8, s1
	s_mul_hi_i32 s1, s15, s10
	s_delay_alu instid0(VALU_DEP_1) | instskip(SKIP_2) | instid1(VALU_DEP_1)
	v_lshlrev_b32_e32 v17, 2, v17
	s_waitcnt lgkmcnt(0)
	v_max_f32_e32 v3, v3, v3
	v_max_f32_e32 v2, v2, v3
	ds_bpermute_b32 v3, v17, v2
	s_waitcnt lgkmcnt(0)
	v_max_f32_e32 v3, v3, v3
	s_delay_alu instid0(VALU_DEP_1) | instskip(NEXT) | instid1(VALU_DEP_1)
	v_max_f32_e32 v2, v2, v3
	v_sub_f32_e32 v3, v1, v2
	s_delay_alu instid0(VALU_DEP_1) | instskip(SKIP_1) | instid1(VALU_DEP_2)
	v_mul_f32_e32 v1, 0x3fb8aa3b, v3
	v_cmp_ngt_f32_e64 s0, 0xc2ce8ed0, v3
	v_fma_f32 v17, 0x3fb8aa3b, v3, -v1
	v_rndne_f32_e32 v19, v1
	s_delay_alu instid0(VALU_DEP_2) | instskip(NEXT) | instid1(VALU_DEP_2)
	v_fmamk_f32 v17, v3, 0x32a5705f, v17
	v_sub_f32_e32 v1, v1, v19
	s_delay_alu instid0(VALU_DEP_1) | instskip(SKIP_2) | instid1(VALU_DEP_3)
	v_add_f32_e32 v1, v1, v17
	v_cvt_i32_f32_e32 v17, v19
	v_bfe_u32 v19, v0, 20, 10
	v_exp_f32_e32 v1, v1
	s_waitcnt_depctr 0xfff
	v_ldexp_f32 v17, v1, v17
	v_mov_b32_e32 v1, 32
	s_delay_alu instid0(VALU_DEP_2) | instskip(SKIP_3) | instid1(VALU_DEP_3)
	v_cndmask_b32_e64 v0, 0, v17, s0
	v_cmp_nlt_f32_e64 s0, 0x42b17218, v3
	v_mul_lo_u32 v17, s8, v4
	v_lshl_add_u32 v3, v23, 1, 0xee0
	v_cndmask_b32_e64 v0, 0x7f800000, v0, s0
	v_cmp_gt_u32_e64 s0, s9, v4
	s_delay_alu instid0(VALU_DEP_4) | instskip(NEXT) | instid1(VALU_DEP_4)
	v_add3_u32 v16, v17, v16, v19
	v_lshl_add_u32 v17, v4, 1, v3
	s_delay_alu instid0(VALU_DEP_3) | instskip(SKIP_1) | instid1(SALU_CYCLE_1)
	v_cndmask_b32_e64 v0, 0, v0, s0
	s_mul_i32 s0, s15, s10
	s_lshl_b64 s[8:9], s[0:1], 2
	v_lshlrev_b32_e32 v16, 4, v16
	s_delay_alu instid0(VALU_DEP_2)
	v_cvt_f16_f32_e32 v19, v0
	s_add_u32 s1, s11, s8
	s_addc_u32 s8, s13, s9
	ds_store_b16 v17, v19
	s_and_saveexec_b32 s9, s6
	s_cbranch_execz .LBB62_38
; %bb.37:
	v_mul_lo_u32 v19, s10, v6
	v_add_nc_u32_e32 v23, 0x10e0, v16
	s_mov_b64 s[16:17], src_shared_base
	v_dual_mov_b32 v25, 0 :: v_dual_add_nc_u32 v24, 0x10e4, v16
	v_mul_u32_u24_e32 v6, 0x50, v6
	s_delay_alu instid0(VALU_DEP_4) | instskip(NEXT) | instid1(VALU_DEP_1)
	v_ashrrev_i32_e32 v20, 31, v19
	v_lshlrev_b64 v[19:20], 2, v[19:20]
	s_delay_alu instid0(VALU_DEP_1) | instskip(NEXT) | instid1(VALU_DEP_1)
	v_add_co_u32 v17, s0, s1, v19
	v_add_co_ci_u32_e64 v19, s0, s8, v20, s0
	s_delay_alu instid0(VALU_DEP_2) | instskip(NEXT) | instid1(VALU_DEP_1)
	v_add_co_u32 v17, s0, v17, 64
	v_add_co_ci_u32_e64 v19, s0, 0, v19, s0
	v_add_nc_u32_e32 v26, 0x1000, v16
	s_delay_alu instid0(VALU_DEP_2) | instskip(NEXT) | instid1(VALU_DEP_4)
	v_cndmask_b32_e32 v20, s17, v19, vcc_lo
	v_cndmask_b32_e32 v19, v23, v17, vcc_lo
	ds_store_2addr_b32 v24, v25, v25 offset1:1
	ds_store_2addr_b32 v26, v25, v25 offset0:56 offset1:59
	flat_load_b128 v[23:26], v[19:20]
	s_waitcnt vmcnt(0) lgkmcnt(0)
	ds_store_b128 v6, v[23:26] offset:64
.LBB62_38:
	s_or_b32 exec_lo, exec_lo, s9
	s_and_saveexec_b32 s0, s7
	s_cbranch_execz .LBB62_40
; %bb.39:
	v_mul_lo_u32 v19, s10, v10
	s_mov_b64 s[6:7], src_shared_base
	v_add_nc_u32_e32 v23, 0x20e4, v16
	v_add_nc_u32_e32 v24, 0x2000, v16
	s_delay_alu instid0(VALU_DEP_3) | instskip(NEXT) | instid1(VALU_DEP_1)
	v_ashrrev_i32_e32 v20, 31, v19
	v_lshlrev_b64 v[19:20], 2, v[19:20]
	s_delay_alu instid0(VALU_DEP_1) | instskip(NEXT) | instid1(VALU_DEP_2)
	v_add_co_u32 v6, vcc_lo, s1, v19
	v_add_co_ci_u32_e32 v17, vcc_lo, s8, v20, vcc_lo
	v_dual_mov_b32 v20, 0 :: v_dual_add_nc_u32 v19, 0x20e0, v16
	s_delay_alu instid0(VALU_DEP_3) | instskip(NEXT) | instid1(VALU_DEP_3)
	v_add_co_u32 v6, vcc_lo, v6, v12
	v_add_co_ci_u32_e32 v17, vcc_lo, 0, v17, vcc_lo
	ds_store_2addr_b32 v23, v20, v20 offset1:1
	ds_store_2addr_b32 v24, v20, v20 offset0:56 offset1:59
	v_cndmask_b32_e64 v16, v19, v6, s5
	v_mad_u32_u24 v6, 0x50, v10, v12
	v_cndmask_b32_e64 v17, s7, v17, s5
	flat_load_b128 v[23:26], v[16:17]
	s_waitcnt vmcnt(0) lgkmcnt(0)
	ds_store_b128 v6, v[23:26]
.LBB62_40:
	s_or_b32 exec_lo, exec_lo, s0
	v_dual_sub_f32 v6, v21, v2 :: v_dual_add_nc_u32 v21, 0x400, v15
	s_waitcnt lgkmcnt(0)
	s_barrier
	buffer_gl0_inv
	v_mul_f32_e32 v10, 0x3fb8aa3b, v6
	ds_load_2addr_b32 v[16:17], v15 offset1:20
	ds_load_b128 v[23:26], v3
	v_cmp_ngt_f32_e32 vcc_lo, 0xc2ce8ed0, v6
	ds_load_2addr_b32 v[31:32], v15 offset0:80 offset1:100
	ds_load_b128 v[27:30], v3 offset:16
	v_fma_f32 v12, 0x3fb8aa3b, v6, -v10
	v_rndne_f32_e32 v19, v10
	s_delay_alu instid0(VALU_DEP_2) | instskip(NEXT) | instid1(VALU_DEP_2)
	v_fmamk_f32 v12, v6, 0x32a5705f, v12
	v_sub_f32_e32 v10, v10, v19
	s_delay_alu instid0(VALU_DEP_1)
	v_add_f32_e32 v10, v10, v12
	v_cvt_i32_f32_e32 v12, v19
	ds_load_2addr_b32 v[19:20], v15 offset0:40 offset1:60
	v_exp_f32_e32 v10, v10
	s_waitcnt_depctr 0xfff
	v_ldexp_f32 v10, v10, v12
	s_delay_alu instid0(VALU_DEP_1) | instskip(SKIP_1) | instid1(VALU_DEP_2)
	v_cndmask_b32_e32 v10, 0, v10, vcc_lo
	v_cmp_nlt_f32_e32 vcc_lo, 0x42b17218, v6
	v_cndmask_b32_e32 v6, 0x7f800000, v10, vcc_lo
	s_waitcnt lgkmcnt(3)
	v_pk_mul_f16 v10, v16, v23 op_sel_hi:[1,0]
	s_delay_alu instid0(VALU_DEP_2) | instskip(SKIP_2) | instid1(VALU_DEP_3)
	v_cvt_f16_f32_e32 v12, v6
	v_fmac_f32_e32 v0, v18, v6
	v_mov_b32_e32 v6, v14
	v_pk_fma_f16 v10, v13, v12, v10 op_sel_hi:[1,0,1]
	ds_load_2addr_b32 v[12:13], v15 offset0:120 offset1:140
	v_mov_b32_e32 v18, v0
	v_pk_fma_f16 v10, v17, v23, v10 op_sel:[0,1,0]
	ds_load_2addr_b32 v[16:17], v15 offset0:160 offset1:180
	s_waitcnt lgkmcnt(2)
	v_pk_fma_f16 v10, v19, v24, v10 op_sel_hi:[1,0,1]
	s_delay_alu instid0(VALU_DEP_1) | instskip(SKIP_2) | instid1(VALU_DEP_1)
	v_pk_fma_f16 v10, v20, v24, v10 op_sel:[0,1,0]
	ds_load_2addr_b32 v[19:20], v15 offset0:200 offset1:220
	v_pk_fma_f16 v10, v31, v25, v10 op_sel_hi:[1,0,1]
	v_pk_fma_f16 v10, v32, v25, v10 op_sel:[0,1,0]
	s_waitcnt lgkmcnt(2)
	s_delay_alu instid0(VALU_DEP_1) | instskip(SKIP_1) | instid1(VALU_DEP_2)
	v_pk_fma_f16 v10, v12, v26, v10 op_sel_hi:[1,0,1]
	v_add_nc_u32_e32 v12, 0x200, v15
	v_pk_fma_f16 v10, v13, v26, v10 op_sel:[0,1,0]
	ds_load_b128 v[23:26], v3 offset:32
	ds_load_2addr_b32 v[12:13], v12 offset0:112 offset1:132
	s_waitcnt lgkmcnt(3)
	v_pk_fma_f16 v10, v16, v27, v10 op_sel_hi:[1,0,1]
	s_delay_alu instid0(VALU_DEP_1) | instskip(SKIP_3) | instid1(VALU_DEP_1)
	v_pk_fma_f16 v10, v17, v27, v10 op_sel:[0,1,0]
	ds_load_2addr_b32 v[16:17], v21 offset0:24 offset1:44
	s_waitcnt lgkmcnt(3)
	v_pk_fma_f16 v10, v19, v28, v10 op_sel_hi:[1,0,1]
	v_pk_fma_f16 v10, v20, v28, v10 op_sel:[0,1,0]
	ds_load_2addr_b32 v[19:20], v21 offset0:64 offset1:84
	s_waitcnt lgkmcnt(2)
	v_pk_fma_f16 v10, v12, v29, v10 op_sel_hi:[1,0,1]
	s_delay_alu instid0(VALU_DEP_1) | instskip(SKIP_3) | instid1(VALU_DEP_1)
	v_pk_fma_f16 v10, v13, v29, v10 op_sel:[0,1,0]
	ds_load_2addr_b32 v[12:13], v21 offset0:104 offset1:124
	s_waitcnt lgkmcnt(2)
	v_pk_fma_f16 v10, v16, v30, v10 op_sel_hi:[1,0,1]
	v_pk_fma_f16 v10, v17, v30, v10 op_sel:[0,1,0]
	ds_load_b128 v[27:30], v3 offset:48
	ds_load_2addr_b32 v[16:17], v21 offset0:144 offset1:164
	s_waitcnt lgkmcnt(3)
	v_pk_fma_f16 v3, v19, v23, v10 op_sel_hi:[1,0,1]
	v_add_nc_u32_e32 v10, 0x800, v15
	s_delay_alu instid0(VALU_DEP_2) | instskip(SKIP_3) | instid1(VALU_DEP_1)
	v_pk_fma_f16 v3, v20, v23, v3 op_sel:[0,1,0]
	ds_load_2addr_b32 v[19:20], v21 offset0:184 offset1:204
	s_waitcnt lgkmcnt(3)
	v_pk_fma_f16 v3, v12, v24, v3 op_sel_hi:[1,0,1]
	v_pk_fma_f16 v3, v13, v24, v3 op_sel:[0,1,0]
	ds_load_2addr_b32 v[12:13], v21 offset0:224 offset1:244
	s_waitcnt lgkmcnt(2)
	v_pk_fma_f16 v3, v16, v25, v3 op_sel_hi:[1,0,1]
	ds_load_2addr_b32 v[15:16], v10 offset0:8 offset1:28
	v_pk_fma_f16 v3, v17, v25, v3 op_sel:[0,1,0]
	s_waitcnt lgkmcnt(2)
	s_delay_alu instid0(VALU_DEP_1) | instskip(NEXT) | instid1(VALU_DEP_1)
	v_pk_fma_f16 v3, v19, v26, v3 op_sel_hi:[1,0,1]
	v_pk_fma_f16 v3, v20, v26, v3 op_sel:[0,1,0]
	ds_load_2addr_b32 v[19:20], v10 offset0:48 offset1:68
	s_waitcnt lgkmcnt(2)
	v_pk_fma_f16 v3, v12, v27, v3 op_sel_hi:[1,0,1]
	s_delay_alu instid0(VALU_DEP_1)
	v_pk_fma_f16 v3, v13, v27, v3 op_sel:[0,1,0]
	ds_load_2addr_b32 v[12:13], v10 offset0:88 offset1:108
	s_waitcnt lgkmcnt(0)
	s_barrier
	buffer_gl0_inv
	v_pk_fma_f16 v3, v15, v28, v3 op_sel_hi:[1,0,1]
	s_delay_alu instid0(VALU_DEP_1) | instskip(NEXT) | instid1(VALU_DEP_1)
	v_pk_fma_f16 v3, v16, v28, v3 op_sel:[0,1,0]
	v_pk_fma_f16 v3, v19, v29, v3 op_sel_hi:[1,0,1]
	s_delay_alu instid0(VALU_DEP_1) | instskip(NEXT) | instid1(VALU_DEP_1)
	v_pk_fma_f16 v3, v20, v29, v3 op_sel:[0,1,0]
	v_pk_fma_f16 v3, v12, v30, v3 op_sel_hi:[1,0,1]
	s_delay_alu instid0(VALU_DEP_1)
	v_pk_fma_f16 v13, v13, v30, v3 op_sel:[0,1,0]
.LBB62_41:
	v_cmp_lt_i32_e32 vcc_lo, v7, v1
	s_cmp_eq_u64 s[24:25], 0
	s_cselect_b32 s0, -1, 0
	s_cmp_lg_u32 s14, 0
	v_cndmask_b32_e32 v0, v6, v7, vcc_lo
	v_cmp_lt_i32_e32 vcc_lo, v8, v1
	s_cselect_b32 s1, -1, 0
	s_delay_alu instid0(SALU_CYCLE_1)
	s_or_b32 s0, s1, s0
	v_cndmask_b32_e32 v3, v6, v8, vcc_lo
	v_cmp_lt_i32_e32 vcc_lo, v9, v1
	v_dual_cndmask_b32 v7, v6, v9 :: v_dual_lshlrev_b32 v0, 2, v0
	ds_bpermute_b32 v0, v0, v18
	v_lshlrev_b32_e32 v3, 2, v3
	v_cmp_lt_i32_e32 vcc_lo, v11, v1
	s_waitcnt lgkmcnt(0)
	v_dual_add_f32 v0, v18, v0 :: v_dual_lshlrev_b32 v7, 2, v7
	ds_bpermute_b32 v3, v3, v0
	s_waitcnt lgkmcnt(0)
	v_add_f32_e32 v0, v0, v3
	ds_bpermute_b32 v3, v7, v0
	v_cndmask_b32_e32 v7, v6, v11, vcc_lo
	v_cmp_lt_i32_e32 vcc_lo, v22, v1
	s_delay_alu instid0(VALU_DEP_2) | instskip(SKIP_3) | instid1(VALU_DEP_1)
	v_lshlrev_b32_e32 v7, 2, v7
	v_cndmask_b32_e32 v1, v6, v22, vcc_lo
	s_and_b32 vcc_lo, exec_lo, s0
	s_waitcnt lgkmcnt(0)
	v_dual_add_f32 v0, v0, v3 :: v_dual_lshlrev_b32 v1, 2, v1
	ds_bpermute_b32 v3, v7, v0
	s_waitcnt lgkmcnt(0)
	v_add_f32_e32 v0, v0, v3
	ds_bpermute_b32 v1, v1, v0
	s_waitcnt lgkmcnt(0)
	v_add_f32_e32 v3, v0, v1
	s_cbranch_vccnz .LBB62_43
; %bb.42:
	s_lshl_b64 s[0:1], s[34:35], 2
	v_dual_mov_b32 v0, 0 :: v_dual_max_f32 v1, v2, v2
	s_add_u32 s0, s24, s0
	s_addc_u32 s1, s25, s1
	global_load_b32 v0, v0, s[0:1]
	s_waitcnt vmcnt(0)
	v_max_f32_e32 v6, v0, v0
	s_delay_alu instid0(VALU_DEP_1) | instskip(NEXT) | instid1(VALU_DEP_1)
	v_max_f32_e32 v1, v1, v6
	v_sub_f32_e32 v2, v2, v1
	s_delay_alu instid0(VALU_DEP_1) | instskip(NEXT) | instid1(VALU_DEP_1)
	v_mul_f32_e32 v6, 0x3fb8aa3b, v2
	v_rndne_f32_e32 v9, v6
	v_fma_f32 v8, 0x3fb8aa3b, v2, -v6
	s_delay_alu instid0(VALU_DEP_2) | instskip(SKIP_1) | instid1(VALU_DEP_1)
	v_sub_f32_e32 v6, v6, v9
	v_sub_f32_e32 v0, v0, v1
	v_mul_f32_e32 v7, 0x3fb8aa3b, v0
	s_delay_alu instid0(VALU_DEP_4) | instskip(SKIP_1) | instid1(VALU_DEP_3)
	v_fmac_f32_e32 v8, 0x32a5705f, v2
	v_cmp_ngt_f32_e32 vcc_lo, 0xc2ce8ed0, v2
	v_fma_f32 v10, 0x3fb8aa3b, v0, -v7
	v_rndne_f32_e32 v11, v7
	s_delay_alu instid0(VALU_DEP_4) | instskip(SKIP_1) | instid1(VALU_DEP_3)
	v_add_f32_e32 v6, v6, v8
	v_cvt_i32_f32_e32 v8, v9
	v_dual_fmac_f32 v10, 0x32a5705f, v0 :: v_dual_sub_f32 v7, v7, v11
	s_delay_alu instid0(VALU_DEP_3) | instskip(SKIP_1) | instid1(VALU_DEP_2)
	v_exp_f32_e32 v6, v6
	v_cvt_i32_f32_e32 v9, v11
	v_add_f32_e32 v7, v7, v10
	s_delay_alu instid0(VALU_DEP_1) | instskip(SKIP_2) | instid1(VALU_DEP_1)
	v_exp_f32_e32 v7, v7
	s_waitcnt_depctr 0xfff
	v_ldexp_f32 v6, v6, v8
	v_cndmask_b32_e32 v6, 0, v6, vcc_lo
	v_cmp_ngt_f32_e32 vcc_lo, 0xc2ce8ed0, v0
	v_ldexp_f32 v7, v7, v9
	s_delay_alu instid0(VALU_DEP_1) | instskip(SKIP_3) | instid1(VALU_DEP_2)
	v_cndmask_b32_e32 v7, 0, v7, vcc_lo
	v_cmp_nlt_f32_e32 vcc_lo, 0x42b17218, v2
	v_cndmask_b32_e32 v2, 0x7f800000, v6, vcc_lo
	v_cmp_nlt_f32_e32 vcc_lo, 0x42b17218, v0
	v_cvt_f16_f32_e32 v6, v2
	v_cndmask_b32_e32 v0, 0x7f800000, v7, vcc_lo
	s_delay_alu instid0(VALU_DEP_2) | instskip(NEXT) | instid1(VALU_DEP_2)
	v_pk_mul_f16 v13, v13, v6 op_sel_hi:[1,0]
	v_fmac_f32_e32 v0, v3, v2
	s_delay_alu instid0(VALU_DEP_1)
	v_dual_mov_b32 v2, v1 :: v_dual_mov_b32 v3, v0
.LBB62_43:
	s_mov_b32 s0, exec_lo
	v_cmpx_gt_i32_e64 s38, v5
	s_cbranch_execz .LBB62_48
; %bb.44:
	s_load_b32 s0, s[2:3], 0xd4
	v_mad_u64_u32 v[0:1], null, s12, s38, v[5:6]
	s_delay_alu instid0(VALU_DEP_1) | instskip(SKIP_1) | instid1(VALU_DEP_1)
	v_mad_u64_u32 v[5:6], null, v0, s39, s[34:35]
	s_waitcnt lgkmcnt(0)
	v_mad_u64_u32 v[0:1], null, s0, v5, s[14:15]
	s_cmp_lg_u32 s0, 1
	s_cselect_b32 s0, -1, 0
	s_and_saveexec_b32 s1, s4
	s_cbranch_execz .LBB62_46
; %bb.45:
	v_div_scale_f32 v1, null, v3, v3, 1.0
	v_div_scale_f32 v7, vcc_lo, 1.0, v3, 1.0
	v_cvt_f32_f16_e32 v9, v13
	s_delay_alu instid0(VALU_DEP_3) | instskip(SKIP_2) | instid1(VALU_DEP_1)
	v_rcp_f32_e32 v5, v1
	s_waitcnt_depctr 0xfff
	v_fma_f32 v6, -v1, v5, 1.0
	v_fmac_f32_e32 v5, v6, v5
	s_delay_alu instid0(VALU_DEP_1) | instskip(NEXT) | instid1(VALU_DEP_1)
	v_mul_f32_e32 v6, v7, v5
	v_fma_f32 v8, -v1, v6, v7
	s_delay_alu instid0(VALU_DEP_1) | instskip(SKIP_1) | instid1(VALU_DEP_2)
	v_fmac_f32_e32 v6, v8, v5
	v_lshrrev_b32_e32 v8, 16, v13
	v_fma_f32 v1, -v1, v6, v7
	v_mul_lo_u32 v7, v0, 40
	s_delay_alu instid0(VALU_DEP_2) | instskip(SKIP_1) | instid1(VALU_DEP_3)
	v_div_fmas_f32 v1, v1, v5, v6
	v_mov_b32_e32 v6, 0
	v_lshl_add_u32 v5, v4, 1, v7
	s_delay_alu instid0(VALU_DEP_3) | instskip(SKIP_1) | instid1(VALU_DEP_3)
	v_div_fixup_f32 v1, v1, v3, 1.0
	v_cvt_f32_f16_e32 v7, v8
	v_lshlrev_b64 v[5:6], 2, v[5:6]
	s_delay_alu instid0(VALU_DEP_3) | instskip(NEXT) | instid1(VALU_DEP_2)
	v_cndmask_b32_e64 v1, v1, 1.0, s0
	v_add_co_u32 v5, vcc_lo, s28, v5
	s_delay_alu instid0(VALU_DEP_2)
	v_mul_f32_e32 v8, v1, v7
	v_mul_f32_e32 v7, v1, v9
	v_add_co_ci_u32_e32 v6, vcc_lo, s29, v6, vcc_lo
	global_store_b64 v[5:6], v[7:8], off
.LBB62_46:
	s_or_b32 exec_lo, exec_lo, s1
	v_cmp_eq_u32_e32 vcc_lo, 0, v4
	s_and_b32 s0, vcc_lo, s0
	s_delay_alu instid0(SALU_CYCLE_1)
	s_and_b32 exec_lo, exec_lo, s0
	s_cbranch_execz .LBB62_48
; %bb.47:
	v_ashrrev_i32_e32 v1, 31, v0
	s_delay_alu instid0(VALU_DEP_1) | instskip(NEXT) | instid1(VALU_DEP_1)
	v_lshlrev_b64 v[0:1], 3, v[0:1]
	v_add_co_u32 v0, vcc_lo, s30, v0
	s_delay_alu instid0(VALU_DEP_2)
	v_add_co_ci_u32_e32 v1, vcc_lo, s31, v1, vcc_lo
	global_store_b64 v[0:1], v[2:3], off
.LBB62_48:
	s_nop 0
	s_sendmsg sendmsg(MSG_DEALLOC_VGPRS)
	s_endpgm
	.section	.rodata,"a",@progbits
	.p2align	6, 0x0
	.amdhsa_kernel _ZL15flash_attn_tileILi40ELi40ELi8ELi1ELb0EEvPKcS1_S1_S1_S1_PKiPfP15HIP_vector_typeIfLj2EEffffjfiS5_IjLj3EEiiiiiiiiiiiliiliiiiil
		.amdhsa_group_segment_fixed_size 12512
		.amdhsa_private_segment_fixed_size 32
		.amdhsa_kernarg_size 464
		.amdhsa_user_sgpr_count 13
		.amdhsa_user_sgpr_dispatch_ptr 1
		.amdhsa_user_sgpr_queue_ptr 0
		.amdhsa_user_sgpr_kernarg_segment_ptr 1
		.amdhsa_user_sgpr_dispatch_id 0
		.amdhsa_user_sgpr_private_segment_size 0
		.amdhsa_wavefront_size32 1
		.amdhsa_uses_dynamic_stack 0
		.amdhsa_enable_private_segment 1
		.amdhsa_system_sgpr_workgroup_id_x 1
		.amdhsa_system_sgpr_workgroup_id_y 1
		.amdhsa_system_sgpr_workgroup_id_z 1
		.amdhsa_system_sgpr_workgroup_info 0
		.amdhsa_system_vgpr_workitem_id 2
		.amdhsa_next_free_vgpr 47
		.amdhsa_next_free_sgpr 48
		.amdhsa_reserve_vcc 1
		.amdhsa_float_round_mode_32 0
		.amdhsa_float_round_mode_16_64 0
		.amdhsa_float_denorm_mode_32 3
		.amdhsa_float_denorm_mode_16_64 3
		.amdhsa_dx10_clamp 1
		.amdhsa_ieee_mode 1
		.amdhsa_fp16_overflow 0
		.amdhsa_workgroup_processor_mode 1
		.amdhsa_memory_ordered 1
		.amdhsa_forward_progress 0
		.amdhsa_shared_vgpr_count 0
		.amdhsa_exception_fp_ieee_invalid_op 0
		.amdhsa_exception_fp_denorm_src 0
		.amdhsa_exception_fp_ieee_div_zero 0
		.amdhsa_exception_fp_ieee_overflow 0
		.amdhsa_exception_fp_ieee_underflow 0
		.amdhsa_exception_fp_ieee_inexact 0
		.amdhsa_exception_int_div_zero 0
	.end_amdhsa_kernel
	.section	.text._ZL15flash_attn_tileILi40ELi40ELi8ELi1ELb0EEvPKcS1_S1_S1_S1_PKiPfP15HIP_vector_typeIfLj2EEffffjfiS5_IjLj3EEiiiiiiiiiiiliiliiiiil,"axG",@progbits,_ZL15flash_attn_tileILi40ELi40ELi8ELi1ELb0EEvPKcS1_S1_S1_S1_PKiPfP15HIP_vector_typeIfLj2EEffffjfiS5_IjLj3EEiiiiiiiiiiiliiliiiiil,comdat
.Lfunc_end62:
	.size	_ZL15flash_attn_tileILi40ELi40ELi8ELi1ELb0EEvPKcS1_S1_S1_S1_PKiPfP15HIP_vector_typeIfLj2EEffffjfiS5_IjLj3EEiiiiiiiiiiiliiliiiiil, .Lfunc_end62-_ZL15flash_attn_tileILi40ELi40ELi8ELi1ELb0EEvPKcS1_S1_S1_S1_PKiPfP15HIP_vector_typeIfLj2EEffffjfiS5_IjLj3EEiiiiiiiiiiiliiliiiiil
                                        ; -- End function
	.section	.AMDGPU.csdata,"",@progbits
; Kernel info:
; codeLenInByte = 8120
; NumSgprs: 50
; NumVgprs: 47
; ScratchSize: 32
; MemoryBound: 0
; FloatMode: 240
; IeeeMode: 1
; LDSByteSize: 12512 bytes/workgroup (compile time only)
; SGPRBlocks: 6
; VGPRBlocks: 5
; NumSGPRsForWavesPerEU: 50
; NumVGPRsForWavesPerEU: 47
; Occupancy: 16
; WaveLimiterHint : 1
; COMPUTE_PGM_RSRC2:SCRATCH_EN: 1
; COMPUTE_PGM_RSRC2:USER_SGPR: 13
; COMPUTE_PGM_RSRC2:TRAP_HANDLER: 0
; COMPUTE_PGM_RSRC2:TGID_X_EN: 1
; COMPUTE_PGM_RSRC2:TGID_Y_EN: 1
; COMPUTE_PGM_RSRC2:TGID_Z_EN: 1
; COMPUTE_PGM_RSRC2:TIDIG_COMP_CNT: 2
	.section	.text._ZL33flash_attn_stream_k_fixup_uniformILi40ELi8ELi1EEvPfPK15HIP_vector_typeIfLj2EEiiiiiiS1_IjLj3EES5_S5_,"axG",@progbits,_ZL33flash_attn_stream_k_fixup_uniformILi40ELi8ELi1EEvPfPK15HIP_vector_typeIfLj2EEiiiiiiS1_IjLj3EES5_S5_,comdat
	.globl	_ZL33flash_attn_stream_k_fixup_uniformILi40ELi8ELi1EEvPfPK15HIP_vector_typeIfLj2EEiiiiiiS1_IjLj3EES5_S5_ ; -- Begin function _ZL33flash_attn_stream_k_fixup_uniformILi40ELi8ELi1EEvPfPK15HIP_vector_typeIfLj2EEiiiiiiS1_IjLj3EES5_S5_
	.p2align	8
	.type	_ZL33flash_attn_stream_k_fixup_uniformILi40ELi8ELi1EEvPfPK15HIP_vector_typeIfLj2EEiiiiiiS1_IjLj3EES5_S5_,@function
_ZL33flash_attn_stream_k_fixup_uniformILi40ELi8ELi1EEvPfPK15HIP_vector_typeIfLj2EEiiiiiiS1_IjLj3EES5_S5_: ; @_ZL33flash_attn_stream_k_fixup_uniformILi40ELi8ELi1EEvPfPK15HIP_vector_typeIfLj2EEiiiiiiS1_IjLj3EES5_S5_
; %bb.0:
	s_clause 0x1
	s_load_b256 s[4:11], s[0:1], 0x1c
	s_load_b128 s[16:19], s[0:1], 0x3c
	s_waitcnt lgkmcnt(0)
	s_mul_hi_u32 s2, s7, s13
	s_delay_alu instid0(SALU_CYCLE_1) | instskip(NEXT) | instid1(SALU_CYCLE_1)
	s_add_i32 s2, s13, s2
	s_lshr_b32 s2, s2, s8
	s_delay_alu instid0(SALU_CYCLE_1) | instskip(SKIP_2) | instid1(SALU_CYCLE_1)
	s_mul_i32 s3, s2, s9
	s_load_b64 s[8:9], s[0:1], 0x10
	s_sub_i32 s3, s13, s3
	s_mul_hi_u32 s7, s3, s10
	s_delay_alu instid0(SALU_CYCLE_1) | instskip(NEXT) | instid1(SALU_CYCLE_1)
	s_add_i32 s7, s3, s7
	s_lshr_b32 s7, s7, s11
	s_delay_alu instid0(SALU_CYCLE_1) | instskip(NEXT) | instid1(SALU_CYCLE_1)
	s_mul_i32 s10, s7, s16
	s_sub_i32 s3, s3, s10
	s_delay_alu instid0(SALU_CYCLE_1) | instskip(NEXT) | instid1(SALU_CYCLE_1)
	s_mul_hi_u32 s10, s3, s17
	s_add_i32 s10, s3, s10
	s_delay_alu instid0(SALU_CYCLE_1) | instskip(NEXT) | instid1(SALU_CYCLE_1)
	s_lshr_b32 s11, s10, s18
	s_mul_i32 s10, s11, s19
	s_delay_alu instid0(SALU_CYCLE_1) | instskip(NEXT) | instid1(SALU_CYCLE_1)
	s_sub_i32 s10, s3, s10
	s_lshl_b32 s3, s10, 3
	s_delay_alu instid0(SALU_CYCLE_1) | instskip(SKIP_4) | instid1(SALU_CYCLE_1)
	s_add_i32 s3, s3, s14
	s_waitcnt lgkmcnt(0)
	s_cmp_lt_i32 s3, s8
	s_cselect_b32 s3, -1, 0
	s_add_i32 s11, s11, s15
	s_cmp_lt_i32 s11, s5
	s_cselect_b32 s12, -1, 0
	s_delay_alu instid0(SALU_CYCLE_1) | instskip(NEXT) | instid1(SALU_CYCLE_1)
	s_and_b32 s3, s3, s12
	s_and_not1_b32 vcc_lo, exec_lo, s3
	s_cbranch_vccnz .LBB63_6
; %bb.1:
	s_mul_i32 s8, s2, s8
	s_mul_i32 s7, s7, s5
	s_add_i32 s8, s8, s14
	s_add_i32 s5, s11, s7
	s_mul_i32 s8, s8, s9
	s_load_b128 s[0:3], s[0:1], 0x0
	s_mul_i32 s7, s9, s10
	s_add_i32 s5, s5, s8
	s_mulk_i32 s7, 0x140
	s_mul_i32 s5, s5, 40
	s_add_i32 s10, s14, s15
	v_add3_u32 v1, s5, s7, v0
	s_mul_i32 s5, s13, s6
	s_delay_alu instid0(SALU_CYCLE_1) | instskip(NEXT) | instid1(VALU_DEP_1)
	s_add_i32 s9, s5, s6
	v_ashrrev_i32_e32 v2, 31, v1
	s_delay_alu instid0(VALU_DEP_1) | instskip(SKIP_1) | instid1(VALU_DEP_1)
	v_lshlrev_b64 v[1:2], 2, v[1:2]
	s_waitcnt lgkmcnt(0)
	v_add_co_u32 v1, vcc_lo, s0, v1
	s_delay_alu instid0(VALU_DEP_2) | instskip(SKIP_1) | instid1(SALU_CYCLE_1)
	v_add_co_ci_u32_e32 v2, vcc_lo, s1, v2, vcc_lo
	s_lshl_b32 s0, s9, 3
	s_add_i32 s0, s10, s0
	global_load_b32 v5, v[1:2], off
	s_add_i32 s0, s0, -8
	s_delay_alu instid0(SALU_CYCLE_1) | instskip(NEXT) | instid1(SALU_CYCLE_1)
	s_ashr_i32 s1, s0, 31
	s_lshl_b64 s[0:1], s[0:1], 3
	s_delay_alu instid0(SALU_CYCLE_1)
	s_add_u32 s0, s2, s0
	s_addc_u32 s1, s3, s1
	s_add_i32 s7, s9, -2
	s_load_b32 s11, s[0:1], 0x4
	s_cmp_lt_i32 s7, s5
	s_cbranch_scc1 .LBB63_4
; %bb.2:
	s_load_b32 s12, s[0:1], 0x0
	s_lshl_b32 s0, s4, 5
	s_waitcnt lgkmcnt(0)
	v_mov_b32_e32 v6, s11
	s_ashr_i32 s1, s0, 31
	s_delay_alu instid0(SALU_CYCLE_1) | instskip(NEXT) | instid1(SALU_CYCLE_1)
	s_lshl_b64 s[0:1], s[0:1], 2
	s_add_u32 s7, s2, s0
	s_addc_u32 s8, s3, s1
	s_add_i32 s13, s13, 1
	s_mul_i32 s1, s10, 40
	s_mul_i32 s0, s6, s13
	s_delay_alu instid0(SALU_CYCLE_1)
	s_lshl_b32 s6, s0, 3
	s_mulk_i32 s0, 0x140
	s_add_i32 s6, s10, s6
	s_add_i32 s1, s1, s0
	s_lshl_b32 s0, s4, 3
	v_add3_u32 v3, s1, v0, 0xfffffd80
	s_add_i32 s0, s6, s0
	v_mov_b32_e32 v0, s12
	s_add_i32 s4, s9, -1
	s_add_i32 s0, s0, -16
.LBB63_3:                               ; =>This Inner Loop Header: Depth=1
	s_delay_alu instid0(VALU_DEP_2) | instskip(SKIP_1) | instid1(SALU_CYCLE_1)
	v_ashrrev_i32_e32 v4, 31, v3
	s_ashr_i32 s1, s0, 31
	s_lshl_b64 s[10:11], s[0:1], 3
	s_delay_alu instid0(SALU_CYCLE_1) | instskip(NEXT) | instid1(VALU_DEP_1)
	s_add_u32 s10, s2, s10
	v_lshlrev_b64 v[7:8], 2, v[3:4]
	s_addc_u32 s11, s3, s11
	s_add_i32 s4, s4, -1
	s_add_i32 s0, s0, -8
	s_cmp_le_i32 s4, s5
	s_load_b64 s[10:11], s[10:11], 0x0
	v_add_co_u32 v7, vcc_lo, s7, v7
	v_add_co_ci_u32_e32 v8, vcc_lo, s8, v8, vcc_lo
	global_load_b32 v4, v[7:8], off
	v_max_f32_e32 v7, v0, v0
	s_waitcnt lgkmcnt(0)
	v_max_f32_e64 v8, s10, s10
	s_delay_alu instid0(VALU_DEP_1) | instskip(NEXT) | instid1(VALU_DEP_1)
	v_max_f32_e32 v7, v7, v8
	v_sub_f32_e32 v8, s10, v7
	s_delay_alu instid0(VALU_DEP_1) | instskip(NEXT) | instid1(VALU_DEP_1)
	v_dual_sub_f32 v0, v0, v7 :: v_dual_mul_f32 v9, 0x3fb8aa3b, v8
	v_fma_f32 v10, 0x3fb8aa3b, v8, -v9
	v_rndne_f32_e32 v11, v9
	s_delay_alu instid0(VALU_DEP_3) | instskip(NEXT) | instid1(VALU_DEP_2)
	v_mul_f32_e32 v12, 0x3fb8aa3b, v0
	v_dual_fmac_f32 v10, 0x32a5705f, v8 :: v_dual_sub_f32 v9, v9, v11
	v_cvt_i32_f32_e32 v11, v11
	s_delay_alu instid0(VALU_DEP_3) | instskip(SKIP_1) | instid1(VALU_DEP_4)
	v_fma_f32 v13, 0x3fb8aa3b, v0, -v12
	v_rndne_f32_e32 v14, v12
	v_add_f32_e32 v9, v9, v10
	v_cmp_ngt_f32_e32 vcc_lo, 0xc2ce8ed0, v8
	s_delay_alu instid0(VALU_DEP_3) | instskip(NEXT) | instid1(VALU_DEP_3)
	v_sub_f32_e32 v10, v12, v14
	v_exp_f32_e32 v9, v9
	s_waitcnt_depctr 0xfff
	v_ldexp_f32 v9, v9, v11
	v_cvt_i32_f32_e32 v11, v14
	s_delay_alu instid0(VALU_DEP_2) | instskip(SKIP_1) | instid1(VALU_DEP_2)
	v_cndmask_b32_e32 v9, 0, v9, vcc_lo
	v_cmp_nlt_f32_e32 vcc_lo, 0x42b17218, v8
	v_cndmask_b32_e32 v9, 0x7f800000, v9, vcc_lo
	v_cmp_ngt_f32_e32 vcc_lo, 0xc2ce8ed0, v0
	v_fmac_f32_e32 v13, 0x32a5705f, v0
	s_delay_alu instid0(VALU_DEP_1) | instskip(NEXT) | instid1(VALU_DEP_1)
	v_add_f32_e32 v10, v10, v13
	v_exp_f32_e32 v10, v10
	s_waitcnt_depctr 0xfff
	v_ldexp_f32 v10, v10, v11
	s_delay_alu instid0(VALU_DEP_1)
	v_dual_mov_b32 v11, v6 :: v_dual_cndmask_b32 v10, 0, v10
	v_cmp_le_f32_e32 vcc_lo, 0xc1a00000, v8
	s_waitcnt vmcnt(1)
	v_dual_cndmask_b32 v8, 0, v9 :: v_dual_mov_b32 v9, v5
	v_cmp_nlt_f32_e32 vcc_lo, 0x42b17218, v0
	v_cndmask_b32_e32 v5, 0x7f800000, v10, vcc_lo
	s_delay_alu instid0(VALU_DEP_3) | instskip(SKIP_2) | instid1(VALU_DEP_3)
	v_mul_f32_e32 v10, s11, v8
	v_cmp_le_f32_e32 vcc_lo, 0xc1a00000, v0
	v_mov_b32_e32 v0, v7
	v_mov_b32_e32 v6, v10
	s_waitcnt vmcnt(0)
	v_dual_cndmask_b32 v12, 0, v5 :: v_dual_mul_f32 v5, v4, v8
	s_delay_alu instid0(VALU_DEP_1) | instskip(NEXT) | instid1(VALU_DEP_2)
	v_dual_fmac_f32 v6, v11, v12 :: v_dual_add_nc_u32 v3, 0xfffffec0, v3
	v_fmac_f32_e32 v5, v9, v12
	s_cbranch_scc0 .LBB63_3
	s_branch .LBB63_5
.LBB63_4:
	s_waitcnt lgkmcnt(0)
	v_mov_b32_e32 v6, s11
.LBB63_5:
	s_waitcnt vmcnt(0)
	s_delay_alu instid0(VALU_DEP_1) | instskip(NEXT) | instid1(VALU_DEP_1)
	v_div_scale_f32 v0, null, v6, v6, v5
	v_rcp_f32_e32 v3, v0
	s_waitcnt_depctr 0xfff
	v_fma_f32 v4, -v0, v3, 1.0
	s_delay_alu instid0(VALU_DEP_1) | instskip(SKIP_1) | instid1(VALU_DEP_1)
	v_fmac_f32_e32 v3, v4, v3
	v_div_scale_f32 v4, vcc_lo, v5, v6, v5
	v_mul_f32_e32 v7, v4, v3
	s_delay_alu instid0(VALU_DEP_1) | instskip(NEXT) | instid1(VALU_DEP_1)
	v_fma_f32 v8, -v0, v7, v4
	v_fmac_f32_e32 v7, v8, v3
	s_delay_alu instid0(VALU_DEP_1) | instskip(NEXT) | instid1(VALU_DEP_1)
	v_fma_f32 v0, -v0, v7, v4
	v_div_fmas_f32 v0, v0, v3, v7
	s_delay_alu instid0(VALU_DEP_1)
	v_div_fixup_f32 v0, v0, v6, v5
	global_store_b32 v[1:2], v0, off
.LBB63_6:
	s_nop 0
	s_sendmsg sendmsg(MSG_DEALLOC_VGPRS)
	s_endpgm
	.section	.rodata,"a",@progbits
	.p2align	6, 0x0
	.amdhsa_kernel _ZL33flash_attn_stream_k_fixup_uniformILi40ELi8ELi1EEvPfPK15HIP_vector_typeIfLj2EEiiiiiiS1_IjLj3EES5_S5_
		.amdhsa_group_segment_fixed_size 0
		.amdhsa_private_segment_fixed_size 0
		.amdhsa_kernarg_size 76
		.amdhsa_user_sgpr_count 13
		.amdhsa_user_sgpr_dispatch_ptr 0
		.amdhsa_user_sgpr_queue_ptr 0
		.amdhsa_user_sgpr_kernarg_segment_ptr 1
		.amdhsa_user_sgpr_dispatch_id 0
		.amdhsa_user_sgpr_private_segment_size 0
		.amdhsa_wavefront_size32 1
		.amdhsa_uses_dynamic_stack 0
		.amdhsa_enable_private_segment 0
		.amdhsa_system_sgpr_workgroup_id_x 1
		.amdhsa_system_sgpr_workgroup_id_y 1
		.amdhsa_system_sgpr_workgroup_id_z 1
		.amdhsa_system_sgpr_workgroup_info 0
		.amdhsa_system_vgpr_workitem_id 0
		.amdhsa_next_free_vgpr 15
		.amdhsa_next_free_sgpr 20
		.amdhsa_reserve_vcc 1
		.amdhsa_float_round_mode_32 0
		.amdhsa_float_round_mode_16_64 0
		.amdhsa_float_denorm_mode_32 3
		.amdhsa_float_denorm_mode_16_64 3
		.amdhsa_dx10_clamp 1
		.amdhsa_ieee_mode 1
		.amdhsa_fp16_overflow 0
		.amdhsa_workgroup_processor_mode 1
		.amdhsa_memory_ordered 1
		.amdhsa_forward_progress 0
		.amdhsa_shared_vgpr_count 0
		.amdhsa_exception_fp_ieee_invalid_op 0
		.amdhsa_exception_fp_denorm_src 0
		.amdhsa_exception_fp_ieee_div_zero 0
		.amdhsa_exception_fp_ieee_overflow 0
		.amdhsa_exception_fp_ieee_underflow 0
		.amdhsa_exception_fp_ieee_inexact 0
		.amdhsa_exception_int_div_zero 0
	.end_amdhsa_kernel
	.section	.text._ZL33flash_attn_stream_k_fixup_uniformILi40ELi8ELi1EEvPfPK15HIP_vector_typeIfLj2EEiiiiiiS1_IjLj3EES5_S5_,"axG",@progbits,_ZL33flash_attn_stream_k_fixup_uniformILi40ELi8ELi1EEvPfPK15HIP_vector_typeIfLj2EEiiiiiiS1_IjLj3EES5_S5_,comdat
.Lfunc_end63:
	.size	_ZL33flash_attn_stream_k_fixup_uniformILi40ELi8ELi1EEvPfPK15HIP_vector_typeIfLj2EEiiiiiiS1_IjLj3EES5_S5_, .Lfunc_end63-_ZL33flash_attn_stream_k_fixup_uniformILi40ELi8ELi1EEvPfPK15HIP_vector_typeIfLj2EEiiiiiiS1_IjLj3EES5_S5_
                                        ; -- End function
	.section	.AMDGPU.csdata,"",@progbits
; Kernel info:
; codeLenInByte = 972
; NumSgprs: 22
; NumVgprs: 15
; ScratchSize: 0
; MemoryBound: 0
; FloatMode: 240
; IeeeMode: 1
; LDSByteSize: 0 bytes/workgroup (compile time only)
; SGPRBlocks: 2
; VGPRBlocks: 1
; NumSGPRsForWavesPerEU: 22
; NumVGPRsForWavesPerEU: 15
; Occupancy: 16
; WaveLimiterHint : 0
; COMPUTE_PGM_RSRC2:SCRATCH_EN: 0
; COMPUTE_PGM_RSRC2:USER_SGPR: 13
; COMPUTE_PGM_RSRC2:TRAP_HANDLER: 0
; COMPUTE_PGM_RSRC2:TGID_X_EN: 1
; COMPUTE_PGM_RSRC2:TGID_Y_EN: 1
; COMPUTE_PGM_RSRC2:TGID_Z_EN: 1
; COMPUTE_PGM_RSRC2:TIDIG_COMP_CNT: 0
	.section	.text._ZL33flash_attn_stream_k_fixup_generalILi40ELi8ELi1EEvPfPK15HIP_vector_typeIfLj2EEiiiiS1_IjLj3EES5_S5_S5_,"axG",@progbits,_ZL33flash_attn_stream_k_fixup_generalILi40ELi8ELi1EEvPfPK15HIP_vector_typeIfLj2EEiiiiS1_IjLj3EES5_S5_S5_,comdat
	.globl	_ZL33flash_attn_stream_k_fixup_generalILi40ELi8ELi1EEvPfPK15HIP_vector_typeIfLj2EEiiiiS1_IjLj3EES5_S5_S5_ ; -- Begin function _ZL33flash_attn_stream_k_fixup_generalILi40ELi8ELi1EEvPfPK15HIP_vector_typeIfLj2EEiiiiS1_IjLj3EES5_S5_S5_
	.p2align	8
	.type	_ZL33flash_attn_stream_k_fixup_generalILi40ELi8ELi1EEvPfPK15HIP_vector_typeIfLj2EEiiiiS1_IjLj3EES5_S5_S5_,@function
_ZL33flash_attn_stream_k_fixup_generalILi40ELi8ELi1EEvPfPK15HIP_vector_typeIfLj2EEiiiiS1_IjLj3EES5_S5_S5_: ; @_ZL33flash_attn_stream_k_fixup_generalILi40ELi8ELi1EEvPfPK15HIP_vector_typeIfLj2EEiiiiS1_IjLj3EES5_S5_S5_
; %bb.0:
	s_clause 0x1
	s_load_b128 s[4:7], s[0:1], 0x10
	s_load_b32 s20, s[0:1], 0x50
	s_mov_b32 s2, 0
	s_waitcnt lgkmcnt(0)
	s_mul_hi_i32 s3, s7, s13
	s_mul_i32 s12, s7, s13
	s_cmp_lg_u64 s[2:3], 0
	s_cbranch_scc0 .LBB64_21
; %bb.1:
	v_cvt_f32_ubyte0_e32 v1, 0
	v_cvt_f32_u32_e32 v2, s20
	s_sub_u32 s10, 0, s20
	s_subb_u32 s11, 0, 0
	s_delay_alu instid0(VALU_DEP_1) | instskip(NEXT) | instid1(VALU_DEP_1)
	v_fmamk_f32 v1, v1, 0x4f800000, v2
	v_rcp_f32_e32 v1, v1
	s_waitcnt_depctr 0xfff
	v_mul_f32_e32 v1, 0x5f7ffffc, v1
	s_delay_alu instid0(VALU_DEP_1) | instskip(NEXT) | instid1(VALU_DEP_1)
	v_mul_f32_e32 v2, 0x2f800000, v1
	v_trunc_f32_e32 v2, v2
	s_delay_alu instid0(VALU_DEP_1) | instskip(SKIP_1) | instid1(VALU_DEP_2)
	v_fmamk_f32 v1, v2, 0xcf800000, v1
	v_cvt_u32_f32_e32 v2, v2
	v_cvt_u32_f32_e32 v1, v1
	s_delay_alu instid0(VALU_DEP_2) | instskip(NEXT) | instid1(VALU_DEP_2)
	v_readfirstlane_b32 s8, v2
	v_readfirstlane_b32 s9, v1
	s_delay_alu instid0(VALU_DEP_2) | instskip(NEXT) | instid1(VALU_DEP_1)
	s_mul_i32 s16, s10, s8
	s_mul_hi_u32 s18, s10, s9
	s_mul_i32 s17, s11, s9
	s_add_i32 s16, s18, s16
	s_mul_i32 s19, s10, s9
	s_add_i32 s16, s16, s17
	s_mul_hi_u32 s18, s9, s19
	s_mul_hi_u32 s21, s8, s19
	s_mul_i32 s17, s8, s19
	s_mul_hi_u32 s19, s9, s16
	s_mul_i32 s9, s9, s16
	s_mul_hi_u32 s22, s8, s16
	s_add_u32 s9, s18, s9
	s_addc_u32 s18, 0, s19
	s_add_u32 s9, s9, s17
	s_mul_i32 s16, s8, s16
	s_addc_u32 s9, s18, s21
	s_addc_u32 s17, s22, 0
	s_add_u32 s9, s9, s16
	s_addc_u32 s16, 0, s17
	v_add_co_u32 v1, s9, v1, s9
	s_delay_alu instid0(VALU_DEP_1) | instskip(SKIP_1) | instid1(VALU_DEP_1)
	s_cmp_lg_u32 s9, 0
	s_addc_u32 s8, s8, s16
	v_readfirstlane_b32 s9, v1
	s_mul_i32 s16, s10, s8
	s_delay_alu instid0(VALU_DEP_1)
	s_mul_hi_u32 s17, s10, s9
	s_mul_i32 s11, s11, s9
	s_add_i32 s16, s17, s16
	s_mul_i32 s10, s10, s9
	s_add_i32 s16, s16, s11
	s_mul_hi_u32 s17, s8, s10
	s_mul_i32 s18, s8, s10
	s_mul_hi_u32 s10, s9, s10
	s_mul_hi_u32 s19, s9, s16
	s_mul_i32 s9, s9, s16
	s_mul_hi_u32 s11, s8, s16
	s_add_u32 s9, s10, s9
	s_addc_u32 s10, 0, s19
	s_add_u32 s9, s9, s18
	s_mul_i32 s16, s8, s16
	s_addc_u32 s9, s10, s17
	s_addc_u32 s10, s11, 0
	s_add_u32 s9, s9, s16
	s_addc_u32 s10, 0, s10
	v_add_co_u32 v1, s9, v1, s9
	s_delay_alu instid0(VALU_DEP_1) | instskip(SKIP_2) | instid1(SALU_CYCLE_1)
	s_cmp_lg_u32 s9, 0
	s_addc_u32 s16, s8, s10
	s_ashr_i32 s8, s3, 31
	s_add_u32 s10, s12, s8
	s_addc_u32 s11, s3, s8
	v_readfirstlane_b32 s3, v1
	s_mov_b32 s9, s8
	s_delay_alu instid0(SALU_CYCLE_1) | instskip(NEXT) | instid1(SALU_CYCLE_1)
	s_xor_b64 s[10:11], s[10:11], s[8:9]
	s_mul_i32 s18, s10, s16
	s_delay_alu instid0(VALU_DEP_1)
	s_mul_hi_u32 s19, s10, s3
	s_mul_hi_u32 s17, s10, s16
	s_mul_hi_u32 s22, s11, s3
	s_mul_i32 s3, s11, s3
	s_add_u32 s18, s19, s18
	s_addc_u32 s17, 0, s17
	s_mul_hi_u32 s21, s11, s16
	s_add_u32 s3, s18, s3
	s_mul_i32 s16, s11, s16
	s_addc_u32 s3, s17, s22
	s_addc_u32 s17, s21, 0
	s_add_u32 s3, s3, s16
	s_addc_u32 s16, 0, s17
	s_mul_i32 s18, s20, s3
	s_add_u32 s17, s3, 1
	v_sub_co_u32 v1, s10, s10, s18
	s_mul_hi_u32 s18, s20, s3
	s_addc_u32 s19, s16, 0
	s_mul_i32 s21, s20, s16
	s_delay_alu instid0(VALU_DEP_1)
	v_sub_co_u32 v2, s22, v1, s20
	s_add_u32 s23, s3, 2
	s_addc_u32 s24, s16, 0
	s_add_i32 s18, s18, s21
	s_cmp_lg_u32 s10, 0
	v_readfirstlane_b32 s10, v2
	s_subb_u32 s11, s11, s18
	s_cmp_lg_u32 s22, 0
	s_subb_u32 s18, s11, 0
	s_delay_alu instid0(VALU_DEP_1) | instskip(SKIP_4) | instid1(SALU_CYCLE_1)
	s_cmp_ge_u32 s10, s20
	s_cselect_b32 s10, -1, 0
	s_cmp_eq_u32 s18, 0
	v_readfirstlane_b32 s18, v1
	s_cselect_b32 s10, s10, -1
	s_cmp_lg_u32 s10, 0
	s_cselect_b32 s10, s23, s17
	s_cselect_b32 s17, s24, s19
	s_cmp_ge_u32 s18, s20
	s_cselect_b32 s18, -1, 0
	s_cmp_eq_u32 s11, 0
	s_cselect_b32 s11, s18, -1
	s_delay_alu instid0(SALU_CYCLE_1) | instskip(SKIP_2) | instid1(SALU_CYCLE_1)
	s_cmp_lg_u32 s11, 0
	s_cselect_b32 s11, s17, s16
	s_cselect_b32 s10, s10, s3
	s_xor_b64 s[10:11], s[10:11], s[8:9]
	s_delay_alu instid0(SALU_CYCLE_1)
	s_sub_u32 s16, s10, s8
	s_load_b128 s[8:11], s[0:1], 0x44
	s_and_not1_b32 vcc_lo, exec_lo, s2
	s_cbranch_vccnz .LBB64_3
.LBB64_2:
	v_cvt_f32_u32_e32 v1, s20
	s_sub_i32 s3, 0, s20
	s_delay_alu instid0(VALU_DEP_1) | instskip(SKIP_2) | instid1(VALU_DEP_1)
	v_rcp_iflag_f32_e32 v1, v1
	s_waitcnt_depctr 0xfff
	v_mul_f32_e32 v1, 0x4f7ffffe, v1
	v_cvt_u32_f32_e32 v1, v1
	s_delay_alu instid0(VALU_DEP_1) | instskip(NEXT) | instid1(VALU_DEP_1)
	v_readfirstlane_b32 s2, v1
	s_mul_i32 s3, s3, s2
	s_delay_alu instid0(SALU_CYCLE_1) | instskip(NEXT) | instid1(SALU_CYCLE_1)
	s_mul_hi_u32 s3, s2, s3
	s_add_i32 s2, s2, s3
	s_delay_alu instid0(SALU_CYCLE_1) | instskip(NEXT) | instid1(SALU_CYCLE_1)
	s_mul_hi_u32 s2, s12, s2
	s_mul_i32 s3, s2, s20
	s_waitcnt lgkmcnt(0)
	s_add_i32 s11, s2, 1
	s_sub_i32 s3, s12, s3
	s_delay_alu instid0(SALU_CYCLE_1)
	s_sub_i32 s12, s3, s20
	s_cmp_ge_u32 s3, s20
	s_cselect_b32 s2, s11, s2
	s_cselect_b32 s3, s12, s3
	s_add_i32 s11, s2, 1
	s_cmp_ge_u32 s3, s20
	s_cselect_b32 s16, s11, s2
.LBB64_3:
	s_waitcnt lgkmcnt(0)
	s_add_i32 s11, s13, 1
	s_mov_b32 s2, 0
	s_mul_hi_i32 s3, s7, s11
	s_mul_i32 s11, s7, s11
	s_cmp_lg_u64 s[2:3], 0
	s_cbranch_scc0 .LBB64_22
; %bb.4:
	v_cvt_f32_ubyte0_e32 v1, 0
	v_cvt_f32_u32_e32 v2, s20
	s_sub_u32 s18, 0, s20
	s_subb_u32 s19, 0, 0
	s_delay_alu instid0(VALU_DEP_1) | instskip(NEXT) | instid1(VALU_DEP_1)
	v_fmamk_f32 v1, v1, 0x4f800000, v2
	v_rcp_f32_e32 v1, v1
	s_waitcnt_depctr 0xfff
	v_mul_f32_e32 v1, 0x5f7ffffc, v1
	s_delay_alu instid0(VALU_DEP_1) | instskip(NEXT) | instid1(VALU_DEP_1)
	v_mul_f32_e32 v2, 0x2f800000, v1
	v_trunc_f32_e32 v2, v2
	s_delay_alu instid0(VALU_DEP_1) | instskip(SKIP_1) | instid1(VALU_DEP_2)
	v_fmamk_f32 v1, v2, 0xcf800000, v1
	v_cvt_u32_f32_e32 v2, v2
	v_cvt_u32_f32_e32 v1, v1
	s_delay_alu instid0(VALU_DEP_2) | instskip(NEXT) | instid1(VALU_DEP_2)
	v_readfirstlane_b32 s12, v2
	v_readfirstlane_b32 s17, v1
	s_delay_alu instid0(VALU_DEP_2) | instskip(NEXT) | instid1(VALU_DEP_1)
	s_mul_i32 s21, s18, s12
	s_mul_hi_u32 s23, s18, s17
	s_mul_i32 s22, s19, s17
	s_add_i32 s21, s23, s21
	s_mul_i32 s24, s18, s17
	s_add_i32 s21, s21, s22
	s_mul_hi_u32 s23, s17, s24
	s_mul_hi_u32 s25, s12, s24
	s_mul_i32 s22, s12, s24
	s_mul_hi_u32 s24, s17, s21
	s_mul_i32 s17, s17, s21
	s_mul_hi_u32 s26, s12, s21
	s_add_u32 s17, s23, s17
	s_addc_u32 s23, 0, s24
	s_add_u32 s17, s17, s22
	s_mul_i32 s21, s12, s21
	s_addc_u32 s17, s23, s25
	s_addc_u32 s22, s26, 0
	s_add_u32 s17, s17, s21
	s_addc_u32 s21, 0, s22
	v_add_co_u32 v1, s17, v1, s17
	s_delay_alu instid0(VALU_DEP_1) | instskip(SKIP_1) | instid1(VALU_DEP_1)
	s_cmp_lg_u32 s17, 0
	s_addc_u32 s12, s12, s21
	v_readfirstlane_b32 s17, v1
	s_mul_i32 s21, s18, s12
	s_delay_alu instid0(VALU_DEP_1)
	s_mul_hi_u32 s22, s18, s17
	s_mul_i32 s19, s19, s17
	s_add_i32 s21, s22, s21
	s_mul_i32 s18, s18, s17
	s_add_i32 s21, s21, s19
	s_mul_hi_u32 s22, s12, s18
	s_mul_i32 s23, s12, s18
	s_mul_hi_u32 s18, s17, s18
	s_mul_hi_u32 s24, s17, s21
	s_mul_i32 s17, s17, s21
	s_mul_hi_u32 s19, s12, s21
	s_add_u32 s17, s18, s17
	s_addc_u32 s18, 0, s24
	s_add_u32 s17, s17, s23
	s_mul_i32 s21, s12, s21
	s_addc_u32 s17, s18, s22
	s_addc_u32 s18, s19, 0
	s_add_u32 s17, s17, s21
	s_addc_u32 s18, 0, s18
	v_add_co_u32 v1, s17, v1, s17
	s_delay_alu instid0(VALU_DEP_1) | instskip(SKIP_2) | instid1(SALU_CYCLE_1)
	s_cmp_lg_u32 s17, 0
	s_addc_u32 s12, s12, s18
	s_ashr_i32 s18, s3, 31
	s_add_u32 s22, s11, s18
	s_addc_u32 s23, s3, s18
	v_readfirstlane_b32 s3, v1
	s_mov_b32 s19, s18
	s_delay_alu instid0(SALU_CYCLE_1) | instskip(NEXT) | instid1(SALU_CYCLE_1)
	s_xor_b64 s[22:23], s[22:23], s[18:19]
	s_mul_i32 s21, s22, s12
	s_delay_alu instid0(VALU_DEP_1)
	s_mul_hi_u32 s24, s22, s3
	s_mul_hi_u32 s17, s22, s12
	;; [unrolled: 1-line block ×3, first 2 shown]
	s_mul_i32 s3, s23, s3
	s_add_u32 s21, s24, s21
	s_addc_u32 s17, 0, s17
	s_mul_hi_u32 s25, s23, s12
	s_add_u32 s3, s21, s3
	s_mul_i32 s12, s23, s12
	s_addc_u32 s3, s17, s26
	s_addc_u32 s17, s25, 0
	s_add_u32 s3, s3, s12
	s_addc_u32 s12, 0, s17
	s_mul_i32 s21, s20, s3
	s_add_u32 s17, s3, 1
	v_sub_co_u32 v1, s21, s22, s21
	s_mul_hi_u32 s22, s20, s3
	s_addc_u32 s24, s12, 0
	s_mul_i32 s25, s20, s12
	s_delay_alu instid0(VALU_DEP_1)
	v_sub_co_u32 v2, s26, v1, s20
	s_add_u32 s27, s3, 2
	s_addc_u32 s28, s12, 0
	s_add_i32 s22, s22, s25
	s_cmp_lg_u32 s21, 0
	v_readfirstlane_b32 s21, v2
	s_subb_u32 s22, s23, s22
	s_cmp_lg_u32 s26, 0
	s_subb_u32 s23, s22, 0
	s_delay_alu instid0(VALU_DEP_1) | instskip(SKIP_4) | instid1(SALU_CYCLE_1)
	s_cmp_ge_u32 s21, s20
	s_cselect_b32 s21, -1, 0
	s_cmp_eq_u32 s23, 0
	v_readfirstlane_b32 s23, v1
	s_cselect_b32 s21, s21, -1
	s_cmp_lg_u32 s21, 0
	s_cselect_b32 s17, s27, s17
	s_cselect_b32 s21, s28, s24
	s_cmp_ge_u32 s23, s20
	s_cselect_b32 s23, -1, 0
	s_cmp_eq_u32 s22, 0
	s_cselect_b32 s22, s23, -1
	s_delay_alu instid0(SALU_CYCLE_1) | instskip(SKIP_2) | instid1(SALU_CYCLE_1)
	s_cmp_lg_u32 s22, 0
	s_cselect_b32 s23, s21, s12
	s_cselect_b32 s22, s17, s3
	s_xor_b64 s[22:23], s[22:23], s[18:19]
	s_delay_alu instid0(SALU_CYCLE_1)
	s_sub_u32 s18, s22, s18
	s_and_not1_b32 vcc_lo, exec_lo, s2
	s_cbranch_vccnz .LBB64_6
.LBB64_5:
	v_cvt_f32_u32_e32 v1, s20
	s_sub_i32 s3, 0, s20
	s_delay_alu instid0(VALU_DEP_1) | instskip(SKIP_2) | instid1(VALU_DEP_1)
	v_rcp_iflag_f32_e32 v1, v1
	s_waitcnt_depctr 0xfff
	v_mul_f32_e32 v1, 0x4f7ffffe, v1
	v_cvt_u32_f32_e32 v1, v1
	s_delay_alu instid0(VALU_DEP_1) | instskip(NEXT) | instid1(VALU_DEP_1)
	v_readfirstlane_b32 s2, v1
	s_mul_i32 s3, s3, s2
	s_delay_alu instid0(SALU_CYCLE_1) | instskip(NEXT) | instid1(SALU_CYCLE_1)
	s_mul_hi_u32 s3, s2, s3
	s_add_i32 s2, s2, s3
	s_delay_alu instid0(SALU_CYCLE_1) | instskip(NEXT) | instid1(SALU_CYCLE_1)
	s_mul_hi_u32 s2, s11, s2
	s_mul_i32 s3, s2, s20
	s_delay_alu instid0(SALU_CYCLE_1)
	s_sub_i32 s3, s11, s3
	s_add_i32 s11, s2, 1
	s_sub_i32 s12, s3, s20
	s_cmp_ge_u32 s3, s20
	s_cselect_b32 s2, s11, s2
	s_cselect_b32 s3, s12, s3
	s_add_i32 s11, s2, 1
	s_cmp_ge_u32 s3, s20
	s_cselect_b32 s18, s11, s2
.LBB64_6:
	s_delay_alu instid0(SALU_CYCLE_1) | instskip(SKIP_3) | instid1(SALU_CYCLE_1)
	s_cmp_eq_u32 s16, s18
	s_mul_hi_u32 s2, s16, s8
	s_cselect_b32 s3, -1, 0
	s_add_i32 s2, s2, s16
	s_lshr_b32 s11, s2, s9
	s_delay_alu instid0(SALU_CYCLE_1) | instskip(NEXT) | instid1(SALU_CYCLE_1)
	s_mul_i32 s2, s11, s10
	s_cmp_eq_u32 s2, s16
	s_mul_hi_u32 s2, s18, s8
	s_cselect_b32 s12, -1, 0
	s_add_i32 s2, s2, s18
	s_delay_alu instid0(SALU_CYCLE_1) | instskip(NEXT) | instid1(SALU_CYCLE_1)
	s_lshr_b32 s2, s2, s9
	s_cmp_eq_u32 s11, s2
	s_mul_i32 s2, s2, s10
	s_cselect_b32 s17, -1, 0
	s_cmp_lg_u32 s2, s18
	s_cselect_b32 s2, -1, 0
	s_or_b32 s3, s3, s12
	s_and_b32 s2, s17, s2
	s_delay_alu instid0(SALU_CYCLE_1) | instskip(NEXT) | instid1(SALU_CYCLE_1)
	s_or_b32 s2, s3, s2
	s_and_b32 vcc_lo, exec_lo, s2
	s_cbranch_vccnz .LBB64_24
; %bb.7:
	s_load_b256 s[24:31], s[0:1], 0x20
	s_waitcnt lgkmcnt(0)
	s_mul_hi_u32 s2, s16, s24
	s_delay_alu instid0(SALU_CYCLE_1) | instskip(NEXT) | instid1(SALU_CYCLE_1)
	s_add_i32 s2, s2, s16
	s_lshr_b32 s17, s2, s25
	s_load_b32 s2, s[0:1], 0x40
	s_mul_i32 s3, s17, s26
	s_delay_alu instid0(SALU_CYCLE_1) | instskip(NEXT) | instid1(SALU_CYCLE_1)
	s_sub_i32 s3, s16, s3
	s_mul_hi_u32 s12, s3, s27
	s_delay_alu instid0(SALU_CYCLE_1) | instskip(NEXT) | instid1(SALU_CYCLE_1)
	s_add_i32 s12, s3, s12
	s_lshr_b32 s19, s12, s28
	s_delay_alu instid0(SALU_CYCLE_1) | instskip(NEXT) | instid1(SALU_CYCLE_1)
	s_mul_i32 s12, s19, s29
	s_sub_i32 s3, s3, s12
	s_delay_alu instid0(SALU_CYCLE_1) | instskip(NEXT) | instid1(SALU_CYCLE_1)
	s_mul_hi_u32 s12, s3, s30
	s_add_i32 s12, s3, s12
	s_delay_alu instid0(SALU_CYCLE_1) | instskip(SKIP_3) | instid1(SALU_CYCLE_1)
	s_lshr_b32 s21, s12, s31
	s_mov_b32 s12, 0
	s_waitcnt lgkmcnt(0)
	s_mul_i32 s2, s21, s2
	s_sub_i32 s2, s3, s2
	s_delay_alu instid0(SALU_CYCLE_1) | instskip(NEXT) | instid1(SALU_CYCLE_1)
	s_mul_hi_u32 s3, s2, s8
	s_add_i32 s2, s2, s3
	s_delay_alu instid0(SALU_CYCLE_1) | instskip(NEXT) | instid1(SALU_CYCLE_1)
	s_lshr_b32 s18, s2, s9
	s_lshl_b32 s2, s18, 3
	s_delay_alu instid0(SALU_CYCLE_1) | instskip(NEXT) | instid1(SALU_CYCLE_1)
	s_add_i32 s2, s2, s14
	s_cmp_lt_i32 s2, s4
	s_cselect_b32 s2, -1, 0
	s_add_i32 s21, s21, s15
	s_delay_alu instid0(SALU_CYCLE_1) | instskip(SKIP_1) | instid1(SALU_CYCLE_1)
	s_cmp_lt_i32 s21, s6
	s_cselect_b32 s3, -1, 0
	s_and_b32 s2, s2, s3
	s_delay_alu instid0(SALU_CYCLE_1)
	s_and_not1_b32 vcc_lo, exec_lo, s2
	s_cbranch_vccnz .LBB64_24
; %bb.8:
	s_load_b128 s[0:3], s[0:1], 0x0
	s_lshl_b32 s22, s20, 5
	s_mov_b32 s23, s12
	s_add_i32 s15, s14, s15
	s_lshl_b64 s[22:23], s[22:23], 2
	s_mul_i32 s4, s17, s4
	s_mul_i32 s19, s19, s6
	v_cvt_f32_ubyte0_e32 v3, 0
	v_cvt_f32_u32_e32 v4, s20
	s_waitcnt lgkmcnt(0)
	s_add_u32 s6, s2, s22
	s_addc_u32 s17, s3, s23
	s_add_i32 s4, s4, s14
	s_add_i32 s14, s21, s19
	s_mul_i32 s4, s4, s5
	s_mul_i32 s5, s5, s18
	s_add_i32 s4, s14, s4
	s_mulk_i32 s5, 0x140
	s_mul_i32 s4, s4, 40
	s_delay_alu instid0(SALU_CYCLE_1) | instskip(NEXT) | instid1(VALU_DEP_1)
	v_add3_u32 v1, s5, s4, v0
	v_ashrrev_i32_e32 v2, 31, v1
	s_delay_alu instid0(VALU_DEP_1) | instskip(NEXT) | instid1(VALU_DEP_1)
	v_lshlrev_b64 v[1:2], 2, v[1:2]
	v_add_co_u32 v1, vcc_lo, s0, v1
	s_delay_alu instid0(VALU_DEP_2) | instskip(SKIP_1) | instid1(SALU_CYCLE_1)
	v_add_co_ci_u32_e32 v2, vcc_lo, s1, v2, vcc_lo
	s_lshl_b32 s0, s13, 3
	s_add_i32 s0, s0, s15
	global_load_b32 v5, v[1:2], off
	s_ashr_i32 s1, s0, 31
	s_delay_alu instid0(SALU_CYCLE_1) | instskip(NEXT) | instid1(SALU_CYCLE_1)
	s_lshl_b64 s[0:1], s[0:1], 3
	s_add_u32 s0, s2, s0
	s_addc_u32 s1, s3, s1
	s_add_i32 s18, s13, -1
	s_load_b64 s[0:1], s[0:1], 0x0
	v_fmac_f32_e32 v4, 0x4f800000, v3
	s_sub_i32 s14, 0, s20
	s_delay_alu instid0(VALU_DEP_1)
	v_rcp_f32_e32 v3, v4
	s_waitcnt_depctr 0xfff
	v_mul_f32_e32 v6, 0x5f7ffffc, v3
	v_cvt_f32_u32_e32 v3, s20
	s_waitcnt lgkmcnt(0)
	v_mov_b32_e32 v8, s0
	s_delay_alu instid0(VALU_DEP_3) | instskip(NEXT) | instid1(VALU_DEP_3)
	v_mul_f32_e32 v4, 0x2f800000, v6
	v_rcp_iflag_f32_e32 v7, v3
	s_delay_alu instid0(VALU_DEP_1) | instskip(SKIP_1) | instid1(VALU_DEP_2)
	v_trunc_f32_e32 v9, v4
	v_mad_u64_u32 v[3:4], null, s15, 40, v[0:1]
	v_fmac_f32_e32 v6, 0xcf800000, v9
	s_waitcnt_depctr 0xfff
	v_dual_mul_f32 v10, 0x4f7ffffe, v7 :: v_dual_mov_b32 v7, s1
	v_cvt_u32_f32_e32 v4, v9
	v_cvt_u32_f32_e32 v0, v6
	s_delay_alu instid0(VALU_DEP_3)
	v_cvt_u32_f32_e32 v6, v10
.LBB64_9:                               ; =>This Inner Loop Header: Depth=1
	s_mul_hi_i32 s13, s18, s7
	s_mul_i32 s4, s18, s7
	s_cmp_lg_u64 s[12:13], 0
	s_mov_b32 s5, -1
                                        ; implicit-def: $sgpr0_sgpr1
	s_cbranch_scc0 .LBB64_11
; %bb.10:                               ;   in Loop: Header=BB64_9 Depth=1
	v_readfirstlane_b32 s0, v0
	v_readfirstlane_b32 s1, v4
	s_sub_u32 s5, 0, s20
	s_subb_u32 s19, 0, 0
	s_delay_alu instid0(VALU_DEP_2) | instskip(NEXT) | instid1(VALU_DEP_1)
	s_mul_hi_u32 s21, s5, s0
	s_mul_i32 s22, s5, s1
	s_mul_i32 s23, s19, s0
	s_add_i32 s21, s21, s22
	s_mul_i32 s22, s5, s0
	s_add_i32 s21, s21, s23
	s_mul_hi_u32 s23, s0, s22
	s_mul_i32 s24, s0, s21
	s_mul_hi_u32 s0, s0, s21
	s_add_u32 s23, s23, s24
	s_mul_i32 s25, s1, s22
	s_addc_u32 s0, 0, s0
	s_mul_hi_u32 s22, s1, s22
	s_mul_hi_u32 s24, s1, s21
	s_add_u32 s23, s23, s25
	s_addc_u32 s0, s0, s22
	s_mul_i32 s21, s1, s21
	s_addc_u32 s22, s24, 0
	s_add_u32 s0, s0, s21
	s_addc_u32 s21, 0, s22
	v_add_co_u32 v9, s0, v0, s0
	s_delay_alu instid0(VALU_DEP_1) | instskip(SKIP_1) | instid1(VALU_DEP_1)
	s_cmp_lg_u32 s0, 0
	s_addc_u32 s1, s1, s21
	v_readfirstlane_b32 s0, v9
	s_mul_i32 s21, s5, s1
	s_delay_alu instid0(VALU_DEP_1)
	s_mul_hi_u32 s22, s5, s0
	s_mul_i32 s19, s19, s0
	s_add_i32 s21, s22, s21
	s_mul_i32 s5, s5, s0
	s_add_i32 s21, s21, s19
	s_mul_hi_u32 s19, s1, s5
	s_mul_i32 s23, s1, s5
	s_mul_i32 s24, s0, s21
	s_mul_hi_u32 s5, s0, s5
	s_mul_hi_u32 s0, s0, s21
	s_add_u32 s5, s5, s24
	s_addc_u32 s0, 0, s0
	s_mul_hi_u32 s22, s1, s21
	s_add_u32 s5, s5, s23
	s_addc_u32 s0, s0, s19
	s_mul_i32 s5, s1, s21
	s_addc_u32 s19, s22, 0
	s_add_u32 s0, s0, s5
	s_addc_u32 s5, 0, s19
	v_add_co_u32 v9, s0, v9, s0
	s_delay_alu instid0(VALU_DEP_1) | instskip(SKIP_2) | instid1(SALU_CYCLE_1)
	s_cmp_lg_u32 s0, 0
	s_addc_u32 s5, s1, s5
	s_ashr_i32 s0, s13, 31
	s_add_u32 s22, s4, s0
	s_addc_u32 s23, s13, s0
	v_readfirstlane_b32 s13, v9
	s_mov_b32 s1, s0
	s_delay_alu instid0(SALU_CYCLE_1) | instskip(NEXT) | instid1(SALU_CYCLE_1)
	s_xor_b64 s[22:23], s[22:23], s[0:1]
	s_mul_i32 s19, s22, s5
	s_delay_alu instid0(VALU_DEP_1)
	s_mul_hi_u32 s21, s22, s13
	s_mul_hi_u32 s24, s22, s5
	s_add_u32 s19, s21, s19
	s_mul_i32 s25, s23, s13
	s_addc_u32 s21, 0, s24
	s_mul_hi_u32 s13, s23, s13
	s_mul_hi_u32 s24, s23, s5
	s_add_u32 s19, s19, s25
	s_addc_u32 s13, s21, s13
	s_mul_i32 s5, s23, s5
	s_addc_u32 s19, s24, 0
	s_add_u32 s5, s13, s5
	s_addc_u32 s13, 0, s19
	s_mul_i32 s21, s20, s5
	s_add_u32 s19, s5, 1
	v_sub_co_u32 v9, s21, s22, s21
	s_addc_u32 s22, s13, 0
	s_mul_i32 s25, s20, s13
	s_mul_hi_u32 s27, s20, s5
	s_delay_alu instid0(VALU_DEP_1)
	v_sub_co_u32 v10, s26, v9, s20
	s_add_u32 s24, s5, 2
	s_addc_u32 s28, s13, 0
	s_add_i32 s27, s27, s25
	s_cmp_lg_u32 s21, 0
	v_readfirstlane_b32 s21, v10
	s_subb_u32 s23, s23, s27
	s_cmp_lg_u32 s26, 0
	s_subb_u32 s25, s23, 0
	s_delay_alu instid0(VALU_DEP_1) | instskip(SKIP_4) | instid1(SALU_CYCLE_1)
	s_cmp_ge_u32 s21, s20
	s_cselect_b32 s21, -1, 0
	s_cmp_eq_u32 s25, 0
	v_readfirstlane_b32 s25, v9
	s_cselect_b32 s21, s21, -1
	s_cmp_lg_u32 s21, 0
	s_cselect_b32 s19, s24, s19
	s_cselect_b32 s21, s28, s22
	s_cmp_ge_u32 s25, s20
	s_cselect_b32 s22, -1, 0
	s_cmp_eq_u32 s23, 0
	s_cselect_b32 s22, s22, -1
	s_delay_alu instid0(SALU_CYCLE_1) | instskip(SKIP_4) | instid1(SALU_CYCLE_1)
	s_cmp_lg_u32 s22, 0
	s_cselect_b32 s23, s21, s13
	s_cselect_b32 s22, s19, s5
	s_mov_b32 s5, 0
	s_xor_b64 s[22:23], s[22:23], s[0:1]
	s_sub_u32 s0, s22, s0
.LBB64_11:                              ;   in Loop: Header=BB64_9 Depth=1
	s_and_not1_b32 vcc_lo, exec_lo, s5
	s_cbranch_vccnz .LBB64_13
; %bb.12:                               ;   in Loop: Header=BB64_9 Depth=1
	v_readfirstlane_b32 s0, v6
	s_delay_alu instid0(VALU_DEP_1) | instskip(NEXT) | instid1(SALU_CYCLE_1)
	s_mul_i32 s1, s14, s0
	s_mul_hi_u32 s1, s0, s1
	s_delay_alu instid0(SALU_CYCLE_1) | instskip(NEXT) | instid1(SALU_CYCLE_1)
	s_add_i32 s0, s0, s1
	s_mul_hi_u32 s0, s4, s0
	s_delay_alu instid0(SALU_CYCLE_1) | instskip(NEXT) | instid1(SALU_CYCLE_1)
	s_mul_i32 s1, s0, s20
	s_sub_i32 s1, s4, s1
	s_add_i32 s4, s0, 1
	s_sub_i32 s5, s1, s20
	s_cmp_ge_u32 s1, s20
	s_cselect_b32 s0, s4, s0
	s_cselect_b32 s1, s5, s1
	s_add_i32 s4, s0, 1
	s_cmp_ge_u32 s1, s20
	s_cselect_b32 s0, s4, s0
.LBB64_13:                              ;   in Loop: Header=BB64_9 Depth=1
	s_delay_alu instid0(SALU_CYCLE_1)
	s_cmp_lg_u32 s16, s0
	s_cbranch_scc0 .LBB64_17
; %bb.14:                               ;   in Loop: Header=BB64_9 Depth=1
	s_add_i32 s1, s18, s20
	s_mov_b32 s5, s12
	s_lshl_b32 s1, s1, 3
	s_mov_b32 s19, s16
	s_add_i32 s4, s1, s15
	s_mul_hi_u32 s1, s0, s8
	s_lshl_b64 s[4:5], s[4:5], 3
	s_delay_alu instid0(SALU_CYCLE_1) | instskip(SKIP_2) | instid1(SALU_CYCLE_1)
	s_add_u32 s4, s2, s4
	s_addc_u32 s5, s3, s5
	s_add_i32 s1, s1, s0
	s_lshr_b32 s1, s1, s9
	s_delay_alu instid0(SALU_CYCLE_1) | instskip(NEXT) | instid1(SALU_CYCLE_1)
	s_mul_i32 s13, s1, s10
	s_cmp_eq_u32 s13, s0
	s_cselect_b32 s13, -1, 0
	s_cmp_lt_u32 s1, s11
	s_cselect_b32 s1, -1, 0
	s_delay_alu instid0(SALU_CYCLE_1)
	s_or_b32 s1, s1, s13
	s_mov_b32 s13, -1
	s_and_b32 vcc_lo, exec_lo, s1
	s_mov_b32 s1, s18
	s_cbranch_vccnz .LBB64_16
; %bb.15:                               ;   in Loop: Header=BB64_9 Depth=1
	s_add_i32 s1, s18, -1
	s_mov_b32 s13, 0
	s_mov_b32 s19, s0
.LBB64_16:                              ;   in Loop: Header=BB64_9 Depth=1
	v_mad_u64_u32 v[9:10], null, 0x140, s18, v[3:4]
	s_load_b64 s[4:5], s[4:5], 0x0
	s_delay_alu instid0(VALU_DEP_1) | instskip(NEXT) | instid1(VALU_DEP_1)
	v_ashrrev_i32_e32 v10, 31, v9
	v_lshlrev_b64 v[9:10], 2, v[9:10]
	s_delay_alu instid0(VALU_DEP_1) | instskip(NEXT) | instid1(VALU_DEP_2)
	v_add_co_u32 v9, vcc_lo, s6, v9
	v_add_co_ci_u32_e32 v10, vcc_lo, s17, v10, vcc_lo
	s_waitcnt lgkmcnt(0)
	v_max_f32_e64 v11, s4, s4
	global_load_b32 v10, v[9:10], off
	v_max_f32_e32 v9, v8, v8
	s_delay_alu instid0(VALU_DEP_1) | instskip(NEXT) | instid1(VALU_DEP_1)
	v_max_f32_e32 v9, v9, v11
	v_sub_f32_e32 v12, v8, v9
	s_delay_alu instid0(VALU_DEP_1) | instskip(NEXT) | instid1(VALU_DEP_1)
	v_dual_mul_f32 v14, 0x3fb8aa3b, v12 :: v_dual_sub_f32 v11, s4, v9
	v_rndne_f32_e32 v18, v14
	s_delay_alu instid0(VALU_DEP_2) | instskip(SKIP_2) | instid1(VALU_DEP_4)
	v_mul_f32_e32 v13, 0x3fb8aa3b, v11
	v_fma_f32 v17, 0x3fb8aa3b, v12, -v14
	v_cmp_ngt_f32_e32 vcc_lo, 0xc2ce8ed0, v11
	v_sub_f32_e32 v14, v14, v18
	s_delay_alu instid0(VALU_DEP_4) | instskip(SKIP_2) | instid1(VALU_DEP_3)
	v_fma_f32 v15, 0x3fb8aa3b, v11, -v13
	v_rndne_f32_e32 v16, v13
	v_fmac_f32_e32 v17, 0x32a5705f, v12
	v_fmac_f32_e32 v15, 0x32a5705f, v11
	s_delay_alu instid0(VALU_DEP_2) | instskip(NEXT) | instid1(VALU_DEP_1)
	v_dual_sub_f32 v13, v13, v16 :: v_dual_add_f32 v14, v14, v17
	v_add_f32_e32 v13, v13, v15
	s_delay_alu instid0(VALU_DEP_2) | instskip(SKIP_2) | instid1(VALU_DEP_3)
	v_exp_f32_e32 v14, v14
	v_cvt_i32_f32_e32 v15, v16
	v_cvt_i32_f32_e32 v16, v18
	v_exp_f32_e32 v13, v13
	s_waitcnt_depctr 0xfff
	v_ldexp_f32 v14, v14, v16
	v_ldexp_f32 v13, v13, v15
	s_delay_alu instid0(VALU_DEP_1) | instskip(SKIP_1) | instid1(VALU_DEP_4)
	v_cndmask_b32_e32 v13, 0, v13, vcc_lo
	v_cmp_ngt_f32_e32 vcc_lo, 0xc2ce8ed0, v12
	v_cndmask_b32_e32 v14, 0, v14, vcc_lo
	v_cmp_nlt_f32_e32 vcc_lo, 0x42b17218, v11
	s_delay_alu instid0(VALU_DEP_4) | instskip(SKIP_1) | instid1(VALU_DEP_4)
	v_cndmask_b32_e32 v13, 0x7f800000, v13, vcc_lo
	v_cmp_nlt_f32_e32 vcc_lo, 0x42b17218, v12
	v_cndmask_b32_e32 v14, 0x7f800000, v14, vcc_lo
	v_cmp_le_f32_e32 vcc_lo, 0xc1a00000, v11
	s_delay_alu instid0(VALU_DEP_4) | instskip(SKIP_1) | instid1(VALU_DEP_4)
	v_cndmask_b32_e32 v11, 0, v13, vcc_lo
	v_cmp_le_f32_e32 vcc_lo, 0xc1a00000, v12
	v_cndmask_b32_e32 v12, 0, v14, vcc_lo
	s_waitcnt vmcnt(0)
	s_delay_alu instid0(VALU_DEP_3) | instskip(NEXT) | instid1(VALU_DEP_1)
	v_mul_f32_e32 v10, v10, v11
	v_dual_mul_f32 v11, s5, v11 :: v_dual_fmac_f32 v10, v5, v12
	s_delay_alu instid0(VALU_DEP_1)
	v_fmac_f32_e32 v11, v7, v12
	s_cbranch_execz .LBB64_18
	s_branch .LBB64_19
.LBB64_17:                              ;   in Loop: Header=BB64_9 Depth=1
                                        ; implicit-def: $sgpr13
                                        ; implicit-def: $vgpr10
                                        ; implicit-def: $vgpr9
                                        ; implicit-def: $vgpr11
                                        ; implicit-def: $sgpr1
                                        ; implicit-def: $sgpr19
.LBB64_18:                              ;   in Loop: Header=BB64_9 Depth=1
	s_waitcnt vmcnt(0)
	v_dual_mov_b32 v11, v7 :: v_dual_mov_b32 v10, v5
	v_mov_b32_e32 v9, v8
	s_add_i32 s1, s18, -1
	s_mov_b32 s13, 0
	s_mov_b32 s19, s16
.LBB64_19:                              ;   in Loop: Header=BB64_9 Depth=1
	s_and_not1_b32 vcc_lo, exec_lo, s13
	s_cbranch_vccz .LBB64_23
; %bb.20:                               ;   in Loop: Header=BB64_9 Depth=1
	v_dual_mov_b32 v7, v11 :: v_dual_mov_b32 v8, v9
	s_waitcnt vmcnt(0)
	v_mov_b32_e32 v5, v10
	s_mov_b32 s16, s19
	s_mov_b32 s18, s1
	s_branch .LBB64_9
.LBB64_21:
                                        ; implicit-def: $sgpr16_sgpr17
	s_load_b128 s[8:11], s[0:1], 0x44
	s_branch .LBB64_2
.LBB64_22:
                                        ; implicit-def: $sgpr18_sgpr19
	s_branch .LBB64_5
.LBB64_23:
	v_div_scale_f32 v0, null, v11, v11, v10
	s_delay_alu instid0(VALU_DEP_1) | instskip(SKIP_2) | instid1(VALU_DEP_1)
	v_rcp_f32_e32 v3, v0
	s_waitcnt_depctr 0xfff
	v_fma_f32 v4, -v0, v3, 1.0
	v_fmac_f32_e32 v3, v4, v3
	v_div_scale_f32 v4, vcc_lo, v10, v11, v10
	s_waitcnt vmcnt(0)
	s_delay_alu instid0(VALU_DEP_1) | instskip(NEXT) | instid1(VALU_DEP_1)
	v_mul_f32_e32 v5, v4, v3
	v_fma_f32 v6, -v0, v5, v4
	s_delay_alu instid0(VALU_DEP_1) | instskip(NEXT) | instid1(VALU_DEP_1)
	v_fmac_f32_e32 v5, v6, v3
	v_fma_f32 v0, -v0, v5, v4
	s_delay_alu instid0(VALU_DEP_1) | instskip(NEXT) | instid1(VALU_DEP_1)
	v_div_fmas_f32 v0, v0, v3, v5
	v_div_fixup_f32 v0, v0, v11, v10
	global_store_b32 v[1:2], v0, off
.LBB64_24:
	s_nop 0
	s_sendmsg sendmsg(MSG_DEALLOC_VGPRS)
	s_endpgm
	.section	.rodata,"a",@progbits
	.p2align	6, 0x0
	.amdhsa_kernel _ZL33flash_attn_stream_k_fixup_generalILi40ELi8ELi1EEvPfPK15HIP_vector_typeIfLj2EEiiiiS1_IjLj3EES5_S5_S5_
		.amdhsa_group_segment_fixed_size 0
		.amdhsa_private_segment_fixed_size 0
		.amdhsa_kernarg_size 336
		.amdhsa_user_sgpr_count 13
		.amdhsa_user_sgpr_dispatch_ptr 0
		.amdhsa_user_sgpr_queue_ptr 0
		.amdhsa_user_sgpr_kernarg_segment_ptr 1
		.amdhsa_user_sgpr_dispatch_id 0
		.amdhsa_user_sgpr_private_segment_size 0
		.amdhsa_wavefront_size32 1
		.amdhsa_uses_dynamic_stack 0
		.amdhsa_enable_private_segment 0
		.amdhsa_system_sgpr_workgroup_id_x 1
		.amdhsa_system_sgpr_workgroup_id_y 1
		.amdhsa_system_sgpr_workgroup_id_z 1
		.amdhsa_system_sgpr_workgroup_info 0
		.amdhsa_system_vgpr_workitem_id 0
		.amdhsa_next_free_vgpr 19
		.amdhsa_next_free_sgpr 32
		.amdhsa_reserve_vcc 1
		.amdhsa_float_round_mode_32 0
		.amdhsa_float_round_mode_16_64 0
		.amdhsa_float_denorm_mode_32 3
		.amdhsa_float_denorm_mode_16_64 3
		.amdhsa_dx10_clamp 1
		.amdhsa_ieee_mode 1
		.amdhsa_fp16_overflow 0
		.amdhsa_workgroup_processor_mode 1
		.amdhsa_memory_ordered 1
		.amdhsa_forward_progress 0
		.amdhsa_shared_vgpr_count 0
		.amdhsa_exception_fp_ieee_invalid_op 0
		.amdhsa_exception_fp_denorm_src 0
		.amdhsa_exception_fp_ieee_div_zero 0
		.amdhsa_exception_fp_ieee_overflow 0
		.amdhsa_exception_fp_ieee_underflow 0
		.amdhsa_exception_fp_ieee_inexact 0
		.amdhsa_exception_int_div_zero 0
	.end_amdhsa_kernel
	.section	.text._ZL33flash_attn_stream_k_fixup_generalILi40ELi8ELi1EEvPfPK15HIP_vector_typeIfLj2EEiiiiS1_IjLj3EES5_S5_S5_,"axG",@progbits,_ZL33flash_attn_stream_k_fixup_generalILi40ELi8ELi1EEvPfPK15HIP_vector_typeIfLj2EEiiiiS1_IjLj3EES5_S5_S5_,comdat
.Lfunc_end64:
	.size	_ZL33flash_attn_stream_k_fixup_generalILi40ELi8ELi1EEvPfPK15HIP_vector_typeIfLj2EEiiiiS1_IjLj3EES5_S5_S5_, .Lfunc_end64-_ZL33flash_attn_stream_k_fixup_generalILi40ELi8ELi1EEvPfPK15HIP_vector_typeIfLj2EEiiiiS1_IjLj3EES5_S5_S5_
                                        ; -- End function
	.section	.AMDGPU.csdata,"",@progbits
; Kernel info:
; codeLenInByte = 3216
; NumSgprs: 34
; NumVgprs: 19
; ScratchSize: 0
; MemoryBound: 0
; FloatMode: 240
; IeeeMode: 1
; LDSByteSize: 0 bytes/workgroup (compile time only)
; SGPRBlocks: 4
; VGPRBlocks: 2
; NumSGPRsForWavesPerEU: 34
; NumVGPRsForWavesPerEU: 19
; Occupancy: 16
; WaveLimiterHint : 0
; COMPUTE_PGM_RSRC2:SCRATCH_EN: 0
; COMPUTE_PGM_RSRC2:USER_SGPR: 13
; COMPUTE_PGM_RSRC2:TRAP_HANDLER: 0
; COMPUTE_PGM_RSRC2:TGID_X_EN: 1
; COMPUTE_PGM_RSRC2:TGID_Y_EN: 1
; COMPUTE_PGM_RSRC2:TGID_Z_EN: 1
; COMPUTE_PGM_RSRC2:TIDIG_COMP_CNT: 0
	.section	.text._ZL15flash_attn_tileILi40ELi40ELi4ELi1ELb0EEvPKcS1_S1_S1_S1_PKiPfP15HIP_vector_typeIfLj2EEffffjfiS5_IjLj3EEiiiiiiiiiiiliiliiiiil,"axG",@progbits,_ZL15flash_attn_tileILi40ELi40ELi4ELi1ELb0EEvPKcS1_S1_S1_S1_PKiPfP15HIP_vector_typeIfLj2EEffffjfiS5_IjLj3EEiiiiiiiiiiiliiliiiiil,comdat
	.globl	_ZL15flash_attn_tileILi40ELi40ELi4ELi1ELb0EEvPKcS1_S1_S1_S1_PKiPfP15HIP_vector_typeIfLj2EEffffjfiS5_IjLj3EEiiiiiiiiiiiliiliiiiil ; -- Begin function _ZL15flash_attn_tileILi40ELi40ELi4ELi1ELb0EEvPKcS1_S1_S1_S1_PKiPfP15HIP_vector_typeIfLj2EEffffjfiS5_IjLj3EEiiiiiiiiiiiliiliiiiil
	.p2align	8
	.type	_ZL15flash_attn_tileILi40ELi40ELi4ELi1ELb0EEvPKcS1_S1_S1_S1_PKiPfP15HIP_vector_typeIfLj2EEffffjfiS5_IjLj3EEiiiiiiiiiiiliiliiiiil,@function
_ZL15flash_attn_tileILi40ELi40ELi4ELi1ELb0EEvPKcS1_S1_S1_S1_PKiPfP15HIP_vector_typeIfLj2EEffffjfiS5_IjLj3EEiiiiiiiiiiiliiliiiiil: ; @_ZL15flash_attn_tileILi40ELi40ELi4ELi1ELb0EEvPKcS1_S1_S1_S1_PKiPfP15HIP_vector_typeIfLj2EEffffjfiS5_IjLj3EEiiiiiiiiiiiliiliiiiil
; %bb.0:
	s_clause 0x1
	s_load_b128 s[8:11], s[2:3], 0x5c
	s_load_b64 s[42:43], s[2:3], 0x80
	s_mov_b64 s[40:41], 0
	s_waitcnt lgkmcnt(0)
	v_cvt_f32_u32_e32 v1, s11
	s_sub_i32 s5, 0, s11
	s_delay_alu instid0(VALU_DEP_1) | instskip(SKIP_2) | instid1(VALU_DEP_1)
	v_rcp_iflag_f32_e32 v1, v1
	s_waitcnt_depctr 0xfff
	v_mul_f32_e32 v1, 0x4f7ffffe, v1
	v_cvt_u32_f32_e32 v1, v1
	s_delay_alu instid0(VALU_DEP_1) | instskip(NEXT) | instid1(VALU_DEP_1)
	v_readfirstlane_b32 s4, v1
	s_mul_i32 s5, s5, s4
	s_delay_alu instid0(SALU_CYCLE_1) | instskip(NEXT) | instid1(SALU_CYCLE_1)
	s_mul_hi_u32 s5, s4, s5
	s_add_i32 s4, s4, s5
	s_delay_alu instid0(SALU_CYCLE_1) | instskip(NEXT) | instid1(SALU_CYCLE_1)
	s_mul_hi_u32 s4, s15, s4
	s_mul_i32 s5, s4, s11
	s_add_i32 s6, s4, 1
	s_sub_i32 s5, s15, s5
	s_delay_alu instid0(SALU_CYCLE_1)
	s_sub_i32 s7, s5, s11
	s_cmp_ge_u32 s5, s11
	s_cselect_b32 s4, s6, s4
	s_cselect_b32 s5, s7, s5
	s_add_i32 s6, s4, 1
	s_cmp_ge_u32 s5, s11
	s_cselect_b32 s12, s6, s4
	s_abs_i32 s4, s43
	s_abs_i32 s16, s11
	v_cvt_f32_u32_e32 v1, s4
	s_sub_i32 s6, 0, s4
	s_xor_b32 s7, s11, s43
	s_delay_alu instid0(SALU_CYCLE_1) | instskip(NEXT) | instid1(VALU_DEP_1)
	s_ashr_i32 s7, s7, 31
	v_rcp_iflag_f32_e32 v1, v1
	s_waitcnt_depctr 0xfff
	v_mul_f32_e32 v1, 0x4f7ffffe, v1
	s_delay_alu instid0(VALU_DEP_1) | instskip(NEXT) | instid1(VALU_DEP_1)
	v_cvt_u32_f32_e32 v1, v1
	v_readfirstlane_b32 s5, v1
	s_delay_alu instid0(VALU_DEP_1) | instskip(NEXT) | instid1(SALU_CYCLE_1)
	s_mul_i32 s6, s6, s5
	s_mul_hi_u32 s6, s5, s6
	s_delay_alu instid0(SALU_CYCLE_1)
	s_add_i32 s5, s5, s6
	s_mul_i32 s6, s12, s11
	s_mul_hi_u32 s5, s16, s5
	s_sub_i32 s34, s15, s6
	s_mul_i32 s17, s5, s4
	s_add_i32 s15, s5, 1
	s_sub_i32 s6, s16, s17
	s_delay_alu instid0(SALU_CYCLE_1)
	s_sub_i32 s16, s6, s4
	s_cmp_ge_u32 s6, s4
	s_cselect_b32 s5, s15, s5
	s_cselect_b32 s6, s16, s6
	s_add_i32 s15, s5, 1
	s_cmp_ge_u32 s6, s4
	s_cselect_b32 s4, s15, s5
	s_delay_alu instid0(SALU_CYCLE_1) | instskip(NEXT) | instid1(SALU_CYCLE_1)
	s_xor_b32 s4, s4, s7
	s_sub_i32 s43, s4, s7
	s_clause 0x1
	s_load_b512 s[16:31], s[2:3], 0x0
	s_load_b64 s[6:7], s[2:3], 0xb8
	s_abs_i32 s15, s43
	s_delay_alu instid0(SALU_CYCLE_1) | instskip(SKIP_1) | instid1(VALU_DEP_1)
	v_cvt_f32_u32_e32 v1, s15
	s_sub_i32 s5, 0, s15
	v_rcp_iflag_f32_e32 v1, v1
	s_waitcnt_depctr 0xfff
	v_mul_f32_e32 v1, 0x4f7ffffe, v1
	s_waitcnt lgkmcnt(0)
	s_cmp_eq_u64 s[22:23], 0
	s_delay_alu instid0(VALU_DEP_1) | instskip(NEXT) | instid1(VALU_DEP_1)
	v_cvt_u32_f32_e32 v1, v1
	v_readfirstlane_b32 s4, v1
	s_delay_alu instid0(VALU_DEP_1) | instskip(NEXT) | instid1(SALU_CYCLE_1)
	s_mul_i32 s5, s5, s4
	s_mul_hi_u32 s5, s4, s5
	s_cbranch_scc1 .LBB65_2
; %bb.1:
	s_abs_i32 s6, s6
	s_abs_i32 s38, s12
	v_cvt_f32_u32_e32 v1, s6
	s_sub_i32 s35, 0, s6
	s_load_b64 s[36:37], s[2:3], 0xc8
	s_delay_alu instid0(VALU_DEP_1) | instskip(SKIP_2) | instid1(VALU_DEP_1)
	v_rcp_iflag_f32_e32 v1, v1
	s_waitcnt_depctr 0xfff
	v_mul_f32_e32 v1, 0x4f7ffffe, v1
	v_cvt_u32_f32_e32 v1, v1
	s_delay_alu instid0(VALU_DEP_1) | instskip(NEXT) | instid1(VALU_DEP_1)
	v_readfirstlane_b32 s33, v1
	s_mul_i32 s35, s35, s33
	s_delay_alu instid0(SALU_CYCLE_1) | instskip(NEXT) | instid1(SALU_CYCLE_1)
	s_mul_hi_u32 s35, s33, s35
	s_add_i32 s33, s33, s35
	s_ashr_i32 s35, s12, 31
	s_mul_hi_u32 s33, s38, s33
	s_delay_alu instid0(SALU_CYCLE_1) | instskip(NEXT) | instid1(SALU_CYCLE_1)
	s_mul_i32 s33, s33, s6
	s_sub_i32 s33, s38, s33
	s_delay_alu instid0(SALU_CYCLE_1) | instskip(SKIP_2) | instid1(SALU_CYCLE_1)
	s_sub_i32 s38, s33, s6
	s_cmp_ge_u32 s33, s6
	s_cselect_b32 s33, s38, s33
	s_sub_i32 s38, s33, s6
	s_cmp_ge_u32 s33, s6
	s_cselect_b32 s6, s38, s33
	s_delay_alu instid0(SALU_CYCLE_1) | instskip(NEXT) | instid1(SALU_CYCLE_1)
	s_xor_b32 s6, s6, s35
	s_sub_i32 s6, s6, s35
	s_waitcnt lgkmcnt(0)
	s_mul_i32 s33, s6, s37
	s_mul_hi_u32 s35, s6, s36
	s_ashr_i32 s37, s6, 31
	s_add_i32 s33, s35, s33
	s_mul_i32 s37, s37, s36
	s_mul_i32 s6, s6, s36
	s_add_i32 s33, s33, s37
	s_add_u32 s40, s22, s6
	s_addc_u32 s41, s23, s33
.LBB65_2:
	s_clause 0x1
	s_load_b128 s[36:39], s[2:3], 0x40
	s_load_b32 s6, s[2:3], 0x50
	v_mov_b32_e32 v17, 1.0
	s_abs_i32 s33, s34
	s_waitcnt lgkmcnt(0)
	v_cmp_le_f32_e64 s22, s37, 0
	s_delay_alu instid0(VALU_DEP_1)
	s_and_b32 vcc_lo, exec_lo, s22
	s_add_i32 s22, s4, s5
	s_cbranch_vccnz .LBB65_4
; %bb.3:
	s_sub_i32 s4, s34, s6
	s_add_i32 s5, s34, 1
	s_lshl_b32 s4, s4, 1
	v_mov_b32_e32 v1, s38
	s_or_b32 s4, s4, 1
	s_cmp_lt_u32 s34, s6
	s_cselect_b32 vcc_lo, -1, 0
	s_delay_alu instid0(VALU_DEP_1)
	v_cndmask_b32_e32 v3, s39, v1, vcc_lo
	s_and_b32 s6, vcc_lo, exec_lo
	s_cselect_b32 s4, s5, s4
	s_mov_b32 s5, 0x3e76c4e1
	v_cvt_f32_i32_e32 v1, s4
	v_cmp_neq_f32_e32 vcc_lo, 1.0, v3
	s_delay_alu instid0(VALU_DEP_2) | instskip(NEXT) | instid1(VALU_DEP_1)
	v_cndmask_b32_e32 v4, 1.0, v1, vcc_lo
	v_cmp_eq_f32_e32 vcc_lo, 0, v4
	v_cndmask_b32_e64 v5, |v3|, 1.0, vcc_lo
	s_delay_alu instid0(VALU_DEP_1) | instskip(NEXT) | instid1(VALU_DEP_1)
	v_frexp_mant_f32_e32 v1, v5
	v_cmp_gt_f32_e64 s4, 0x3f2aaaab, v1
	s_delay_alu instid0(VALU_DEP_1) | instskip(NEXT) | instid1(VALU_DEP_1)
	v_cndmask_b32_e64 v2, 1.0, 2.0, s4
	v_mul_f32_e32 v1, v1, v2
	s_delay_alu instid0(VALU_DEP_1) | instskip(SKIP_1) | instid1(VALU_DEP_2)
	v_add_f32_e32 v2, 1.0, v1
	v_add_f32_e32 v7, -1.0, v1
	v_rcp_f32_e32 v6, v2
	s_waitcnt_depctr 0xfff
	v_mul_f32_e32 v8, v7, v6
	s_delay_alu instid0(VALU_DEP_1) | instskip(NEXT) | instid1(VALU_DEP_1)
	v_dual_add_f32 v9, -1.0, v2 :: v_dual_mul_f32 v10, v2, v8
	v_sub_f32_e32 v1, v1, v9
	v_cndmask_b32_e64 v3, v3, 1.0, vcc_lo
	s_delay_alu instid0(VALU_DEP_3) | instskip(NEXT) | instid1(VALU_DEP_2)
	v_fma_f32 v2, v8, v2, -v10
	v_cmp_eq_f32_e64 s6, 0, v3
	s_delay_alu instid0(VALU_DEP_2) | instskip(NEXT) | instid1(VALU_DEP_1)
	v_fmac_f32_e32 v2, v8, v1
	v_add_f32_e32 v1, v10, v2
	s_delay_alu instid0(VALU_DEP_1) | instskip(NEXT) | instid1(VALU_DEP_1)
	v_dual_sub_f32 v10, v1, v10 :: v_dual_sub_f32 v9, v7, v1
	v_dual_sub_f32 v2, v10, v2 :: v_dual_sub_f32 v7, v7, v9
	s_delay_alu instid0(VALU_DEP_1) | instskip(NEXT) | instid1(VALU_DEP_1)
	v_sub_f32_e32 v1, v7, v1
	v_add_f32_e32 v1, v2, v1
	s_delay_alu instid0(VALU_DEP_1) | instskip(NEXT) | instid1(VALU_DEP_1)
	v_add_f32_e32 v1, v9, v1
	v_mul_f32_e32 v1, v6, v1
	s_delay_alu instid0(VALU_DEP_1) | instskip(NEXT) | instid1(VALU_DEP_1)
	v_add_f32_e32 v6, v8, v1
	v_sub_f32_e32 v2, v6, v8
	v_mul_f32_e32 v7, v6, v6
	s_delay_alu instid0(VALU_DEP_2) | instskip(NEXT) | instid1(VALU_DEP_2)
	v_sub_f32_e32 v8, v1, v2
	v_fma_f32 v9, v6, v6, -v7
	s_delay_alu instid0(VALU_DEP_2) | instskip(NEXT) | instid1(VALU_DEP_1)
	v_add_f32_e32 v1, v8, v8
	v_fmac_f32_e32 v9, v6, v1
	v_cvt_f64_f32_e32 v[1:2], v5
	s_delay_alu instid0(VALU_DEP_2) | instskip(NEXT) | instid1(VALU_DEP_1)
	v_add_f32_e32 v10, v7, v9
	v_fmaak_f32 v11, s5, v10, 0x3e91f4c4
	v_sub_f32_e32 v7, v10, v7
	v_mul_f32_e32 v14, v6, v10
	s_delay_alu instid0(VALU_DEP_3) | instskip(NEXT) | instid1(VALU_DEP_3)
	v_fmaak_f32 v11, v10, v11, 0x3ecccdef
	v_sub_f32_e32 v7, v9, v7
	s_delay_alu instid0(VALU_DEP_2) | instskip(NEXT) | instid1(VALU_DEP_1)
	v_mul_f32_e32 v12, v10, v11
	v_fma_f32 v9, v10, v11, -v12
	s_delay_alu instid0(VALU_DEP_1) | instskip(NEXT) | instid1(VALU_DEP_1)
	v_fmac_f32_e32 v9, v7, v11
	v_add_f32_e32 v11, v12, v9
	v_frexp_exp_i32_f64_e32 v1, v[1:2]
	s_delay_alu instid0(VALU_DEP_2) | instskip(NEXT) | instid1(VALU_DEP_1)
	v_sub_f32_e32 v12, v11, v12
	v_sub_f32_e32 v2, v9, v12
	v_fma_f32 v12, v10, v6, -v14
	s_delay_alu instid0(VALU_DEP_2) | instskip(NEXT) | instid1(VALU_DEP_2)
	v_add_f32_e32 v2, 0x31739010, v2
	v_dual_add_f32 v13, 0x3f2aaaaa, v11 :: v_dual_fmac_f32 v12, v10, v8
	v_ldexp_f32 v8, v8, 1
	s_delay_alu instid0(VALU_DEP_2) | instskip(NEXT) | instid1(VALU_DEP_1)
	v_dual_add_f32 v9, 0xbf2aaaaa, v13 :: v_dual_fmac_f32 v12, v7, v6
	v_sub_f32_e32 v9, v11, v9
	s_delay_alu instid0(VALU_DEP_1) | instskip(NEXT) | instid1(VALU_DEP_3)
	v_add_f32_e32 v2, v2, v9
	v_add_f32_e32 v9, v14, v12
	s_delay_alu instid0(VALU_DEP_2) | instskip(NEXT) | instid1(VALU_DEP_1)
	v_add_f32_e32 v7, v13, v2
	v_sub_f32_e32 v10, v13, v7
	s_delay_alu instid0(VALU_DEP_3) | instskip(SKIP_2) | instid1(VALU_DEP_4)
	v_mul_f32_e32 v11, v9, v7
	v_sub_f32_e32 v13, v9, v14
	v_subrev_co_ci_u32_e64 v1, s4, 0, v1, s4
	v_add_f32_e32 v2, v2, v10
	s_delay_alu instid0(VALU_DEP_4) | instskip(NEXT) | instid1(VALU_DEP_4)
	v_fma_f32 v10, v9, v7, -v11
	v_sub_f32_e32 v12, v12, v13
	s_delay_alu instid0(VALU_DEP_4) | instskip(NEXT) | instid1(VALU_DEP_3)
	v_cvt_f32_i32_e32 v1, v1
	v_fmac_f32_e32 v10, v9, v2
	v_ldexp_f32 v2, v6, 1
	s_delay_alu instid0(VALU_DEP_2) | instskip(NEXT) | instid1(VALU_DEP_1)
	v_fmac_f32_e32 v10, v12, v7
	v_add_f32_e32 v6, v11, v10
	s_delay_alu instid0(VALU_DEP_1) | instskip(NEXT) | instid1(VALU_DEP_1)
	v_add_f32_e32 v7, v2, v6
	v_dual_sub_f32 v2, v7, v2 :: v_dual_sub_f32 v9, v6, v11
	s_delay_alu instid0(VALU_DEP_1) | instskip(NEXT) | instid1(VALU_DEP_2)
	v_sub_f32_e32 v2, v6, v2
	v_sub_f32_e32 v9, v10, v9
	s_delay_alu instid0(VALU_DEP_1) | instskip(NEXT) | instid1(VALU_DEP_1)
	v_add_f32_e32 v6, v8, v9
	v_dual_mul_f32 v11, 0x3f317218, v1 :: v_dual_add_f32 v2, v6, v2
	s_delay_alu instid0(VALU_DEP_1) | instskip(NEXT) | instid1(VALU_DEP_2)
	v_fma_f32 v10, 0x3f317218, v1, -v11
	v_add_f32_e32 v8, v7, v2
	s_delay_alu instid0(VALU_DEP_1) | instskip(NEXT) | instid1(VALU_DEP_1)
	v_sub_f32_e32 v7, v8, v7
	v_dual_fmamk_f32 v1, v1, 0xb102e308, v10 :: v_dual_sub_f32 v2, v2, v7
	s_delay_alu instid0(VALU_DEP_1) | instskip(NEXT) | instid1(VALU_DEP_1)
	v_add_f32_e32 v6, v11, v1
	v_add_f32_e32 v9, v6, v8
	s_delay_alu instid0(VALU_DEP_1) | instskip(NEXT) | instid1(VALU_DEP_1)
	v_dual_sub_f32 v11, v6, v11 :: v_dual_sub_f32 v10, v9, v6
	v_sub_f32_e32 v12, v9, v10
	s_delay_alu instid0(VALU_DEP_2) | instskip(NEXT) | instid1(VALU_DEP_2)
	v_sub_f32_e32 v1, v1, v11
	v_dual_sub_f32 v7, v8, v10 :: v_dual_sub_f32 v6, v6, v12
	s_delay_alu instid0(VALU_DEP_2) | instskip(NEXT) | instid1(VALU_DEP_2)
	v_add_f32_e32 v8, v1, v2
	v_add_f32_e32 v6, v7, v6
	s_delay_alu instid0(VALU_DEP_1) | instskip(NEXT) | instid1(VALU_DEP_1)
	v_add_f32_e32 v6, v8, v6
	v_dual_sub_f32 v7, v8, v1 :: v_dual_add_f32 v10, v9, v6
	s_delay_alu instid0(VALU_DEP_1) | instskip(SKIP_1) | instid1(VALU_DEP_3)
	v_sub_f32_e32 v8, v8, v7
	v_sub_f32_e32 v2, v2, v7
	;; [unrolled: 1-line block ×3, first 2 shown]
	s_delay_alu instid0(VALU_DEP_3) | instskip(NEXT) | instid1(VALU_DEP_1)
	v_sub_f32_e32 v1, v1, v8
	v_add_f32_e32 v1, v2, v1
	s_delay_alu instid0(VALU_DEP_3) | instskip(NEXT) | instid1(VALU_DEP_1)
	v_sub_f32_e32 v2, v6, v7
	v_add_f32_e32 v1, v1, v2
	s_delay_alu instid0(VALU_DEP_1) | instskip(NEXT) | instid1(VALU_DEP_1)
	v_add_f32_e32 v2, v10, v1
	v_mul_f32_e32 v7, v4, v2
	v_sub_f32_e32 v6, v2, v10
	s_delay_alu instid0(VALU_DEP_2) | instskip(NEXT) | instid1(VALU_DEP_2)
	v_fma_f32 v2, v4, v2, -v7
	v_sub_f32_e32 v1, v1, v6
	v_cmp_class_f32_e64 s4, v7, 0x204
	s_delay_alu instid0(VALU_DEP_2) | instskip(NEXT) | instid1(VALU_DEP_1)
	v_fmac_f32_e32 v2, v4, v1
	v_add_f32_e32 v1, v7, v2
	s_delay_alu instid0(VALU_DEP_1) | instskip(NEXT) | instid1(VALU_DEP_1)
	v_cndmask_b32_e64 v6, v1, v7, s4
	v_cmp_eq_f32_e64 s4, 0x42b17218, v6
	s_delay_alu instid0(VALU_DEP_1) | instskip(SKIP_1) | instid1(VALU_DEP_2)
	v_cndmask_b32_e64 v8, 0, 0x37000000, s4
	v_cmp_neq_f32_e64 s4, 0x7f800000, |v6|
	v_sub_f32_e32 v9, v6, v8
	v_trunc_f32_e32 v6, v4
	s_delay_alu instid0(VALU_DEP_2) | instskip(NEXT) | instid1(VALU_DEP_1)
	v_mul_f32_e32 v10, 0x3fb8aa3b, v9
	v_fma_f32 v11, 0x3fb8aa3b, v9, -v10
	v_rndne_f32_e32 v12, v10
	s_delay_alu instid0(VALU_DEP_1) | instskip(NEXT) | instid1(VALU_DEP_1)
	v_dual_fmamk_f32 v11, v9, 0x32a5705f, v11 :: v_dual_sub_f32 v10, v10, v12
	v_add_f32_e32 v10, v10, v11
	v_sub_f32_e32 v1, v1, v7
	v_cvt_i32_f32_e32 v7, v12
	s_delay_alu instid0(VALU_DEP_3) | instskip(NEXT) | instid1(VALU_DEP_2)
	v_exp_f32_e32 v10, v10
	v_sub_f32_e32 v1, v2, v1
	s_delay_alu instid0(VALU_DEP_1)
	v_cndmask_b32_e64 v1, 0, v1, s4
	v_cmp_ngt_f32_e64 s4, 0xc2ce8ed0, v9
	s_waitcnt_depctr 0xfff
	v_ldexp_f32 v2, v10, v7
	v_mul_f32_e32 v7, 0.5, v4
	v_add_f32_e32 v1, v8, v1
	s_delay_alu instid0(VALU_DEP_3) | instskip(NEXT) | instid1(VALU_DEP_3)
	v_cndmask_b32_e64 v2, 0, v2, s4
	v_trunc_f32_e32 v10, v7
	v_cmp_nlt_f32_e64 s4, 0x42b17218, v9
	s_delay_alu instid0(VALU_DEP_2) | instskip(NEXT) | instid1(VALU_DEP_2)
	v_cmp_neq_f32_e64 s5, v10, v7
	v_cndmask_b32_e64 v2, 0x7f800000, v2, s4
	v_cmp_eq_f32_e64 s4, v6, v4
	s_delay_alu instid0(VALU_DEP_2) | instskip(NEXT) | instid1(VALU_DEP_2)
	v_fma_f32 v1, v2, v1, v2
	s_and_b32 vcc_lo, s4, s5
	v_cmp_class_f32_e64 s5, v2, 0x204
	v_cndmask_b32_e32 v6, 1.0, v3, vcc_lo
	s_delay_alu instid0(VALU_DEP_2) | instskip(SKIP_1) | instid1(VALU_DEP_2)
	v_cndmask_b32_e64 v1, v1, v2, s5
	v_cmp_gt_f32_e64 s5, 0, v4
	v_bfi_b32 v1, 0x7fffffff, v1, v6
	v_cndmask_b32_e32 v6, 0, v3, vcc_lo
	s_delay_alu instid0(VALU_DEP_3)
	s_xor_b32 s5, s5, s6
	v_cmp_eq_f32_e32 vcc_lo, 0x7f800000, v5
	v_cndmask_b32_e64 v2, 0x7f800000, 0, s5
	v_cndmask_b32_e64 v4, 0x7fc00000, v1, s4
	v_cmp_gt_f32_e64 s4, 0, v3
	s_or_b32 vcc_lo, vcc_lo, s6
	s_delay_alu instid0(VALU_DEP_3) | instskip(NEXT) | instid1(VALU_DEP_2)
	v_bfi_b32 v2, 0x7fffffff, v2, v6
	v_cndmask_b32_e64 v1, v1, v4, s4
	s_delay_alu instid0(VALU_DEP_1) | instskip(SKIP_1) | instid1(VALU_DEP_2)
	v_cndmask_b32_e32 v1, v1, v2, vcc_lo
	v_cmp_o_f32_e32 vcc_lo, v3, v3
	v_cndmask_b32_e32 v17, 0x7fc00000, v1, vcc_lo
.LBB65_4:
	v_and_b32_e32 v4, 0x3ff, v0
	v_bfe_u32 v16, v0, 10, 10
	s_lshl_b32 s5, s13, 2
	s_delay_alu instid0(VALU_DEP_2) | instskip(NEXT) | instid1(VALU_DEP_2)
	v_cmp_gt_u32_e64 s4, 20, v4
	v_add_nc_u32_e32 v5, s5, v16
	s_mul_hi_u32 s5, s33, s22
	s_delay_alu instid0(VALU_DEP_2)
	s_and_saveexec_b32 s6, s4
	s_cbranch_execz .LBB65_6
; %bb.5:
	s_load_b128 s[44:47], s[2:3], 0x70
	v_mul_hi_u32 v1, s8, v5
	s_delay_alu instid0(VALU_DEP_1) | instskip(NEXT) | instid1(VALU_DEP_1)
	v_add_nc_u32_e32 v1, v5, v1
	v_lshrrev_b32_e32 v1, s9, v1
	s_delay_alu instid0(VALU_DEP_1)
	v_mul_lo_u32 v1, v1, s10
	s_waitcnt lgkmcnt(0)
	s_mul_i32 s22, s12, s46
	s_mul_i32 s23, s34, s45
	s_ashr_i32 s35, s22, 31
	s_add_u32 s16, s16, s22
	s_addc_u32 s17, s17, s35
	s_ashr_i32 s22, s23, 31
	s_add_u32 s16, s16, s23
	s_addc_u32 s17, s17, s22
	s_ashr_i32 s22, s44, 31
	v_sub_nc_u32_e32 v3, v5, v1
	v_alignbit_b32 v6, s22, s44, 2
	s_lshr_b32 s22, s22, 2
	s_delay_alu instid0(VALU_DEP_1) | instskip(NEXT) | instid1(VALU_DEP_1)
	v_mad_u64_u32 v[1:2], null, v6, v3, 0
	v_mad_u64_u32 v[6:7], null, s22, v3, v[2:3]
	s_delay_alu instid0(VALU_DEP_1) | instskip(NEXT) | instid1(VALU_DEP_1)
	v_dual_mov_b32 v2, v6 :: v_dual_lshlrev_b32 v3, 3, v4
	v_lshlrev_b64 v[1:2], 2, v[1:2]
	s_delay_alu instid0(VALU_DEP_1) | instskip(NEXT) | instid1(VALU_DEP_2)
	v_add_co_u32 v1, vcc_lo, s16, v1
	v_add_co_ci_u32_e32 v2, vcc_lo, s17, v2, vcc_lo
	s_delay_alu instid0(VALU_DEP_2) | instskip(NEXT) | instid1(VALU_DEP_2)
	v_add_co_u32 v1, vcc_lo, v1, v3
	v_add_co_ci_u32_e32 v2, vcc_lo, 0, v2, vcc_lo
	v_mul_u32_u24_e32 v3, 20, v16
	global_load_b64 v[1:2], v[1:2], off
	s_waitcnt vmcnt(0)
	v_fma_mixlo_f16 v1, v1, s36, 0
	s_delay_alu instid0(VALU_DEP_1)
	v_fma_mixhi_f16 v1, v2, s36, 0
	v_add_lshl_u32 v2, v3, v4, 2
	ds_store_b32 v2, v1 offset:3168
.LBB65_6:
	s_or_b32 exec_lo, exec_lo, s6
	s_ashr_i32 s35, s34, 31
	s_ashr_i32 s6, s43, 31
	s_cmp_eq_u64 s[26:27], 0
	s_waitcnt lgkmcnt(0)
	s_barrier
	buffer_gl0_inv
	s_cbranch_scc1 .LBB65_8
; %bb.7:
	s_load_b32 s16, s[2:3], 0xd0
	s_mov_b32 s17, 0
	s_waitcnt lgkmcnt(0)
	s_mul_i32 s16, s16, s12
	s_delay_alu instid0(SALU_CYCLE_1) | instskip(NEXT) | instid1(SALU_CYCLE_1)
	s_add_i32 s16, s16, s13
	s_lshl_b64 s[16:17], s[16:17], 2
	s_delay_alu instid0(SALU_CYCLE_1)
	s_add_u32 s16, s26, s16
	s_addc_u32 s17, s27, s17
	s_load_b32 s42, s[16:17], 0x0
.LBB65_8:
	s_clause 0x2
	s_load_b64 s[16:17], s[2:3], 0x8c
	s_load_b128 s[36:39], s[2:3], 0x98
	s_load_b64 s[26:27], s[2:3], 0xa8
	s_ashr_i32 s22, s7, 1
	s_ashr_i32 s7, s12, 31
	s_mul_i32 s43, s5, s15
	v_lshrrev_b32_e32 v3, 2, v4
	v_lshlrev_b32_e32 v13, 2, v4
	v_mul_u32_u24_e32 v19, 0x60, v4
	v_mul_u32_u24_e32 v20, 0x50, v16
	v_mbcnt_lo_u32_b32 v15, -1, 0
	s_waitcnt lgkmcnt(0)
	s_ashr_i32 s23, s16, 2
	s_mul_i32 s16, s12, s37
	s_mul_hi_u32 s37, s12, s36
	s_ashr_i32 s13, s38, 2
	s_mul_i32 s38, s7, s36
	s_add_i32 s16, s37, s16
	s_mul_i32 s36, s12, s36
	s_add_i32 s16, s16, s38
	s_add_u32 s18, s18, s36
	s_addc_u32 s16, s19, s16
	s_sub_i32 s19, s33, s43
	s_xor_b32 s6, s35, s6
	s_add_i32 s33, s5, 1
	s_sub_i32 s36, s19, s15
	s_cmp_ge_u32 s19, s15
	s_mul_i32 s7, s7, s26
	s_cselect_b32 s5, s33, s5
	s_cselect_b32 s19, s36, s19
	s_add_i32 s33, s5, 1
	s_cmp_ge_u32 s19, s15
	s_mul_i32 s15, s12, s27
	s_cselect_b32 s5, s33, s5
	s_mul_hi_u32 s27, s12, s26
	s_xor_b32 s5, s5, s6
	s_delay_alu instid0(SALU_CYCLE_1) | instskip(NEXT) | instid1(SALU_CYCLE_1)
	s_sub_i32 s5, s5, s6
	s_mul_i32 s6, s5, s17
	s_mul_i32 s17, s12, s26
	s_ashr_i32 s19, s6, 31
	s_add_u32 s18, s18, s6
	s_addc_u32 s19, s16, s19
	s_add_i32 s6, s27, s15
	s_mul_i32 s5, s5, s39
	s_add_i32 s6, s6, s7
	s_add_u32 s7, s20, s17
	s_addc_u32 s6, s21, s6
	s_ashr_i32 s16, s5, 31
	s_add_u32 s15, s7, s5
	s_addc_u32 s16, s6, s16
	s_lshl_b32 s17, s14, 5
	s_sub_i32 s20, s42, 32
	s_delay_alu instid0(SALU_CYCLE_1)
	s_cmp_ge_i32 s17, s20
	s_cbranch_scc1 .LBB65_19
; %bb.9:
	v_mul_hi_u32 v1, s8, v5
	v_lshl_add_u32 v2, v16, 5, v4
	v_lshl_add_u32 v7, v16, 3, v3
	v_dual_mov_b32 v31, 0xfeffffff :: v_dual_and_b32 v12, 12, v13
	v_mov_b32_e32 v14, 0
	s_delay_alu instid0(VALU_DEP_4) | instskip(NEXT) | instid1(VALU_DEP_4)
	v_mul_lo_u32 v10, s13, v2
	v_mul_lo_u32 v6, s23, v7
	s_delay_alu instid0(VALU_DEP_4)
	v_lshlrev_b32_e32 v9, 2, v12
	v_add_nc_u32_e32 v8, v5, v1
	v_mul_lo_u32 v1, s23, v2
	v_mul_lo_u32 v29, s13, v7
	v_mad_u32_u24 v23, 0x60, v2, 64
	v_lshlrev_b32_e32 v11, 4, v2
	v_lshrrev_b32_e32 v8, s9, v8
	v_cmp_gt_u32_e64 s5, 32, v2
	v_mad_u32_u24 v25, 0x60, v7, v9
	v_mad_u32_u24 v27, 0x50, v7, v9
	v_sub_nc_u32_e32 v26, v23, v11
	v_mul_lo_u32 v8, v8, s10
	v_ashrrev_i32_e32 v2, 31, v1
	v_ashrrev_i32_e32 v7, 31, v6
	;; [unrolled: 1-line block ×4, first 2 shown]
	v_lshl_add_u32 v22, v16, 6, 0xda0
	v_lshlrev_b64 v[1:2], 2, v[1:2]
	v_lshlrev_b64 v[6:7], 2, v[6:7]
	v_sub_nc_u32_e32 v18, v5, v8
	v_lshlrev_b32_e32 v28, 2, v12
	s_cmp_lg_u64 s[40:41], 0
	v_lshl_add_u32 v24, v4, 1, v22
	s_cselect_b32 s21, -1, 0
	v_mad_u64_u32 v[8:9], null, v18, s22, v[4:5]
	v_lshlrev_b64 v[9:10], 2, v[10:11]
	v_lshlrev_b64 v[11:12], 2, v[29:30]
	v_mov_b32_e32 v30, 0
	v_mbcnt_lo_u32_b32 v29, -1, 0
	s_add_u32 s6, s2, 0xd0
	s_addc_u32 s7, s3, 0
.LBB65_10:                              ; =>This Inner Loop Header: Depth=1
	s_mul_hi_i32 s27, s17, s23
	s_mul_i32 s26, s17, s23
	s_delay_alu instid0(SALU_CYCLE_1) | instskip(NEXT) | instid1(SALU_CYCLE_1)
	s_lshl_b64 s[26:27], s[26:27], 2
	s_add_u32 s26, s18, s26
	s_addc_u32 s27, s19, s27
	s_and_saveexec_b32 s33, s5
	s_cbranch_execz .LBB65_12
; %bb.11:                               ;   in Loop: Header=BB65_10 Depth=1
	v_add_co_u32 v32, vcc_lo, s26, v1
	v_add_co_ci_u32_e32 v33, vcc_lo, s27, v2, vcc_lo
	global_load_b128 v[32:35], v[32:33], off offset:64
	s_waitcnt vmcnt(0)
	ds_store_b128 v23, v[32:35]
.LBB65_12:                              ;   in Loop: Header=BB65_10 Depth=1
	s_or_b32 exec_lo, exec_lo, s33
	v_add_co_u32 v18, vcc_lo, s26, v6
	v_add_co_ci_u32_e32 v21, vcc_lo, s27, v7, vcc_lo
	s_delay_alu instid0(VALU_DEP_2) | instskip(NEXT) | instid1(VALU_DEP_2)
	v_add_co_u32 v32, vcc_lo, v18, v28
	v_add_co_ci_u32_e32 v33, vcc_lo, 0, v21, vcc_lo
	v_mov_b32_e32 v18, 0
	s_and_not1_b32 vcc_lo, exec_lo, s21
	global_load_b128 v[32:35], v[32:33], off
	s_waitcnt vmcnt(0)
	ds_store_b128 v25, v[32:35]
	s_waitcnt lgkmcnt(0)
	s_barrier
	buffer_gl0_inv
	ds_load_b128 v[32:35], v19
	ds_load_b128 v[36:39], v20 offset:3168
	s_waitcnt lgkmcnt(0)
	;;#ASMSTART
	v_dot2_f32_f16 v18, v32, v36, v18
	;;#ASMEND
	;;#ASMSTART
	v_dot2_f32_f16 v18, v33, v37, v18
	;;#ASMEND
	;;#ASMSTART
	v_dot2_f32_f16 v18, v34, v38, v18
	;;#ASMEND
	;;#ASMSTART
	v_dot2_f32_f16 v18, v35, v39, v18
	;;#ASMEND
	ds_load_b128 v[32:35], v19 offset:16
	ds_load_b128 v[36:39], v20 offset:3184
	s_waitcnt lgkmcnt(0)
	;;#ASMSTART
	v_dot2_f32_f16 v18, v32, v36, v18
	;;#ASMEND
	;;#ASMSTART
	v_dot2_f32_f16 v18, v33, v37, v18
	;;#ASMEND
	;;#ASMSTART
	v_dot2_f32_f16 v18, v34, v38, v18
	;;#ASMEND
	;;#ASMSTART
	v_dot2_f32_f16 v18, v35, v39, v18
	;;#ASMEND
	ds_load_b128 v[32:35], v19 offset:32
	;; [unrolled: 15-line block ×4, first 2 shown]
	ds_load_b128 v[36:39], v20 offset:3232
	s_waitcnt lgkmcnt(0)
	;;#ASMSTART
	v_dot2_f32_f16 v18, v32, v36, v18
	;;#ASMEND
	;;#ASMSTART
	v_dot2_f32_f16 v18, v33, v37, v18
	;;#ASMEND
	;; [unrolled: 3-line block ×4, first 2 shown]
	s_cbranch_vccnz .LBB65_14
; %bb.13:                               ;   in Loop: Header=BB65_10 Depth=1
	v_add_nc_u32_e32 v32, s17, v8
	s_delay_alu instid0(VALU_DEP_1) | instskip(NEXT) | instid1(VALU_DEP_1)
	v_ashrrev_i32_e32 v33, 31, v32
	v_lshlrev_b64 v[32:33], 1, v[32:33]
	s_delay_alu instid0(VALU_DEP_1) | instskip(NEXT) | instid1(VALU_DEP_2)
	v_add_co_u32 v32, vcc_lo, s40, v32
	v_add_co_ci_u32_e32 v33, vcc_lo, s41, v33, vcc_lo
	flat_load_u16 v21, v[32:33]
	s_waitcnt vmcnt(0) lgkmcnt(0)
	v_cvt_f32_f16_e32 v21, v21
	s_delay_alu instid0(VALU_DEP_1)
	v_mul_f32_e32 v21, v17, v21
	s_branch .LBB65_15
.LBB65_14:                              ;   in Loop: Header=BB65_10 Depth=1
	v_mov_b32_e32 v21, 0
.LBB65_15:                              ;   in Loop: Header=BB65_10 Depth=1
	s_delay_alu instid0(VALU_DEP_1)
	v_add_f32_e32 v18, v18, v21
	v_xor_b32_e32 v21, 16, v29
	v_max_f32_e32 v32, v31, v31
	s_mul_hi_i32 s27, s17, s13
	s_mul_i32 s26, s17, s13
	v_add_f32_e32 v33, 0x40051340, v18
	v_cmp_gt_i32_e32 vcc_lo, 32, v21
	s_lshl_b64 s[26:27], s[26:27], 2
	s_delay_alu instid0(SALU_CYCLE_1) | instskip(NEXT) | instid1(VALU_DEP_2)
	s_add_u32 s26, s15, s26
	v_max_f32_e32 v32, v32, v33
	v_cndmask_b32_e32 v21, v29, v21, vcc_lo
	v_xor_b32_e32 v33, 8, v29
	s_addc_u32 s27, s16, s27
	s_barrier
	buffer_gl0_inv
	v_lshlrev_b32_e32 v21, 2, v21
	v_cmp_gt_i32_e32 vcc_lo, 32, v33
	ds_bpermute_b32 v21, v21, v32
	v_cndmask_b32_e32 v33, v29, v33, vcc_lo
	s_delay_alu instid0(VALU_DEP_1) | instskip(SKIP_2) | instid1(VALU_DEP_1)
	v_lshlrev_b32_e32 v33, 2, v33
	s_waitcnt lgkmcnt(0)
	v_max_f32_e32 v21, v21, v21
	v_max_f32_e32 v21, v32, v21
	ds_bpermute_b32 v32, v33, v21
	v_xor_b32_e32 v33, 4, v29
	s_delay_alu instid0(VALU_DEP_1) | instskip(SKIP_2) | instid1(VALU_DEP_1)
	v_cmp_gt_i32_e32 vcc_lo, 32, v33
	v_cndmask_b32_e32 v33, v29, v33, vcc_lo
	s_waitcnt lgkmcnt(0)
	v_dual_max_f32 v32, v32, v32 :: v_dual_lshlrev_b32 v33, 2, v33
	s_delay_alu instid0(VALU_DEP_1) | instskip(SKIP_2) | instid1(VALU_DEP_1)
	v_max_f32_e32 v21, v21, v32
	ds_bpermute_b32 v32, v33, v21
	v_xor_b32_e32 v33, 2, v29
	v_cmp_gt_i32_e32 vcc_lo, 32, v33
	v_cndmask_b32_e32 v33, v29, v33, vcc_lo
	s_waitcnt lgkmcnt(0)
	s_delay_alu instid0(VALU_DEP_1) | instskip(NEXT) | instid1(VALU_DEP_1)
	v_dual_max_f32 v32, v32, v32 :: v_dual_lshlrev_b32 v33, 2, v33
	v_max_f32_e32 v21, v21, v32
	ds_bpermute_b32 v32, v33, v21
	v_xor_b32_e32 v33, 1, v29
	s_delay_alu instid0(VALU_DEP_1) | instskip(SKIP_2) | instid1(VALU_DEP_1)
	v_cmp_gt_i32_e32 vcc_lo, 32, v33
	v_cndmask_b32_e32 v33, v29, v33, vcc_lo
	s_waitcnt lgkmcnt(0)
	v_dual_max_f32 v32, v32, v32 :: v_dual_lshlrev_b32 v33, 2, v33
	s_delay_alu instid0(VALU_DEP_1) | instskip(SKIP_3) | instid1(VALU_DEP_1)
	v_max_f32_e32 v21, v21, v32
	ds_bpermute_b32 v32, v33, v21
	s_waitcnt lgkmcnt(0)
	v_max_f32_e32 v32, v32, v32
	v_max_f32_e32 v21, v21, v32
	s_delay_alu instid0(VALU_DEP_1) | instskip(NEXT) | instid1(VALU_DEP_1)
	v_sub_f32_e32 v18, v18, v21
	v_mul_f32_e32 v32, 0x3fb8aa3b, v18
	v_cmp_ngt_f32_e32 vcc_lo, 0xc2ce8ed0, v18
	s_delay_alu instid0(VALU_DEP_2) | instskip(SKIP_1) | instid1(VALU_DEP_2)
	v_fma_f32 v33, 0x3fb8aa3b, v18, -v32
	v_rndne_f32_e32 v34, v32
	v_fmac_f32_e32 v33, 0x32a5705f, v18
	s_delay_alu instid0(VALU_DEP_2) | instskip(NEXT) | instid1(VALU_DEP_1)
	v_sub_f32_e32 v32, v32, v34
	v_add_f32_e32 v32, v32, v33
	v_cvt_i32_f32_e32 v33, v34
	s_delay_alu instid0(VALU_DEP_2) | instskip(SKIP_2) | instid1(VALU_DEP_1)
	v_exp_f32_e32 v32, v32
	s_waitcnt_depctr 0xfff
	v_ldexp_f32 v32, v32, v33
	v_cndmask_b32_e32 v32, 0, v32, vcc_lo
	v_cmp_nlt_f32_e32 vcc_lo, 0x42b17218, v18
	s_delay_alu instid0(VALU_DEP_2) | instskip(NEXT) | instid1(VALU_DEP_1)
	v_cndmask_b32_e32 v18, 0x7f800000, v32, vcc_lo
	v_cvt_f16_f32_e32 v32, v18
	ds_store_b16 v24, v32
	s_and_saveexec_b32 s33, s5
	s_cbranch_execz .LBB65_17
; %bb.16:                               ;   in Loop: Header=BB65_10 Depth=1
	v_add_co_u32 v32, vcc_lo, s26, v9
	v_add_co_ci_u32_e32 v33, vcc_lo, s27, v10, vcc_lo
	global_load_b128 v[32:35], v[32:33], off offset:64
	s_waitcnt vmcnt(0)
	ds_store_b128 v26, v[32:35]
.LBB65_17:                              ;   in Loop: Header=BB65_10 Depth=1
	s_or_b32 exec_lo, exec_lo, s33
	v_add_co_u32 v32, vcc_lo, s26, v11
	v_add_co_ci_u32_e32 v33, vcc_lo, s27, v12, vcc_lo
	v_sub_f32_e32 v36, v31, v21
	s_delay_alu instid0(VALU_DEP_3) | instskip(NEXT) | instid1(VALU_DEP_3)
	v_add_co_u32 v32, vcc_lo, v32, v28
	v_add_co_ci_u32_e32 v33, vcc_lo, 0, v33, vcc_lo
	s_delay_alu instid0(VALU_DEP_3) | instskip(SKIP_4) | instid1(VALU_DEP_2)
	v_mul_f32_e32 v31, 0x3fb8aa3b, v36
	v_cmp_ngt_f32_e32 vcc_lo, 0xc2ce8ed0, v36
	global_load_b128 v[32:35], v[32:33], off
	v_fma_f32 v37, 0x3fb8aa3b, v36, -v31
	v_rndne_f32_e32 v38, v31
	v_fmac_f32_e32 v37, 0x32a5705f, v36
	s_delay_alu instid0(VALU_DEP_2) | instskip(SKIP_1) | instid1(VALU_DEP_2)
	v_sub_f32_e32 v31, v31, v38
	v_cvt_i32_f32_e32 v38, v38
	v_add_f32_e32 v31, v31, v37
	s_delay_alu instid0(VALU_DEP_1)
	v_exp_f32_e32 v37, v31
	s_waitcnt vmcnt(0)
	ds_store_b128 v27, v[32:35]
	s_waitcnt lgkmcnt(0)
	s_barrier
	buffer_gl0_inv
	ds_load_2addr_b32 v[39:40], v13 offset1:20
	ds_load_b128 v[31:34], v22
	v_ldexp_f32 v35, v37, v38
	ds_load_2addr_b32 v[41:42], v13 offset0:40 offset1:60
	ds_load_2addr_b32 v[43:44], v13 offset0:80 offset1:100
	v_cndmask_b32_e32 v35, 0, v35, vcc_lo
	v_cmp_nlt_f32_e32 vcc_lo, 0x42b17218, v36
	s_delay_alu instid0(VALU_DEP_2)
	v_cndmask_b32_e32 v45, 0x7f800000, v35, vcc_lo
	ds_load_b128 v[35:38], v22 offset:16
	v_cvt_f16_f32_e32 v46, v45
	v_fmac_f32_e32 v18, v30, v45
	s_waitcnt lgkmcnt(3)
	v_pk_mul_f16 v39, v39, v31 op_sel_hi:[1,0]
	s_delay_alu instid0(VALU_DEP_1) | instskip(SKIP_1) | instid1(VALU_DEP_2)
	v_pk_fma_f16 v14, v14, v46, v39 op_sel_hi:[1,0,1]
	v_add_nc_u32_e32 v46, 0x400, v13
	v_pk_fma_f16 v14, v40, v31, v14 op_sel:[0,1,0]
	ds_load_2addr_b32 v[39:40], v13 offset0:120 offset1:140
	s_waitcnt lgkmcnt(3)
	v_pk_fma_f16 v14, v41, v32, v14 op_sel_hi:[1,0,1]
	s_delay_alu instid0(VALU_DEP_1) | instskip(SKIP_4) | instid1(VALU_DEP_1)
	v_pk_fma_f16 v14, v42, v32, v14 op_sel:[0,1,0]
	ds_load_2addr_b32 v[31:32], v13 offset0:160 offset1:180
	ds_load_2addr_b32 v[41:42], v13 offset0:200 offset1:220
	s_waitcnt lgkmcnt(4)
	v_pk_fma_f16 v14, v43, v33, v14 op_sel_hi:[1,0,1]
	v_pk_fma_f16 v14, v44, v33, v14 op_sel:[0,1,0]
	v_add_nc_u32_e32 v33, 0x200, v13
	ds_load_2addr_b32 v[43:44], v46 offset0:24 offset1:44
	s_waitcnt lgkmcnt(3)
	v_pk_fma_f16 v14, v39, v34, v14 op_sel_hi:[1,0,1]
	s_delay_alu instid0(VALU_DEP_1) | instskip(SKIP_3) | instid1(VALU_DEP_1)
	v_pk_fma_f16 v14, v40, v34, v14 op_sel:[0,1,0]
	ds_load_2addr_b32 v[39:40], v33 offset0:112 offset1:132
	s_waitcnt lgkmcnt(3)
	v_pk_fma_f16 v14, v31, v35, v14 op_sel_hi:[1,0,1]
	v_pk_fma_f16 v14, v32, v35, v14 op_sel:[0,1,0]
	ds_load_b128 v[31:34], v22 offset:32
	s_waitcnt lgkmcnt(3)
	v_pk_fma_f16 v14, v41, v36, v14 op_sel_hi:[1,0,1]
	s_delay_alu instid0(VALU_DEP_1) | instskip(SKIP_3) | instid1(VALU_DEP_1)
	v_pk_fma_f16 v14, v42, v36, v14 op_sel:[0,1,0]
	ds_load_2addr_b32 v[41:42], v46 offset0:64 offset1:84
	s_waitcnt lgkmcnt(2)
	v_pk_fma_f16 v14, v39, v37, v14 op_sel_hi:[1,0,1]
	v_pk_fma_f16 v14, v40, v37, v14 op_sel:[0,1,0]
	ds_load_2addr_b32 v[39:40], v46 offset0:104 offset1:124
	v_pk_fma_f16 v14, v43, v38, v14 op_sel_hi:[1,0,1]
	s_delay_alu instid0(VALU_DEP_1) | instskip(SKIP_4) | instid1(VALU_DEP_1)
	v_pk_fma_f16 v14, v44, v38, v14 op_sel:[0,1,0]
	ds_load_b128 v[35:38], v22 offset:48
	ds_load_2addr_b32 v[43:44], v46 offset0:144 offset1:164
	s_waitcnt lgkmcnt(3)
	v_pk_fma_f16 v14, v41, v31, v14 op_sel_hi:[1,0,1]
	v_pk_fma_f16 v14, v42, v31, v14 op_sel:[0,1,0]
	ds_load_2addr_b32 v[41:42], v46 offset0:184 offset1:204
	s_waitcnt lgkmcnt(3)
	v_pk_fma_f16 v14, v39, v32, v14 op_sel_hi:[1,0,1]
	s_delay_alu instid0(VALU_DEP_1) | instskip(SKIP_4) | instid1(VALU_DEP_2)
	v_pk_fma_f16 v14, v40, v32, v14 op_sel:[0,1,0]
	ds_load_2addr_b32 v[31:32], v46 offset0:224 offset1:244
	s_waitcnt lgkmcnt(2)
	v_pk_fma_f16 v14, v43, v33, v14 op_sel_hi:[1,0,1]
	v_add_nc_u32_e32 v43, 0x800, v13
	v_pk_fma_f16 v14, v44, v33, v14 op_sel:[0,1,0]
	ds_load_2addr_b32 v[39:40], v43 offset0:8 offset1:28
	s_waitcnt lgkmcnt(2)
	v_pk_fma_f16 v14, v41, v34, v14 op_sel_hi:[1,0,1]
	s_delay_alu instid0(VALU_DEP_1) | instskip(SKIP_3) | instid1(VALU_DEP_1)
	v_pk_fma_f16 v14, v42, v34, v14 op_sel:[0,1,0]
	ds_load_2addr_b32 v[33:34], v43 offset0:48 offset1:68
	s_waitcnt lgkmcnt(2)
	v_pk_fma_f16 v14, v31, v35, v14 op_sel_hi:[1,0,1]
	v_pk_fma_f16 v14, v32, v35, v14 op_sel:[0,1,0]
	ds_load_2addr_b32 v[31:32], v43 offset0:88 offset1:108
	s_waitcnt lgkmcnt(0)
	s_barrier
	buffer_gl0_inv
	v_pk_fma_f16 v14, v39, v36, v14 op_sel_hi:[1,0,1]
	s_load_b32 s26, s[6:7], 0x4
	s_delay_alu instid0(VALU_DEP_1) | instskip(NEXT) | instid1(VALU_DEP_1)
	v_pk_fma_f16 v14, v40, v36, v14 op_sel:[0,1,0]
	v_pk_fma_f16 v14, v33, v37, v14 op_sel_hi:[1,0,1]
	s_delay_alu instid0(VALU_DEP_1) | instskip(NEXT) | instid1(VALU_DEP_1)
	v_pk_fma_f16 v14, v34, v37, v14 op_sel:[0,1,0]
	v_pk_fma_f16 v14, v31, v38, v14 op_sel_hi:[1,0,1]
	s_waitcnt lgkmcnt(0)
	s_lshl_b32 s26, s26, 5
	s_delay_alu instid0(SALU_CYCLE_1) | instskip(NEXT) | instid1(VALU_DEP_1)
	s_add_i32 s17, s26, s17
	v_pk_fma_f16 v14, v32, v38, v14 op_sel:[0,1,0]
	s_cmp_lt_i32 s17, s20
	s_cbranch_scc0 .LBB65_20
; %bb.18:                               ;   in Loop: Header=BB65_10 Depth=1
	v_dual_mov_b32 v31, v21 :: v_dual_mov_b32 v30, v18
	s_branch .LBB65_10
.LBB65_19:
	v_dual_mov_b32 v14, 0 :: v_dual_mov_b32 v21, 0xfeffffff
	v_mov_b32_e32 v18, 0
.LBB65_20:
	s_cmp_gt_i32 s42, s17
	s_cbranch_scc1 .LBB65_22
; %bb.21:
	v_mbcnt_lo_u32_b32 v6, -1, 0
	v_mov_b32_e32 v1, 32
	s_delay_alu instid0(VALU_DEP_2)
	v_xor_b32_e32 v7, 16, v6
	v_xor_b32_e32 v9, 8, v6
	;; [unrolled: 1-line block ×5, first 2 shown]
	v_mov_b32_e32 v2, v21
	s_cbranch_execz .LBB65_23
	s_branch .LBB65_33
.LBB65_22:
                                        ; implicit-def: $vgpr6
                                        ; implicit-def: $vgpr1
                                        ; implicit-def: $vgpr7
                                        ; implicit-def: $vgpr9
                                        ; implicit-def: $vgpr10
                                        ; implicit-def: $vgpr11
                                        ; implicit-def: $vgpr22
	s_delay_alu instid0(VALU_DEP_2)
	v_mov_b32_e32 v2, v21
.LBB65_23:
	v_lshlrev_b32_e32 v23, 5, v16
	s_mul_hi_i32 s7, s17, s23
	s_mul_i32 s6, s17, s23
	s_sub_i32 s20, s42, s17
	s_lshl_b64 s[26:27], s[6:7], 2
	v_add_nc_u32_e32 v8, v23, v4
	s_add_u32 s7, s18, s26
	s_addc_u32 s18, s19, s27
	s_delay_alu instid0(VALU_DEP_1) | instskip(SKIP_1) | instid1(VALU_DEP_2)
	v_cmp_gt_u32_e64 s6, 32, v8
	v_cmp_gt_i32_e32 vcc_lo, s20, v8
	s_and_saveexec_b32 s19, s6
	s_cbranch_execz .LBB65_25
; %bb.24:
	v_mul_lo_u32 v1, s23, v8
	s_mov_b64 s[26:27], src_private_base
	s_delay_alu instid0(VALU_DEP_1) | instskip(NEXT) | instid1(VALU_DEP_1)
	v_ashrrev_i32_e32 v2, 31, v1
	v_lshlrev_b64 v[1:2], 2, v[1:2]
	s_delay_alu instid0(VALU_DEP_1) | instskip(NEXT) | instid1(VALU_DEP_1)
	v_add_co_u32 v1, s5, s7, v1
	v_add_co_ci_u32_e64 v2, s5, s18, v2, s5
	s_delay_alu instid0(VALU_DEP_2) | instskip(NEXT) | instid1(VALU_DEP_1)
	v_add_co_u32 v1, s5, v1, 64
	v_add_co_ci_u32_e64 v2, s5, 0, v2, s5
	v_mov_b32_e32 v9, 0
	s_delay_alu instid0(VALU_DEP_3) | instskip(NEXT) | instid1(VALU_DEP_3)
	v_cndmask_b32_e32 v1, 0, v1, vcc_lo
	v_cndmask_b32_e32 v2, s27, v2, vcc_lo
	s_delay_alu instid0(VALU_DEP_3)
	v_mov_b32_e32 v10, v9
	v_mov_b32_e32 v11, v9
	s_clause 0x1
	scratch_store_b32 off, v9, off
	scratch_store_b96 off, v[9:11], off offset:4
	flat_load_b128 v[9:12], v[1:2]
	v_mul_u32_u24_e32 v1, 0x60, v8
	s_waitcnt vmcnt(0) lgkmcnt(0)
	ds_store_b128 v1, v[9:12] offset:64
.LBB65_25:
	s_or_b32 exec_lo, exec_lo, s19
	v_lshl_add_u32 v6, v16, 3, v3
	v_and_b32_e32 v3, 12, v13
	s_mov_b64 s[26:27], src_private_base
	s_delay_alu instid0(VALU_DEP_2) | instskip(NEXT) | instid1(VALU_DEP_2)
	v_mul_lo_u32 v1, s23, v6
	v_lshlrev_b32_e32 v12, 2, v3
	s_delay_alu instid0(VALU_DEP_2) | instskip(NEXT) | instid1(VALU_DEP_1)
	v_ashrrev_i32_e32 v2, 31, v1
	v_lshlrev_b64 v[1:2], 2, v[1:2]
	s_delay_alu instid0(VALU_DEP_1) | instskip(SKIP_1) | instid1(VALU_DEP_3)
	v_add_co_u32 v3, s5, s7, v1
	v_mov_b32_e32 v1, 0
	v_add_co_ci_u32_e64 v2, s5, s18, v2, s5
	s_delay_alu instid0(VALU_DEP_3) | instskip(NEXT) | instid1(VALU_DEP_3)
	v_add_co_u32 v7, s5, v3, v12
	v_mov_b32_e32 v3, v1
	s_delay_alu instid0(VALU_DEP_3)
	v_add_co_ci_u32_e64 v9, s5, 0, v2, s5
	v_cmp_gt_i32_e64 s5, s20, v6
	v_mov_b32_e32 v2, v1
	s_clause 0x1
	scratch_store_b32 off, v1, off
	scratch_store_b96 off, v[1:3], off offset:4
	v_cndmask_b32_e64 v10, s27, v9, s5
	v_cndmask_b32_e64 v9, 0, v7, s5
	v_mad_u32_u24 v2, 0x60, v6, v12
	s_mov_b32 s18, exec_lo
	flat_load_b128 v[24:27], v[9:10]
	s_waitcnt vmcnt(0) lgkmcnt(0)
	ds_store_b128 v2, v[24:27]
	s_waitcnt lgkmcnt(0)
	s_waitcnt_vscnt null, 0x0
	s_barrier
	buffer_gl0_inv
	ds_load_b128 v[24:27], v19
	ds_load_b128 v[28:31], v20 offset:3168
	v_mov_b32_e32 v2, v21
	s_waitcnt lgkmcnt(0)
	;;#ASMSTART
	v_dot2_f32_f16 v1, v24, v28, v1
	;;#ASMEND
	;;#ASMSTART
	v_dot2_f32_f16 v1, v25, v29, v1
	;;#ASMEND
	;;#ASMSTART
	v_dot2_f32_f16 v1, v26, v30, v1
	;;#ASMEND
	;;#ASMSTART
	v_dot2_f32_f16 v1, v27, v31, v1
	;;#ASMEND
	ds_load_b128 v[24:27], v19 offset:16
	ds_load_b128 v[28:31], v20 offset:3184
	s_waitcnt lgkmcnt(0)
	;;#ASMSTART
	v_dot2_f32_f16 v1, v24, v28, v1
	;;#ASMEND
	;;#ASMSTART
	v_dot2_f32_f16 v1, v25, v29, v1
	;;#ASMEND
	;;#ASMSTART
	v_dot2_f32_f16 v1, v26, v30, v1
	;;#ASMEND
	;;#ASMSTART
	v_dot2_f32_f16 v1, v27, v31, v1
	;;#ASMEND
	ds_load_b128 v[24:27], v19 offset:32
	ds_load_b128 v[28:31], v20 offset:3200
	;; [unrolled: 15-line block ×4, first 2 shown]
	s_waitcnt lgkmcnt(0)
	;;#ASMSTART
	v_dot2_f32_f16 v1, v24, v28, v1
	;;#ASMEND
	;;#ASMSTART
	v_dot2_f32_f16 v1, v25, v29, v1
	;;#ASMEND
	;; [unrolled: 3-line block ×4, first 2 shown]
	v_cmpx_gt_i32_e64 s20, v4
	s_cbranch_execz .LBB65_30
; %bb.26:
	s_cmp_eq_u64 s[40:41], 0
	s_cbranch_scc1 .LBB65_28
; %bb.27:
	v_mul_hi_u32 v2, s8, v5
	s_delay_alu instid0(VALU_DEP_1) | instskip(NEXT) | instid1(VALU_DEP_1)
	v_add_nc_u32_e32 v2, v5, v2
	v_lshrrev_b32_e32 v2, s9, v2
	s_delay_alu instid0(VALU_DEP_1) | instskip(NEXT) | instid1(VALU_DEP_1)
	v_mul_lo_u32 v2, v2, s10
	v_sub_nc_u32_e32 v2, v5, v2
	s_delay_alu instid0(VALU_DEP_1) | instskip(NEXT) | instid1(VALU_DEP_1)
	v_mul_lo_u32 v2, v2, s22
	v_add3_u32 v2, v2, v4, s17
	s_delay_alu instid0(VALU_DEP_1) | instskip(NEXT) | instid1(VALU_DEP_1)
	v_ashrrev_i32_e32 v3, 31, v2
	v_lshlrev_b64 v[2:3], 1, v[2:3]
	s_delay_alu instid0(VALU_DEP_1) | instskip(NEXT) | instid1(VALU_DEP_1)
	v_add_co_u32 v2, s7, s40, v2
	v_add_co_ci_u32_e64 v3, s7, s41, v3, s7
	flat_load_u16 v2, v[2:3]
	s_waitcnt vmcnt(0) lgkmcnt(0)
	v_cvt_f32_f16_e32 v2, v2
	s_delay_alu instid0(VALU_DEP_1)
	v_mul_f32_e32 v2, v17, v2
	s_branch .LBB65_29
.LBB65_28:
	v_mov_b32_e32 v2, 0
.LBB65_29:
	s_delay_alu instid0(VALU_DEP_1) | instskip(SKIP_1) | instid1(VALU_DEP_2)
	v_add_f32_e32 v1, v1, v2
	v_max_f32_e32 v3, v21, v21
	v_add_f32_e32 v2, 0x40051340, v1
	s_delay_alu instid0(VALU_DEP_1)
	v_max_f32_e32 v2, v3, v2
.LBB65_30:
	s_or_b32 exec_lo, exec_lo, s18
	v_xor_b32_e32 v7, 16, v15
	v_xor_b32_e32 v9, 8, v15
	;; [unrolled: 1-line block ×3, first 2 shown]
	s_load_b64 s[8:9], s[0:1], 0x4
	s_waitcnt lgkmcnt(0)
	v_cmp_gt_i32_e64 s7, 32, v7
	s_barrier
	buffer_gl0_inv
	v_cndmask_b32_e64 v3, v15, v7, s7
	v_cmp_gt_i32_e64 s7, 32, v9
	s_delay_alu instid0(VALU_DEP_2) | instskip(NEXT) | instid1(VALU_DEP_2)
	v_lshlrev_b32_e32 v3, 2, v3
	v_cndmask_b32_e64 v10, v15, v9, s7
	ds_bpermute_b32 v3, v3, v2
	v_max_f32_e32 v2, v2, v2
	v_lshlrev_b32_e32 v10, 2, v10
	v_mul_u32_u24_e32 v16, s9, v16
	s_waitcnt lgkmcnt(0)
	v_max_f32_e32 v3, v3, v3
	s_delay_alu instid0(VALU_DEP_1) | instskip(SKIP_2) | instid1(VALU_DEP_1)
	v_max_f32_e32 v2, v2, v3
	ds_bpermute_b32 v3, v10, v2
	v_xor_b32_e32 v10, 4, v15
	v_cmp_gt_i32_e64 s7, 32, v10
	s_delay_alu instid0(VALU_DEP_1) | instskip(NEXT) | instid1(VALU_DEP_1)
	v_cndmask_b32_e64 v11, v15, v10, s7
	v_lshlrev_b32_e32 v11, 2, v11
	s_waitcnt lgkmcnt(0)
	v_max_f32_e32 v3, v3, v3
	s_delay_alu instid0(VALU_DEP_1) | instskip(SKIP_2) | instid1(VALU_DEP_1)
	v_max_f32_e32 v2, v2, v3
	ds_bpermute_b32 v3, v11, v2
	v_xor_b32_e32 v11, 2, v15
	v_cmp_gt_i32_e64 s7, 32, v11
	s_delay_alu instid0(VALU_DEP_1) | instskip(SKIP_1) | instid1(VALU_DEP_2)
	v_cndmask_b32_e64 v17, v15, v11, s7
	v_cmp_gt_i32_e64 s7, 32, v22
	v_lshlrev_b32_e32 v17, 2, v17
	s_waitcnt lgkmcnt(0)
	v_max_f32_e32 v3, v3, v3
	s_delay_alu instid0(VALU_DEP_1) | instskip(SKIP_2) | instid1(VALU_DEP_1)
	v_max_f32_e32 v2, v2, v3
	ds_bpermute_b32 v3, v17, v2
	v_cndmask_b32_e64 v17, v15, v22, s7
	v_lshlrev_b32_e32 v17, 2, v17
	s_waitcnt lgkmcnt(0)
	v_max_f32_e32 v3, v3, v3
	s_delay_alu instid0(VALU_DEP_1) | instskip(SKIP_3) | instid1(VALU_DEP_1)
	v_max_f32_e32 v2, v2, v3
	ds_bpermute_b32 v3, v17, v2
	s_waitcnt lgkmcnt(0)
	v_max_f32_e32 v3, v3, v3
	v_max_f32_e32 v2, v2, v3
	s_delay_alu instid0(VALU_DEP_1) | instskip(NEXT) | instid1(VALU_DEP_1)
	v_sub_f32_e32 v3, v1, v2
	v_mul_f32_e32 v1, 0x3fb8aa3b, v3
	v_cmp_ngt_f32_e64 s0, 0xc2ce8ed0, v3
	s_delay_alu instid0(VALU_DEP_2) | instskip(SKIP_1) | instid1(VALU_DEP_2)
	v_fma_f32 v17, 0x3fb8aa3b, v3, -v1
	v_rndne_f32_e32 v19, v1
	v_fmac_f32_e32 v17, 0x32a5705f, v3
	s_delay_alu instid0(VALU_DEP_2) | instskip(NEXT) | instid1(VALU_DEP_1)
	v_sub_f32_e32 v1, v1, v19
	v_add_f32_e32 v1, v1, v17
	v_cvt_i32_f32_e32 v17, v19
	v_bfe_u32 v19, v0, 20, 10
	s_delay_alu instid0(VALU_DEP_3) | instskip(SKIP_3) | instid1(VALU_DEP_2)
	v_exp_f32_e32 v1, v1
	s_waitcnt_depctr 0xfff
	v_ldexp_f32 v17, v1, v17
	v_mov_b32_e32 v1, 32
	v_cndmask_b32_e64 v0, 0, v17, s0
	s_lshr_b32 s0, s8, 16
	s_delay_alu instid0(SALU_CYCLE_1) | instskip(SKIP_4) | instid1(VALU_DEP_3)
	s_mul_i32 s1, s0, s9
	v_cmp_nlt_f32_e64 s0, 0x42b17218, v3
	v_mul_u32_u24_e32 v17, s1, v4
	v_lshl_add_u32 v3, v23, 1, 0xda0
	s_mul_hi_i32 s1, s17, s13
	v_cndmask_b32_e64 v0, 0x7f800000, v0, s0
	v_cmp_gt_u32_e64 s0, s20, v4
	v_add3_u32 v16, v17, v16, v19
	v_lshl_add_u32 v17, v4, 1, v3
	s_delay_alu instid0(VALU_DEP_3) | instskip(SKIP_1) | instid1(VALU_DEP_3)
	v_cndmask_b32_e64 v0, 0, v0, s0
	s_mul_i32 s0, s17, s13
	v_lshlrev_b32_e32 v16, 4, v16
	s_lshl_b64 s[8:9], s[0:1], 2
	s_delay_alu instid0(VALU_DEP_2)
	v_cvt_f16_f32_e32 v19, v0
	s_add_u32 s1, s15, s8
	s_addc_u32 s7, s16, s9
	ds_store_b16 v17, v19
	s_and_saveexec_b32 s8, s6
	s_cbranch_execz .LBB65_32
; %bb.31:
	v_mul_lo_u32 v19, s13, v8
	v_add_nc_u32_e32 v23, 0xea0, v16
	s_mov_b64 s[16:17], src_shared_base
	v_dual_mov_b32 v25, 0 :: v_dual_add_nc_u32 v24, 0xea4, v16
	v_mul_u32_u24_e32 v8, 0x50, v8
	s_delay_alu instid0(VALU_DEP_4) | instskip(NEXT) | instid1(VALU_DEP_1)
	v_ashrrev_i32_e32 v20, 31, v19
	v_lshlrev_b64 v[19:20], 2, v[19:20]
	s_delay_alu instid0(VALU_DEP_1) | instskip(NEXT) | instid1(VALU_DEP_1)
	v_add_co_u32 v17, s0, s1, v19
	v_add_co_ci_u32_e64 v19, s0, s7, v20, s0
	s_delay_alu instid0(VALU_DEP_2) | instskip(NEXT) | instid1(VALU_DEP_1)
	v_add_co_u32 v17, s0, v17, 64
	v_add_co_ci_u32_e64 v19, s0, 0, v19, s0
	v_add_nc_u32_e32 v26, 0xc00, v16
	s_delay_alu instid0(VALU_DEP_2) | instskip(NEXT) | instid1(VALU_DEP_4)
	v_cndmask_b32_e32 v20, s17, v19, vcc_lo
	v_cndmask_b32_e32 v19, v23, v17, vcc_lo
	ds_store_2addr_b32 v24, v25, v25 offset1:1
	ds_store_2addr_b32 v26, v25, v25 offset0:168 offset1:171
	flat_load_b128 v[23:26], v[19:20]
	s_waitcnt vmcnt(0) lgkmcnt(0)
	ds_store_b128 v8, v[23:26] offset:64
.LBB65_32:
	s_or_b32 exec_lo, exec_lo, s8
	v_mul_lo_u32 v19, s13, v6
	v_add_nc_u32_e32 v24, 0x1400, v16
	v_mad_u32_u24 v6, 0x50, v6, v12
	v_mov_b32_e32 v23, 0
	s_delay_alu instid0(VALU_DEP_4) | instskip(NEXT) | instid1(VALU_DEP_1)
	v_ashrrev_i32_e32 v20, 31, v19
	v_lshlrev_b64 v[19:20], 2, v[19:20]
	s_delay_alu instid0(VALU_DEP_1) | instskip(NEXT) | instid1(VALU_DEP_2)
	v_add_co_u32 v8, vcc_lo, s1, v19
	v_add_co_ci_u32_e32 v17, vcc_lo, s7, v20, vcc_lo
	v_add_nc_u32_e32 v19, 0x16a0, v16
	s_delay_alu instid0(VALU_DEP_3) | instskip(NEXT) | instid1(VALU_DEP_3)
	v_add_co_u32 v8, vcc_lo, v8, v12
	v_add_co_ci_u32_e32 v17, vcc_lo, 0, v17, vcc_lo
	s_mov_b64 s[0:1], src_shared_base
	v_add_nc_u32_e32 v20, 0x16a4, v16
	s_delay_alu instid0(VALU_DEP_3) | instskip(NEXT) | instid1(VALU_DEP_3)
	v_cndmask_b32_e64 v16, v19, v8, s5
	v_cndmask_b32_e64 v17, s1, v17, s5
	ds_store_2addr_b32 v20, v23, v23 offset1:1
	ds_store_2addr_b32 v24, v23, v23 offset0:168 offset1:171
	v_sub_f32_e32 v8, v21, v2
	flat_load_b128 v[23:26], v[16:17]
	v_mul_f32_e32 v16, 0x3fb8aa3b, v8
	v_cmp_ngt_f32_e32 vcc_lo, 0xc2ce8ed0, v8
	s_delay_alu instid0(VALU_DEP_2) | instskip(SKIP_1) | instid1(VALU_DEP_1)
	v_fma_f32 v17, 0x3fb8aa3b, v8, -v16
	v_rndne_f32_e32 v19, v16
	v_dual_fmac_f32 v17, 0x32a5705f, v8 :: v_dual_sub_f32 v16, v16, v19
	v_cvt_i32_f32_e32 v19, v19
	s_delay_alu instid0(VALU_DEP_2) | instskip(NEXT) | instid1(VALU_DEP_1)
	v_add_f32_e32 v16, v16, v17
	v_exp_f32_e32 v12, v16
	s_waitcnt vmcnt(0) lgkmcnt(0)
	ds_store_b128 v6, v[23:26]
	s_waitcnt lgkmcnt(0)
	s_barrier
	buffer_gl0_inv
	ds_load_2addr_b32 v[16:17], v13 offset1:20
	ds_load_b128 v[23:26], v3
	v_ldexp_f32 v6, v12, v19
	ds_load_2addr_b32 v[19:20], v13 offset0:40 offset1:60
	ds_load_2addr_b32 v[31:32], v13 offset0:80 offset1:100
	ds_load_b128 v[27:30], v3 offset:16
	v_cndmask_b32_e32 v6, 0, v6, vcc_lo
	v_cmp_nlt_f32_e32 vcc_lo, 0x42b17218, v8
	s_delay_alu instid0(VALU_DEP_2) | instskip(NEXT) | instid1(VALU_DEP_1)
	v_cndmask_b32_e32 v6, 0x7f800000, v6, vcc_lo
	v_cvt_f16_f32_e32 v8, v6
	v_fmac_f32_e32 v0, v18, v6
	v_mov_b32_e32 v6, v15
	s_waitcnt lgkmcnt(3)
	v_pk_mul_f16 v12, v16, v23 op_sel_hi:[1,0]
	s_delay_alu instid0(VALU_DEP_3) | instskip(NEXT) | instid1(VALU_DEP_2)
	v_mov_b32_e32 v18, v0
	v_pk_fma_f16 v8, v14, v8, v12 op_sel_hi:[1,0,1]
	v_add_nc_u32_e32 v12, 0x200, v13
	s_delay_alu instid0(VALU_DEP_2) | instskip(SKIP_3) | instid1(VALU_DEP_1)
	v_pk_fma_f16 v8, v17, v23, v8 op_sel:[0,1,0]
	ds_load_2addr_b32 v[16:17], v13 offset0:120 offset1:140
	s_waitcnt lgkmcnt(3)
	v_pk_fma_f16 v8, v19, v24, v8 op_sel_hi:[1,0,1]
	v_pk_fma_f16 v8, v20, v24, v8 op_sel:[0,1,0]
	ds_load_2addr_b32 v[19:20], v13 offset0:160 offset1:180
	ds_load_2addr_b32 v[23:24], v13 offset0:200 offset1:220
	s_waitcnt lgkmcnt(4)
	v_pk_fma_f16 v8, v31, v25, v8 op_sel_hi:[1,0,1]
	s_delay_alu instid0(VALU_DEP_1) | instskip(SKIP_1) | instid1(VALU_DEP_1)
	v_pk_fma_f16 v8, v32, v25, v8 op_sel:[0,1,0]
	s_waitcnt lgkmcnt(2)
	v_pk_fma_f16 v8, v16, v26, v8 op_sel_hi:[1,0,1]
	s_delay_alu instid0(VALU_DEP_1)
	v_pk_fma_f16 v8, v17, v26, v8 op_sel:[0,1,0]
	ds_load_2addr_b32 v[16:17], v12 offset0:112 offset1:132
	v_add_nc_u32_e32 v12, 0x400, v13
	s_waitcnt lgkmcnt(2)
	v_pk_fma_f16 v8, v19, v27, v8 op_sel_hi:[1,0,1]
	ds_load_2addr_b32 v[31:32], v12 offset0:64 offset1:84
	v_pk_fma_f16 v8, v20, v27, v8 op_sel:[0,1,0]
	ds_load_2addr_b32 v[19:20], v12 offset0:24 offset1:44
	s_waitcnt lgkmcnt(3)
	v_pk_fma_f16 v8, v23, v28, v8 op_sel_hi:[1,0,1]
	s_delay_alu instid0(VALU_DEP_1) | instskip(SKIP_3) | instid1(VALU_DEP_1)
	v_pk_fma_f16 v8, v24, v28, v8 op_sel:[0,1,0]
	ds_load_b128 v[23:26], v3 offset:32
	s_waitcnt lgkmcnt(3)
	v_pk_fma_f16 v8, v16, v29, v8 op_sel_hi:[1,0,1]
	v_pk_fma_f16 v8, v17, v29, v8 op_sel:[0,1,0]
	ds_load_2addr_b32 v[16:17], v12 offset0:104 offset1:124
	s_waitcnt lgkmcnt(2)
	v_pk_fma_f16 v8, v19, v30, v8 op_sel_hi:[1,0,1]
	s_delay_alu instid0(VALU_DEP_1)
	v_pk_fma_f16 v8, v20, v30, v8 op_sel:[0,1,0]
	ds_load_b128 v[27:30], v3 offset:48
	ds_load_2addr_b32 v[19:20], v12 offset0:144 offset1:164
	s_waitcnt lgkmcnt(3)
	v_pk_fma_f16 v3, v31, v23, v8 op_sel_hi:[1,0,1]
	v_add_nc_u32_e32 v8, 0x800, v13
	s_delay_alu instid0(VALU_DEP_2) | instskip(SKIP_3) | instid1(VALU_DEP_1)
	v_pk_fma_f16 v3, v32, v23, v3 op_sel:[0,1,0]
	ds_load_2addr_b32 v[31:32], v12 offset0:184 offset1:204
	s_waitcnt lgkmcnt(3)
	v_pk_fma_f16 v3, v16, v24, v3 op_sel_hi:[1,0,1]
	v_pk_fma_f16 v3, v17, v24, v3 op_sel:[0,1,0]
	ds_load_2addr_b32 v[16:17], v12 offset0:224 offset1:244
	ds_load_2addr_b32 v[12:13], v8 offset0:8 offset1:28
	s_waitcnt lgkmcnt(3)
	v_pk_fma_f16 v3, v19, v25, v3 op_sel_hi:[1,0,1]
	s_delay_alu instid0(VALU_DEP_1) | instskip(SKIP_3) | instid1(VALU_DEP_1)
	v_pk_fma_f16 v3, v20, v25, v3 op_sel:[0,1,0]
	ds_load_2addr_b32 v[19:20], v8 offset0:48 offset1:68
	s_waitcnt lgkmcnt(3)
	v_pk_fma_f16 v3, v31, v26, v3 op_sel_hi:[1,0,1]
	v_pk_fma_f16 v3, v32, v26, v3 op_sel:[0,1,0]
	s_waitcnt lgkmcnt(2)
	s_delay_alu instid0(VALU_DEP_1) | instskip(NEXT) | instid1(VALU_DEP_1)
	v_pk_fma_f16 v3, v16, v27, v3 op_sel_hi:[1,0,1]
	v_pk_fma_f16 v3, v17, v27, v3 op_sel:[0,1,0]
	ds_load_2addr_b32 v[16:17], v8 offset0:88 offset1:108
	s_waitcnt lgkmcnt(0)
	s_barrier
	buffer_gl0_inv
	v_pk_fma_f16 v3, v12, v28, v3 op_sel_hi:[1,0,1]
	s_delay_alu instid0(VALU_DEP_1) | instskip(NEXT) | instid1(VALU_DEP_1)
	v_pk_fma_f16 v3, v13, v28, v3 op_sel:[0,1,0]
	v_pk_fma_f16 v3, v19, v29, v3 op_sel_hi:[1,0,1]
	s_delay_alu instid0(VALU_DEP_1) | instskip(NEXT) | instid1(VALU_DEP_1)
	v_pk_fma_f16 v3, v20, v29, v3 op_sel:[0,1,0]
	v_pk_fma_f16 v3, v16, v30, v3 op_sel_hi:[1,0,1]
	s_delay_alu instid0(VALU_DEP_1)
	v_pk_fma_f16 v14, v17, v30, v3 op_sel:[0,1,0]
.LBB65_33:
	v_cmp_lt_i32_e32 vcc_lo, v7, v1
	s_cmp_eq_u64 s[24:25], 0
	s_cselect_b32 s0, -1, 0
	s_cmp_lg_u32 s14, 0
	v_cndmask_b32_e32 v0, v6, v7, vcc_lo
	v_cmp_lt_i32_e32 vcc_lo, v9, v1
	s_cselect_b32 s1, -1, 0
	s_delay_alu instid0(SALU_CYCLE_1) | instskip(NEXT) | instid1(VALU_DEP_2)
	s_or_b32 s0, s1, s0
	v_dual_cndmask_b32 v3, v6, v9 :: v_dual_lshlrev_b32 v0, 2, v0
	v_cmp_lt_i32_e32 vcc_lo, v10, v1
	ds_bpermute_b32 v0, v0, v18
	s_waitcnt lgkmcnt(0)
	v_dual_add_f32 v0, v18, v0 :: v_dual_lshlrev_b32 v3, 2, v3
	ds_bpermute_b32 v3, v3, v0
	v_cndmask_b32_e32 v7, v6, v10, vcc_lo
	v_cmp_lt_i32_e32 vcc_lo, v11, v1
	s_waitcnt lgkmcnt(0)
	v_add_f32_e32 v0, v0, v3
	s_delay_alu instid0(VALU_DEP_3) | instskip(SKIP_3) | instid1(VALU_DEP_2)
	v_lshlrev_b32_e32 v7, 2, v7
	ds_bpermute_b32 v3, v7, v0
	v_cndmask_b32_e32 v7, v6, v11, vcc_lo
	v_cmp_lt_i32_e32 vcc_lo, v22, v1
	v_lshlrev_b32_e32 v7, 2, v7
	v_cndmask_b32_e32 v1, v6, v22, vcc_lo
	s_and_b32 vcc_lo, exec_lo, s0
	s_waitcnt lgkmcnt(0)
	s_delay_alu instid0(VALU_DEP_1)
	v_dual_add_f32 v0, v0, v3 :: v_dual_lshlrev_b32 v1, 2, v1
	ds_bpermute_b32 v3, v7, v0
	s_waitcnt lgkmcnt(0)
	v_add_f32_e32 v0, v0, v3
	ds_bpermute_b32 v1, v1, v0
	s_waitcnt lgkmcnt(0)
	v_add_f32_e32 v3, v0, v1
	s_cbranch_vccnz .LBB65_35
; %bb.34:
	s_lshl_b64 s[0:1], s[34:35], 2
	v_dual_mov_b32 v0, 0 :: v_dual_max_f32 v1, v2, v2
	s_add_u32 s0, s24, s0
	s_addc_u32 s1, s25, s1
	global_load_b32 v0, v0, s[0:1]
	s_waitcnt vmcnt(0)
	v_max_f32_e32 v6, v0, v0
	s_delay_alu instid0(VALU_DEP_1) | instskip(NEXT) | instid1(VALU_DEP_1)
	v_max_f32_e32 v1, v1, v6
	v_sub_f32_e32 v2, v2, v1
	s_delay_alu instid0(VALU_DEP_1) | instskip(NEXT) | instid1(VALU_DEP_1)
	v_mul_f32_e32 v6, 0x3fb8aa3b, v2
	v_rndne_f32_e32 v9, v6
	v_fma_f32 v8, 0x3fb8aa3b, v2, -v6
	s_delay_alu instid0(VALU_DEP_2) | instskip(SKIP_1) | instid1(VALU_DEP_1)
	v_sub_f32_e32 v6, v6, v9
	v_sub_f32_e32 v0, v0, v1
	v_mul_f32_e32 v7, 0x3fb8aa3b, v0
	s_delay_alu instid0(VALU_DEP_4) | instskip(SKIP_1) | instid1(VALU_DEP_3)
	v_fmac_f32_e32 v8, 0x32a5705f, v2
	v_cmp_ngt_f32_e32 vcc_lo, 0xc2ce8ed0, v2
	v_fma_f32 v10, 0x3fb8aa3b, v0, -v7
	v_rndne_f32_e32 v11, v7
	s_delay_alu instid0(VALU_DEP_4) | instskip(SKIP_1) | instid1(VALU_DEP_3)
	v_add_f32_e32 v6, v6, v8
	v_cvt_i32_f32_e32 v8, v9
	v_dual_fmac_f32 v10, 0x32a5705f, v0 :: v_dual_sub_f32 v7, v7, v11
	s_delay_alu instid0(VALU_DEP_3) | instskip(SKIP_1) | instid1(VALU_DEP_2)
	v_exp_f32_e32 v6, v6
	v_cvt_i32_f32_e32 v9, v11
	v_add_f32_e32 v7, v7, v10
	s_delay_alu instid0(VALU_DEP_1) | instskip(SKIP_2) | instid1(VALU_DEP_1)
	v_exp_f32_e32 v7, v7
	s_waitcnt_depctr 0xfff
	v_ldexp_f32 v6, v6, v8
	v_cndmask_b32_e32 v6, 0, v6, vcc_lo
	v_cmp_ngt_f32_e32 vcc_lo, 0xc2ce8ed0, v0
	v_ldexp_f32 v7, v7, v9
	s_delay_alu instid0(VALU_DEP_1) | instskip(SKIP_3) | instid1(VALU_DEP_2)
	v_cndmask_b32_e32 v7, 0, v7, vcc_lo
	v_cmp_nlt_f32_e32 vcc_lo, 0x42b17218, v2
	v_cndmask_b32_e32 v2, 0x7f800000, v6, vcc_lo
	v_cmp_nlt_f32_e32 vcc_lo, 0x42b17218, v0
	v_cvt_f16_f32_e32 v6, v2
	v_cndmask_b32_e32 v0, 0x7f800000, v7, vcc_lo
	s_delay_alu instid0(VALU_DEP_2) | instskip(NEXT) | instid1(VALU_DEP_2)
	v_pk_mul_f16 v14, v14, v6 op_sel_hi:[1,0]
	v_fmac_f32_e32 v0, v3, v2
	s_delay_alu instid0(VALU_DEP_1)
	v_dual_mov_b32 v2, v1 :: v_dual_mov_b32 v3, v0
.LBB65_35:
	s_mov_b32 s0, exec_lo
	v_cmpx_gt_i32_e64 s10, v5
	s_cbranch_execz .LBB65_40
; %bb.36:
	s_load_b32 s0, s[2:3], 0xd4
	v_mad_u64_u32 v[0:1], null, s12, s10, v[5:6]
	s_delay_alu instid0(VALU_DEP_1) | instskip(SKIP_1) | instid1(VALU_DEP_1)
	v_mad_u64_u32 v[5:6], null, v0, s11, s[34:35]
	s_waitcnt lgkmcnt(0)
	v_mad_u64_u32 v[0:1], null, s0, v5, s[14:15]
	s_cmp_lg_u32 s0, 1
	s_cselect_b32 s0, -1, 0
	s_and_saveexec_b32 s1, s4
	s_cbranch_execz .LBB65_38
; %bb.37:
	v_div_scale_f32 v1, null, v3, v3, 1.0
	v_div_scale_f32 v7, vcc_lo, 1.0, v3, 1.0
	v_cvt_f32_f16_e32 v9, v14
	s_delay_alu instid0(VALU_DEP_3) | instskip(SKIP_2) | instid1(VALU_DEP_1)
	v_rcp_f32_e32 v5, v1
	s_waitcnt_depctr 0xfff
	v_fma_f32 v6, -v1, v5, 1.0
	v_fmac_f32_e32 v5, v6, v5
	s_delay_alu instid0(VALU_DEP_1) | instskip(NEXT) | instid1(VALU_DEP_1)
	v_mul_f32_e32 v6, v7, v5
	v_fma_f32 v8, -v1, v6, v7
	s_delay_alu instid0(VALU_DEP_1) | instskip(SKIP_1) | instid1(VALU_DEP_2)
	v_fmac_f32_e32 v6, v8, v5
	v_lshrrev_b32_e32 v8, 16, v14
	v_fma_f32 v1, -v1, v6, v7
	v_mul_lo_u32 v7, v0, 40
	s_delay_alu instid0(VALU_DEP_2) | instskip(SKIP_1) | instid1(VALU_DEP_3)
	v_div_fmas_f32 v1, v1, v5, v6
	v_mov_b32_e32 v6, 0
	v_lshl_add_u32 v5, v4, 1, v7
	s_delay_alu instid0(VALU_DEP_3) | instskip(SKIP_1) | instid1(VALU_DEP_3)
	v_div_fixup_f32 v1, v1, v3, 1.0
	v_cvt_f32_f16_e32 v7, v8
	v_lshlrev_b64 v[5:6], 2, v[5:6]
	s_delay_alu instid0(VALU_DEP_3) | instskip(NEXT) | instid1(VALU_DEP_2)
	v_cndmask_b32_e64 v1, v1, 1.0, s0
	v_add_co_u32 v5, vcc_lo, s28, v5
	s_delay_alu instid0(VALU_DEP_2)
	v_mul_f32_e32 v8, v1, v7
	v_mul_f32_e32 v7, v1, v9
	v_add_co_ci_u32_e32 v6, vcc_lo, s29, v6, vcc_lo
	global_store_b64 v[5:6], v[7:8], off
.LBB65_38:
	s_or_b32 exec_lo, exec_lo, s1
	v_cmp_eq_u32_e32 vcc_lo, 0, v4
	s_and_b32 s0, vcc_lo, s0
	s_delay_alu instid0(SALU_CYCLE_1)
	s_and_b32 exec_lo, exec_lo, s0
	s_cbranch_execz .LBB65_40
; %bb.39:
	v_ashrrev_i32_e32 v1, 31, v0
	s_delay_alu instid0(VALU_DEP_1) | instskip(NEXT) | instid1(VALU_DEP_1)
	v_lshlrev_b64 v[0:1], 3, v[0:1]
	v_add_co_u32 v0, vcc_lo, s30, v0
	s_delay_alu instid0(VALU_DEP_2)
	v_add_co_ci_u32_e32 v1, vcc_lo, s31, v1, vcc_lo
	global_store_b64 v[0:1], v[2:3], off
.LBB65_40:
	s_nop 0
	s_sendmsg sendmsg(MSG_DEALLOC_VGPRS)
	s_endpgm
	.section	.rodata,"a",@progbits
	.p2align	6, 0x0
	.amdhsa_kernel _ZL15flash_attn_tileILi40ELi40ELi4ELi1ELb0EEvPKcS1_S1_S1_S1_PKiPfP15HIP_vector_typeIfLj2EEffffjfiS5_IjLj3EEiiiiiiiiiiiliiliiiiil
		.amdhsa_group_segment_fixed_size 7840
		.amdhsa_private_segment_fixed_size 32
		.amdhsa_kernarg_size 464
		.amdhsa_user_sgpr_count 13
		.amdhsa_user_sgpr_dispatch_ptr 1
		.amdhsa_user_sgpr_queue_ptr 0
		.amdhsa_user_sgpr_kernarg_segment_ptr 1
		.amdhsa_user_sgpr_dispatch_id 0
		.amdhsa_user_sgpr_private_segment_size 0
		.amdhsa_wavefront_size32 1
		.amdhsa_uses_dynamic_stack 0
		.amdhsa_enable_private_segment 1
		.amdhsa_system_sgpr_workgroup_id_x 1
		.amdhsa_system_sgpr_workgroup_id_y 1
		.amdhsa_system_sgpr_workgroup_id_z 1
		.amdhsa_system_sgpr_workgroup_info 0
		.amdhsa_system_vgpr_workitem_id 2
		.amdhsa_next_free_vgpr 47
		.amdhsa_next_free_sgpr 48
		.amdhsa_reserve_vcc 1
		.amdhsa_float_round_mode_32 0
		.amdhsa_float_round_mode_16_64 0
		.amdhsa_float_denorm_mode_32 3
		.amdhsa_float_denorm_mode_16_64 3
		.amdhsa_dx10_clamp 1
		.amdhsa_ieee_mode 1
		.amdhsa_fp16_overflow 0
		.amdhsa_workgroup_processor_mode 1
		.amdhsa_memory_ordered 1
		.amdhsa_forward_progress 0
		.amdhsa_shared_vgpr_count 0
		.amdhsa_exception_fp_ieee_invalid_op 0
		.amdhsa_exception_fp_denorm_src 0
		.amdhsa_exception_fp_ieee_div_zero 0
		.amdhsa_exception_fp_ieee_overflow 0
		.amdhsa_exception_fp_ieee_underflow 0
		.amdhsa_exception_fp_ieee_inexact 0
		.amdhsa_exception_int_div_zero 0
	.end_amdhsa_kernel
	.section	.text._ZL15flash_attn_tileILi40ELi40ELi4ELi1ELb0EEvPKcS1_S1_S1_S1_PKiPfP15HIP_vector_typeIfLj2EEffffjfiS5_IjLj3EEiiiiiiiiiiiliiliiiiil,"axG",@progbits,_ZL15flash_attn_tileILi40ELi40ELi4ELi1ELb0EEvPKcS1_S1_S1_S1_PKiPfP15HIP_vector_typeIfLj2EEffffjfiS5_IjLj3EEiiiiiiiiiiiliiliiiiil,comdat
.Lfunc_end65:
	.size	_ZL15flash_attn_tileILi40ELi40ELi4ELi1ELb0EEvPKcS1_S1_S1_S1_PKiPfP15HIP_vector_typeIfLj2EEffffjfiS5_IjLj3EEiiiiiiiiiiiliiliiiiil, .Lfunc_end65-_ZL15flash_attn_tileILi40ELi40ELi4ELi1ELb0EEvPKcS1_S1_S1_S1_PKiPfP15HIP_vector_typeIfLj2EEffffjfiS5_IjLj3EEiiiiiiiiiiiliiliiiiil
                                        ; -- End function
	.section	.AMDGPU.csdata,"",@progbits
; Kernel info:
; codeLenInByte = 8064
; NumSgprs: 50
; NumVgprs: 47
; ScratchSize: 32
; MemoryBound: 0
; FloatMode: 240
; IeeeMode: 1
; LDSByteSize: 7840 bytes/workgroup (compile time only)
; SGPRBlocks: 6
; VGPRBlocks: 5
; NumSGPRsForWavesPerEU: 50
; NumVGPRsForWavesPerEU: 47
; Occupancy: 16
; WaveLimiterHint : 1
; COMPUTE_PGM_RSRC2:SCRATCH_EN: 1
; COMPUTE_PGM_RSRC2:USER_SGPR: 13
; COMPUTE_PGM_RSRC2:TRAP_HANDLER: 0
; COMPUTE_PGM_RSRC2:TGID_X_EN: 1
; COMPUTE_PGM_RSRC2:TGID_Y_EN: 1
; COMPUTE_PGM_RSRC2:TGID_Z_EN: 1
; COMPUTE_PGM_RSRC2:TIDIG_COMP_CNT: 2
	.section	.text._ZL33flash_attn_stream_k_fixup_uniformILi40ELi4ELi1EEvPfPK15HIP_vector_typeIfLj2EEiiiiiiS1_IjLj3EES5_S5_,"axG",@progbits,_ZL33flash_attn_stream_k_fixup_uniformILi40ELi4ELi1EEvPfPK15HIP_vector_typeIfLj2EEiiiiiiS1_IjLj3EES5_S5_,comdat
	.globl	_ZL33flash_attn_stream_k_fixup_uniformILi40ELi4ELi1EEvPfPK15HIP_vector_typeIfLj2EEiiiiiiS1_IjLj3EES5_S5_ ; -- Begin function _ZL33flash_attn_stream_k_fixup_uniformILi40ELi4ELi1EEvPfPK15HIP_vector_typeIfLj2EEiiiiiiS1_IjLj3EES5_S5_
	.p2align	8
	.type	_ZL33flash_attn_stream_k_fixup_uniformILi40ELi4ELi1EEvPfPK15HIP_vector_typeIfLj2EEiiiiiiS1_IjLj3EES5_S5_,@function
_ZL33flash_attn_stream_k_fixup_uniformILi40ELi4ELi1EEvPfPK15HIP_vector_typeIfLj2EEiiiiiiS1_IjLj3EES5_S5_: ; @_ZL33flash_attn_stream_k_fixup_uniformILi40ELi4ELi1EEvPfPK15HIP_vector_typeIfLj2EEiiiiiiS1_IjLj3EES5_S5_
; %bb.0:
	s_clause 0x1
	s_load_b256 s[4:11], s[0:1], 0x1c
	s_load_b128 s[16:19], s[0:1], 0x3c
	s_waitcnt lgkmcnt(0)
	s_mul_hi_u32 s2, s7, s13
	s_delay_alu instid0(SALU_CYCLE_1) | instskip(NEXT) | instid1(SALU_CYCLE_1)
	s_add_i32 s2, s13, s2
	s_lshr_b32 s2, s2, s8
	s_delay_alu instid0(SALU_CYCLE_1) | instskip(SKIP_2) | instid1(SALU_CYCLE_1)
	s_mul_i32 s3, s2, s9
	s_load_b64 s[8:9], s[0:1], 0x10
	s_sub_i32 s3, s13, s3
	s_mul_hi_u32 s7, s3, s10
	s_delay_alu instid0(SALU_CYCLE_1) | instskip(NEXT) | instid1(SALU_CYCLE_1)
	s_add_i32 s7, s3, s7
	s_lshr_b32 s7, s7, s11
	s_delay_alu instid0(SALU_CYCLE_1) | instskip(NEXT) | instid1(SALU_CYCLE_1)
	s_mul_i32 s10, s7, s16
	s_sub_i32 s3, s3, s10
	s_delay_alu instid0(SALU_CYCLE_1) | instskip(NEXT) | instid1(SALU_CYCLE_1)
	s_mul_hi_u32 s10, s3, s17
	s_add_i32 s10, s3, s10
	s_delay_alu instid0(SALU_CYCLE_1) | instskip(NEXT) | instid1(SALU_CYCLE_1)
	s_lshr_b32 s11, s10, s18
	s_mul_i32 s10, s11, s19
	s_delay_alu instid0(SALU_CYCLE_1) | instskip(NEXT) | instid1(SALU_CYCLE_1)
	s_sub_i32 s10, s3, s10
	s_lshl_b32 s3, s10, 2
	s_delay_alu instid0(SALU_CYCLE_1) | instskip(SKIP_4) | instid1(SALU_CYCLE_1)
	s_add_i32 s3, s3, s14
	s_waitcnt lgkmcnt(0)
	s_cmp_lt_i32 s3, s8
	s_cselect_b32 s3, -1, 0
	s_add_i32 s11, s11, s15
	s_cmp_lt_i32 s11, s5
	s_cselect_b32 s12, -1, 0
	s_delay_alu instid0(SALU_CYCLE_1) | instskip(NEXT) | instid1(SALU_CYCLE_1)
	s_and_b32 s3, s3, s12
	s_and_not1_b32 vcc_lo, exec_lo, s3
	s_cbranch_vccnz .LBB66_6
; %bb.1:
	s_mul_i32 s8, s2, s8
	s_mul_i32 s7, s7, s5
	s_add_i32 s8, s8, s14
	s_add_i32 s5, s11, s7
	s_mul_i32 s8, s8, s9
	s_load_b128 s[0:3], s[0:1], 0x0
	s_mul_i32 s7, s9, s10
	s_add_i32 s5, s5, s8
	s_mulk_i32 s7, 0xa0
	s_mul_i32 s5, s5, 40
	s_add_i32 s10, s14, s15
	v_add3_u32 v1, s5, s7, v0
	s_mul_i32 s5, s13, s6
	s_delay_alu instid0(SALU_CYCLE_1) | instskip(NEXT) | instid1(VALU_DEP_1)
	s_add_i32 s9, s5, s6
	v_ashrrev_i32_e32 v2, 31, v1
	s_delay_alu instid0(VALU_DEP_1) | instskip(SKIP_1) | instid1(VALU_DEP_1)
	v_lshlrev_b64 v[1:2], 2, v[1:2]
	s_waitcnt lgkmcnt(0)
	v_add_co_u32 v1, vcc_lo, s0, v1
	s_delay_alu instid0(VALU_DEP_2) | instskip(SKIP_1) | instid1(SALU_CYCLE_1)
	v_add_co_ci_u32_e32 v2, vcc_lo, s1, v2, vcc_lo
	s_lshl_b32 s0, s9, 2
	s_add_i32 s0, s10, s0
	global_load_b32 v5, v[1:2], off
	s_add_i32 s0, s0, -4
	s_delay_alu instid0(SALU_CYCLE_1) | instskip(NEXT) | instid1(SALU_CYCLE_1)
	s_ashr_i32 s1, s0, 31
	s_lshl_b64 s[0:1], s[0:1], 3
	s_delay_alu instid0(SALU_CYCLE_1)
	s_add_u32 s0, s2, s0
	s_addc_u32 s1, s3, s1
	s_add_i32 s7, s9, -2
	s_load_b32 s11, s[0:1], 0x4
	s_cmp_lt_i32 s7, s5
	s_cbranch_scc1 .LBB66_4
; %bb.2:
	s_load_b32 s12, s[0:1], 0x0
	s_lshl_b32 s0, s4, 4
	s_waitcnt lgkmcnt(0)
	v_mov_b32_e32 v6, s11
	s_ashr_i32 s1, s0, 31
	s_delay_alu instid0(SALU_CYCLE_1) | instskip(NEXT) | instid1(SALU_CYCLE_1)
	s_lshl_b64 s[0:1], s[0:1], 2
	s_add_u32 s7, s2, s0
	s_addc_u32 s8, s3, s1
	s_add_i32 s13, s13, 1
	s_mul_i32 s1, s10, 40
	s_mul_i32 s0, s6, s13
	s_delay_alu instid0(SALU_CYCLE_1)
	s_lshl_b32 s6, s0, 2
	s_mulk_i32 s0, 0xa0
	s_add_i32 s6, s10, s6
	s_add_i32 s1, s1, s0
	s_lshl_b32 s0, s4, 2
	v_add3_u32 v3, s1, v0, 0xfffffec0
	s_add_i32 s0, s6, s0
	v_mov_b32_e32 v0, s12
	s_add_i32 s4, s9, -1
	s_add_i32 s0, s0, -8
.LBB66_3:                               ; =>This Inner Loop Header: Depth=1
	s_delay_alu instid0(VALU_DEP_2) | instskip(SKIP_1) | instid1(SALU_CYCLE_1)
	v_ashrrev_i32_e32 v4, 31, v3
	s_ashr_i32 s1, s0, 31
	s_lshl_b64 s[10:11], s[0:1], 3
	s_delay_alu instid0(SALU_CYCLE_1) | instskip(NEXT) | instid1(VALU_DEP_1)
	s_add_u32 s10, s2, s10
	v_lshlrev_b64 v[7:8], 2, v[3:4]
	s_addc_u32 s11, s3, s11
	s_add_i32 s4, s4, -1
	s_add_i32 s0, s0, -4
	s_cmp_le_i32 s4, s5
	s_load_b64 s[10:11], s[10:11], 0x0
	v_add_co_u32 v7, vcc_lo, s7, v7
	v_add_co_ci_u32_e32 v8, vcc_lo, s8, v8, vcc_lo
	global_load_b32 v4, v[7:8], off
	v_max_f32_e32 v7, v0, v0
	s_waitcnt lgkmcnt(0)
	v_max_f32_e64 v8, s10, s10
	s_delay_alu instid0(VALU_DEP_1) | instskip(NEXT) | instid1(VALU_DEP_1)
	v_max_f32_e32 v7, v7, v8
	v_sub_f32_e32 v8, s10, v7
	s_delay_alu instid0(VALU_DEP_1) | instskip(NEXT) | instid1(VALU_DEP_1)
	v_dual_sub_f32 v0, v0, v7 :: v_dual_mul_f32 v9, 0x3fb8aa3b, v8
	v_fma_f32 v10, 0x3fb8aa3b, v8, -v9
	v_rndne_f32_e32 v11, v9
	s_delay_alu instid0(VALU_DEP_3) | instskip(NEXT) | instid1(VALU_DEP_2)
	v_mul_f32_e32 v12, 0x3fb8aa3b, v0
	v_dual_fmac_f32 v10, 0x32a5705f, v8 :: v_dual_sub_f32 v9, v9, v11
	v_cvt_i32_f32_e32 v11, v11
	s_delay_alu instid0(VALU_DEP_3) | instskip(SKIP_1) | instid1(VALU_DEP_4)
	v_fma_f32 v13, 0x3fb8aa3b, v0, -v12
	v_rndne_f32_e32 v14, v12
	v_add_f32_e32 v9, v9, v10
	v_cmp_ngt_f32_e32 vcc_lo, 0xc2ce8ed0, v8
	s_delay_alu instid0(VALU_DEP_3) | instskip(NEXT) | instid1(VALU_DEP_3)
	v_sub_f32_e32 v10, v12, v14
	v_exp_f32_e32 v9, v9
	s_waitcnt_depctr 0xfff
	v_ldexp_f32 v9, v9, v11
	v_cvt_i32_f32_e32 v11, v14
	s_delay_alu instid0(VALU_DEP_2) | instskip(SKIP_1) | instid1(VALU_DEP_2)
	v_cndmask_b32_e32 v9, 0, v9, vcc_lo
	v_cmp_nlt_f32_e32 vcc_lo, 0x42b17218, v8
	v_cndmask_b32_e32 v9, 0x7f800000, v9, vcc_lo
	v_cmp_ngt_f32_e32 vcc_lo, 0xc2ce8ed0, v0
	v_fmac_f32_e32 v13, 0x32a5705f, v0
	s_delay_alu instid0(VALU_DEP_1) | instskip(NEXT) | instid1(VALU_DEP_1)
	v_add_f32_e32 v10, v10, v13
	v_exp_f32_e32 v10, v10
	s_waitcnt_depctr 0xfff
	v_ldexp_f32 v10, v10, v11
	s_delay_alu instid0(VALU_DEP_1)
	v_dual_mov_b32 v11, v6 :: v_dual_cndmask_b32 v10, 0, v10
	v_cmp_le_f32_e32 vcc_lo, 0xc1a00000, v8
	s_waitcnt vmcnt(1)
	v_dual_cndmask_b32 v8, 0, v9 :: v_dual_mov_b32 v9, v5
	v_cmp_nlt_f32_e32 vcc_lo, 0x42b17218, v0
	v_cndmask_b32_e32 v5, 0x7f800000, v10, vcc_lo
	s_delay_alu instid0(VALU_DEP_3) | instskip(SKIP_2) | instid1(VALU_DEP_3)
	v_mul_f32_e32 v10, s11, v8
	v_cmp_le_f32_e32 vcc_lo, 0xc1a00000, v0
	v_mov_b32_e32 v0, v7
	v_mov_b32_e32 v6, v10
	s_waitcnt vmcnt(0)
	v_dual_cndmask_b32 v12, 0, v5 :: v_dual_mul_f32 v5, v4, v8
	s_delay_alu instid0(VALU_DEP_1) | instskip(NEXT) | instid1(VALU_DEP_2)
	v_dual_fmac_f32 v6, v11, v12 :: v_dual_add_nc_u32 v3, 0xffffff60, v3
	v_fmac_f32_e32 v5, v9, v12
	s_cbranch_scc0 .LBB66_3
	s_branch .LBB66_5
.LBB66_4:
	s_waitcnt lgkmcnt(0)
	v_mov_b32_e32 v6, s11
.LBB66_5:
	s_waitcnt vmcnt(0)
	s_delay_alu instid0(VALU_DEP_1) | instskip(NEXT) | instid1(VALU_DEP_1)
	v_div_scale_f32 v0, null, v6, v6, v5
	v_rcp_f32_e32 v3, v0
	s_waitcnt_depctr 0xfff
	v_fma_f32 v4, -v0, v3, 1.0
	s_delay_alu instid0(VALU_DEP_1) | instskip(SKIP_1) | instid1(VALU_DEP_1)
	v_fmac_f32_e32 v3, v4, v3
	v_div_scale_f32 v4, vcc_lo, v5, v6, v5
	v_mul_f32_e32 v7, v4, v3
	s_delay_alu instid0(VALU_DEP_1) | instskip(NEXT) | instid1(VALU_DEP_1)
	v_fma_f32 v8, -v0, v7, v4
	v_fmac_f32_e32 v7, v8, v3
	s_delay_alu instid0(VALU_DEP_1) | instskip(NEXT) | instid1(VALU_DEP_1)
	v_fma_f32 v0, -v0, v7, v4
	v_div_fmas_f32 v0, v0, v3, v7
	s_delay_alu instid0(VALU_DEP_1)
	v_div_fixup_f32 v0, v0, v6, v5
	global_store_b32 v[1:2], v0, off
.LBB66_6:
	s_nop 0
	s_sendmsg sendmsg(MSG_DEALLOC_VGPRS)
	s_endpgm
	.section	.rodata,"a",@progbits
	.p2align	6, 0x0
	.amdhsa_kernel _ZL33flash_attn_stream_k_fixup_uniformILi40ELi4ELi1EEvPfPK15HIP_vector_typeIfLj2EEiiiiiiS1_IjLj3EES5_S5_
		.amdhsa_group_segment_fixed_size 0
		.amdhsa_private_segment_fixed_size 0
		.amdhsa_kernarg_size 76
		.amdhsa_user_sgpr_count 13
		.amdhsa_user_sgpr_dispatch_ptr 0
		.amdhsa_user_sgpr_queue_ptr 0
		.amdhsa_user_sgpr_kernarg_segment_ptr 1
		.amdhsa_user_sgpr_dispatch_id 0
		.amdhsa_user_sgpr_private_segment_size 0
		.amdhsa_wavefront_size32 1
		.amdhsa_uses_dynamic_stack 0
		.amdhsa_enable_private_segment 0
		.amdhsa_system_sgpr_workgroup_id_x 1
		.amdhsa_system_sgpr_workgroup_id_y 1
		.amdhsa_system_sgpr_workgroup_id_z 1
		.amdhsa_system_sgpr_workgroup_info 0
		.amdhsa_system_vgpr_workitem_id 0
		.amdhsa_next_free_vgpr 15
		.amdhsa_next_free_sgpr 20
		.amdhsa_reserve_vcc 1
		.amdhsa_float_round_mode_32 0
		.amdhsa_float_round_mode_16_64 0
		.amdhsa_float_denorm_mode_32 3
		.amdhsa_float_denorm_mode_16_64 3
		.amdhsa_dx10_clamp 1
		.amdhsa_ieee_mode 1
		.amdhsa_fp16_overflow 0
		.amdhsa_workgroup_processor_mode 1
		.amdhsa_memory_ordered 1
		.amdhsa_forward_progress 0
		.amdhsa_shared_vgpr_count 0
		.amdhsa_exception_fp_ieee_invalid_op 0
		.amdhsa_exception_fp_denorm_src 0
		.amdhsa_exception_fp_ieee_div_zero 0
		.amdhsa_exception_fp_ieee_overflow 0
		.amdhsa_exception_fp_ieee_underflow 0
		.amdhsa_exception_fp_ieee_inexact 0
		.amdhsa_exception_int_div_zero 0
	.end_amdhsa_kernel
	.section	.text._ZL33flash_attn_stream_k_fixup_uniformILi40ELi4ELi1EEvPfPK15HIP_vector_typeIfLj2EEiiiiiiS1_IjLj3EES5_S5_,"axG",@progbits,_ZL33flash_attn_stream_k_fixup_uniformILi40ELi4ELi1EEvPfPK15HIP_vector_typeIfLj2EEiiiiiiS1_IjLj3EES5_S5_,comdat
.Lfunc_end66:
	.size	_ZL33flash_attn_stream_k_fixup_uniformILi40ELi4ELi1EEvPfPK15HIP_vector_typeIfLj2EEiiiiiiS1_IjLj3EES5_S5_, .Lfunc_end66-_ZL33flash_attn_stream_k_fixup_uniformILi40ELi4ELi1EEvPfPK15HIP_vector_typeIfLj2EEiiiiiiS1_IjLj3EES5_S5_
                                        ; -- End function
	.section	.AMDGPU.csdata,"",@progbits
; Kernel info:
; codeLenInByte = 972
; NumSgprs: 22
; NumVgprs: 15
; ScratchSize: 0
; MemoryBound: 0
; FloatMode: 240
; IeeeMode: 1
; LDSByteSize: 0 bytes/workgroup (compile time only)
; SGPRBlocks: 2
; VGPRBlocks: 1
; NumSGPRsForWavesPerEU: 22
; NumVGPRsForWavesPerEU: 15
; Occupancy: 16
; WaveLimiterHint : 0
; COMPUTE_PGM_RSRC2:SCRATCH_EN: 0
; COMPUTE_PGM_RSRC2:USER_SGPR: 13
; COMPUTE_PGM_RSRC2:TRAP_HANDLER: 0
; COMPUTE_PGM_RSRC2:TGID_X_EN: 1
; COMPUTE_PGM_RSRC2:TGID_Y_EN: 1
; COMPUTE_PGM_RSRC2:TGID_Z_EN: 1
; COMPUTE_PGM_RSRC2:TIDIG_COMP_CNT: 0
	.section	.text._ZL33flash_attn_stream_k_fixup_generalILi40ELi4ELi1EEvPfPK15HIP_vector_typeIfLj2EEiiiiS1_IjLj3EES5_S5_S5_,"axG",@progbits,_ZL33flash_attn_stream_k_fixup_generalILi40ELi4ELi1EEvPfPK15HIP_vector_typeIfLj2EEiiiiS1_IjLj3EES5_S5_S5_,comdat
	.globl	_ZL33flash_attn_stream_k_fixup_generalILi40ELi4ELi1EEvPfPK15HIP_vector_typeIfLj2EEiiiiS1_IjLj3EES5_S5_S5_ ; -- Begin function _ZL33flash_attn_stream_k_fixup_generalILi40ELi4ELi1EEvPfPK15HIP_vector_typeIfLj2EEiiiiS1_IjLj3EES5_S5_S5_
	.p2align	8
	.type	_ZL33flash_attn_stream_k_fixup_generalILi40ELi4ELi1EEvPfPK15HIP_vector_typeIfLj2EEiiiiS1_IjLj3EES5_S5_S5_,@function
_ZL33flash_attn_stream_k_fixup_generalILi40ELi4ELi1EEvPfPK15HIP_vector_typeIfLj2EEiiiiS1_IjLj3EES5_S5_S5_: ; @_ZL33flash_attn_stream_k_fixup_generalILi40ELi4ELi1EEvPfPK15HIP_vector_typeIfLj2EEiiiiS1_IjLj3EES5_S5_S5_
; %bb.0:
	s_clause 0x1
	s_load_b128 s[4:7], s[0:1], 0x10
	s_load_b32 s20, s[0:1], 0x50
	s_mov_b32 s2, 0
	s_waitcnt lgkmcnt(0)
	s_mul_hi_i32 s3, s7, s13
	s_mul_i32 s12, s7, s13
	s_cmp_lg_u64 s[2:3], 0
	s_cbranch_scc0 .LBB67_21
; %bb.1:
	v_cvt_f32_ubyte0_e32 v1, 0
	v_cvt_f32_u32_e32 v2, s20
	s_sub_u32 s10, 0, s20
	s_subb_u32 s11, 0, 0
	s_delay_alu instid0(VALU_DEP_1) | instskip(NEXT) | instid1(VALU_DEP_1)
	v_fmamk_f32 v1, v1, 0x4f800000, v2
	v_rcp_f32_e32 v1, v1
	s_waitcnt_depctr 0xfff
	v_mul_f32_e32 v1, 0x5f7ffffc, v1
	s_delay_alu instid0(VALU_DEP_1) | instskip(NEXT) | instid1(VALU_DEP_1)
	v_mul_f32_e32 v2, 0x2f800000, v1
	v_trunc_f32_e32 v2, v2
	s_delay_alu instid0(VALU_DEP_1) | instskip(SKIP_1) | instid1(VALU_DEP_2)
	v_fmamk_f32 v1, v2, 0xcf800000, v1
	v_cvt_u32_f32_e32 v2, v2
	v_cvt_u32_f32_e32 v1, v1
	s_delay_alu instid0(VALU_DEP_2) | instskip(NEXT) | instid1(VALU_DEP_2)
	v_readfirstlane_b32 s8, v2
	v_readfirstlane_b32 s9, v1
	s_delay_alu instid0(VALU_DEP_2) | instskip(NEXT) | instid1(VALU_DEP_1)
	s_mul_i32 s16, s10, s8
	s_mul_hi_u32 s18, s10, s9
	s_mul_i32 s17, s11, s9
	s_add_i32 s16, s18, s16
	s_mul_i32 s19, s10, s9
	s_add_i32 s16, s16, s17
	s_mul_hi_u32 s18, s9, s19
	s_mul_hi_u32 s21, s8, s19
	s_mul_i32 s17, s8, s19
	s_mul_hi_u32 s19, s9, s16
	s_mul_i32 s9, s9, s16
	s_mul_hi_u32 s22, s8, s16
	s_add_u32 s9, s18, s9
	s_addc_u32 s18, 0, s19
	s_add_u32 s9, s9, s17
	s_mul_i32 s16, s8, s16
	s_addc_u32 s9, s18, s21
	s_addc_u32 s17, s22, 0
	s_add_u32 s9, s9, s16
	s_addc_u32 s16, 0, s17
	v_add_co_u32 v1, s9, v1, s9
	s_delay_alu instid0(VALU_DEP_1) | instskip(SKIP_1) | instid1(VALU_DEP_1)
	s_cmp_lg_u32 s9, 0
	s_addc_u32 s8, s8, s16
	v_readfirstlane_b32 s9, v1
	s_mul_i32 s16, s10, s8
	s_delay_alu instid0(VALU_DEP_1)
	s_mul_hi_u32 s17, s10, s9
	s_mul_i32 s11, s11, s9
	s_add_i32 s16, s17, s16
	s_mul_i32 s10, s10, s9
	s_add_i32 s16, s16, s11
	s_mul_hi_u32 s17, s8, s10
	s_mul_i32 s18, s8, s10
	s_mul_hi_u32 s10, s9, s10
	s_mul_hi_u32 s19, s9, s16
	s_mul_i32 s9, s9, s16
	s_mul_hi_u32 s11, s8, s16
	s_add_u32 s9, s10, s9
	s_addc_u32 s10, 0, s19
	s_add_u32 s9, s9, s18
	s_mul_i32 s16, s8, s16
	s_addc_u32 s9, s10, s17
	s_addc_u32 s10, s11, 0
	s_add_u32 s9, s9, s16
	s_addc_u32 s10, 0, s10
	v_add_co_u32 v1, s9, v1, s9
	s_delay_alu instid0(VALU_DEP_1) | instskip(SKIP_2) | instid1(SALU_CYCLE_1)
	s_cmp_lg_u32 s9, 0
	s_addc_u32 s16, s8, s10
	s_ashr_i32 s8, s3, 31
	s_add_u32 s10, s12, s8
	s_addc_u32 s11, s3, s8
	v_readfirstlane_b32 s3, v1
	s_mov_b32 s9, s8
	s_delay_alu instid0(SALU_CYCLE_1) | instskip(NEXT) | instid1(SALU_CYCLE_1)
	s_xor_b64 s[10:11], s[10:11], s[8:9]
	s_mul_i32 s18, s10, s16
	s_delay_alu instid0(VALU_DEP_1)
	s_mul_hi_u32 s19, s10, s3
	s_mul_hi_u32 s17, s10, s16
	;; [unrolled: 1-line block ×3, first 2 shown]
	s_mul_i32 s3, s11, s3
	s_add_u32 s18, s19, s18
	s_addc_u32 s17, 0, s17
	s_mul_hi_u32 s21, s11, s16
	s_add_u32 s3, s18, s3
	s_mul_i32 s16, s11, s16
	s_addc_u32 s3, s17, s22
	s_addc_u32 s17, s21, 0
	s_add_u32 s3, s3, s16
	s_addc_u32 s16, 0, s17
	s_mul_i32 s18, s20, s3
	s_add_u32 s17, s3, 1
	v_sub_co_u32 v1, s10, s10, s18
	s_mul_hi_u32 s18, s20, s3
	s_addc_u32 s19, s16, 0
	s_mul_i32 s21, s20, s16
	s_delay_alu instid0(VALU_DEP_1)
	v_sub_co_u32 v2, s22, v1, s20
	s_add_u32 s23, s3, 2
	s_addc_u32 s24, s16, 0
	s_add_i32 s18, s18, s21
	s_cmp_lg_u32 s10, 0
	v_readfirstlane_b32 s10, v2
	s_subb_u32 s11, s11, s18
	s_cmp_lg_u32 s22, 0
	s_subb_u32 s18, s11, 0
	s_delay_alu instid0(VALU_DEP_1) | instskip(SKIP_4) | instid1(SALU_CYCLE_1)
	s_cmp_ge_u32 s10, s20
	s_cselect_b32 s10, -1, 0
	s_cmp_eq_u32 s18, 0
	v_readfirstlane_b32 s18, v1
	s_cselect_b32 s10, s10, -1
	s_cmp_lg_u32 s10, 0
	s_cselect_b32 s10, s23, s17
	s_cselect_b32 s17, s24, s19
	s_cmp_ge_u32 s18, s20
	s_cselect_b32 s18, -1, 0
	s_cmp_eq_u32 s11, 0
	s_cselect_b32 s11, s18, -1
	s_delay_alu instid0(SALU_CYCLE_1) | instskip(SKIP_2) | instid1(SALU_CYCLE_1)
	s_cmp_lg_u32 s11, 0
	s_cselect_b32 s11, s17, s16
	s_cselect_b32 s10, s10, s3
	s_xor_b64 s[10:11], s[10:11], s[8:9]
	s_delay_alu instid0(SALU_CYCLE_1)
	s_sub_u32 s16, s10, s8
	s_load_b128 s[8:11], s[0:1], 0x44
	s_and_not1_b32 vcc_lo, exec_lo, s2
	s_cbranch_vccnz .LBB67_3
.LBB67_2:
	v_cvt_f32_u32_e32 v1, s20
	s_sub_i32 s3, 0, s20
	s_delay_alu instid0(VALU_DEP_1) | instskip(SKIP_2) | instid1(VALU_DEP_1)
	v_rcp_iflag_f32_e32 v1, v1
	s_waitcnt_depctr 0xfff
	v_mul_f32_e32 v1, 0x4f7ffffe, v1
	v_cvt_u32_f32_e32 v1, v1
	s_delay_alu instid0(VALU_DEP_1) | instskip(NEXT) | instid1(VALU_DEP_1)
	v_readfirstlane_b32 s2, v1
	s_mul_i32 s3, s3, s2
	s_delay_alu instid0(SALU_CYCLE_1) | instskip(NEXT) | instid1(SALU_CYCLE_1)
	s_mul_hi_u32 s3, s2, s3
	s_add_i32 s2, s2, s3
	s_delay_alu instid0(SALU_CYCLE_1) | instskip(NEXT) | instid1(SALU_CYCLE_1)
	s_mul_hi_u32 s2, s12, s2
	s_mul_i32 s3, s2, s20
	s_waitcnt lgkmcnt(0)
	s_add_i32 s11, s2, 1
	s_sub_i32 s3, s12, s3
	s_delay_alu instid0(SALU_CYCLE_1)
	s_sub_i32 s12, s3, s20
	s_cmp_ge_u32 s3, s20
	s_cselect_b32 s2, s11, s2
	s_cselect_b32 s3, s12, s3
	s_add_i32 s11, s2, 1
	s_cmp_ge_u32 s3, s20
	s_cselect_b32 s16, s11, s2
.LBB67_3:
	s_waitcnt lgkmcnt(0)
	s_add_i32 s11, s13, 1
	s_mov_b32 s2, 0
	s_mul_hi_i32 s3, s7, s11
	s_mul_i32 s11, s7, s11
	s_cmp_lg_u64 s[2:3], 0
	s_cbranch_scc0 .LBB67_22
; %bb.4:
	v_cvt_f32_ubyte0_e32 v1, 0
	v_cvt_f32_u32_e32 v2, s20
	s_sub_u32 s18, 0, s20
	s_subb_u32 s19, 0, 0
	s_delay_alu instid0(VALU_DEP_1) | instskip(NEXT) | instid1(VALU_DEP_1)
	v_fmamk_f32 v1, v1, 0x4f800000, v2
	v_rcp_f32_e32 v1, v1
	s_waitcnt_depctr 0xfff
	v_mul_f32_e32 v1, 0x5f7ffffc, v1
	s_delay_alu instid0(VALU_DEP_1) | instskip(NEXT) | instid1(VALU_DEP_1)
	v_mul_f32_e32 v2, 0x2f800000, v1
	v_trunc_f32_e32 v2, v2
	s_delay_alu instid0(VALU_DEP_1) | instskip(SKIP_1) | instid1(VALU_DEP_2)
	v_fmamk_f32 v1, v2, 0xcf800000, v1
	v_cvt_u32_f32_e32 v2, v2
	v_cvt_u32_f32_e32 v1, v1
	s_delay_alu instid0(VALU_DEP_2) | instskip(NEXT) | instid1(VALU_DEP_2)
	v_readfirstlane_b32 s12, v2
	v_readfirstlane_b32 s17, v1
	s_delay_alu instid0(VALU_DEP_2) | instskip(NEXT) | instid1(VALU_DEP_1)
	s_mul_i32 s21, s18, s12
	s_mul_hi_u32 s23, s18, s17
	s_mul_i32 s22, s19, s17
	s_add_i32 s21, s23, s21
	s_mul_i32 s24, s18, s17
	s_add_i32 s21, s21, s22
	s_mul_hi_u32 s23, s17, s24
	s_mul_hi_u32 s25, s12, s24
	s_mul_i32 s22, s12, s24
	s_mul_hi_u32 s24, s17, s21
	s_mul_i32 s17, s17, s21
	s_mul_hi_u32 s26, s12, s21
	s_add_u32 s17, s23, s17
	s_addc_u32 s23, 0, s24
	s_add_u32 s17, s17, s22
	s_mul_i32 s21, s12, s21
	s_addc_u32 s17, s23, s25
	s_addc_u32 s22, s26, 0
	s_add_u32 s17, s17, s21
	s_addc_u32 s21, 0, s22
	v_add_co_u32 v1, s17, v1, s17
	s_delay_alu instid0(VALU_DEP_1) | instskip(SKIP_1) | instid1(VALU_DEP_1)
	s_cmp_lg_u32 s17, 0
	s_addc_u32 s12, s12, s21
	v_readfirstlane_b32 s17, v1
	s_mul_i32 s21, s18, s12
	s_delay_alu instid0(VALU_DEP_1)
	s_mul_hi_u32 s22, s18, s17
	s_mul_i32 s19, s19, s17
	s_add_i32 s21, s22, s21
	s_mul_i32 s18, s18, s17
	s_add_i32 s21, s21, s19
	s_mul_hi_u32 s22, s12, s18
	s_mul_i32 s23, s12, s18
	s_mul_hi_u32 s18, s17, s18
	s_mul_hi_u32 s24, s17, s21
	s_mul_i32 s17, s17, s21
	s_mul_hi_u32 s19, s12, s21
	s_add_u32 s17, s18, s17
	s_addc_u32 s18, 0, s24
	s_add_u32 s17, s17, s23
	s_mul_i32 s21, s12, s21
	s_addc_u32 s17, s18, s22
	s_addc_u32 s18, s19, 0
	s_add_u32 s17, s17, s21
	s_addc_u32 s18, 0, s18
	v_add_co_u32 v1, s17, v1, s17
	s_delay_alu instid0(VALU_DEP_1) | instskip(SKIP_2) | instid1(SALU_CYCLE_1)
	s_cmp_lg_u32 s17, 0
	s_addc_u32 s12, s12, s18
	s_ashr_i32 s18, s3, 31
	s_add_u32 s22, s11, s18
	s_addc_u32 s23, s3, s18
	v_readfirstlane_b32 s3, v1
	s_mov_b32 s19, s18
	s_delay_alu instid0(SALU_CYCLE_1) | instskip(NEXT) | instid1(SALU_CYCLE_1)
	s_xor_b64 s[22:23], s[22:23], s[18:19]
	s_mul_i32 s21, s22, s12
	s_delay_alu instid0(VALU_DEP_1)
	s_mul_hi_u32 s24, s22, s3
	s_mul_hi_u32 s17, s22, s12
	;; [unrolled: 1-line block ×3, first 2 shown]
	s_mul_i32 s3, s23, s3
	s_add_u32 s21, s24, s21
	s_addc_u32 s17, 0, s17
	s_mul_hi_u32 s25, s23, s12
	s_add_u32 s3, s21, s3
	s_mul_i32 s12, s23, s12
	s_addc_u32 s3, s17, s26
	s_addc_u32 s17, s25, 0
	s_add_u32 s3, s3, s12
	s_addc_u32 s12, 0, s17
	s_mul_i32 s21, s20, s3
	s_add_u32 s17, s3, 1
	v_sub_co_u32 v1, s21, s22, s21
	s_mul_hi_u32 s22, s20, s3
	s_addc_u32 s24, s12, 0
	s_mul_i32 s25, s20, s12
	s_delay_alu instid0(VALU_DEP_1)
	v_sub_co_u32 v2, s26, v1, s20
	s_add_u32 s27, s3, 2
	s_addc_u32 s28, s12, 0
	s_add_i32 s22, s22, s25
	s_cmp_lg_u32 s21, 0
	v_readfirstlane_b32 s21, v2
	s_subb_u32 s22, s23, s22
	s_cmp_lg_u32 s26, 0
	s_subb_u32 s23, s22, 0
	s_delay_alu instid0(VALU_DEP_1) | instskip(SKIP_4) | instid1(SALU_CYCLE_1)
	s_cmp_ge_u32 s21, s20
	s_cselect_b32 s21, -1, 0
	s_cmp_eq_u32 s23, 0
	v_readfirstlane_b32 s23, v1
	s_cselect_b32 s21, s21, -1
	s_cmp_lg_u32 s21, 0
	s_cselect_b32 s17, s27, s17
	s_cselect_b32 s21, s28, s24
	s_cmp_ge_u32 s23, s20
	s_cselect_b32 s23, -1, 0
	s_cmp_eq_u32 s22, 0
	s_cselect_b32 s22, s23, -1
	s_delay_alu instid0(SALU_CYCLE_1) | instskip(SKIP_2) | instid1(SALU_CYCLE_1)
	s_cmp_lg_u32 s22, 0
	s_cselect_b32 s23, s21, s12
	s_cselect_b32 s22, s17, s3
	s_xor_b64 s[22:23], s[22:23], s[18:19]
	s_delay_alu instid0(SALU_CYCLE_1)
	s_sub_u32 s18, s22, s18
	s_and_not1_b32 vcc_lo, exec_lo, s2
	s_cbranch_vccnz .LBB67_6
.LBB67_5:
	v_cvt_f32_u32_e32 v1, s20
	s_sub_i32 s3, 0, s20
	s_delay_alu instid0(VALU_DEP_1) | instskip(SKIP_2) | instid1(VALU_DEP_1)
	v_rcp_iflag_f32_e32 v1, v1
	s_waitcnt_depctr 0xfff
	v_mul_f32_e32 v1, 0x4f7ffffe, v1
	v_cvt_u32_f32_e32 v1, v1
	s_delay_alu instid0(VALU_DEP_1) | instskip(NEXT) | instid1(VALU_DEP_1)
	v_readfirstlane_b32 s2, v1
	s_mul_i32 s3, s3, s2
	s_delay_alu instid0(SALU_CYCLE_1) | instskip(NEXT) | instid1(SALU_CYCLE_1)
	s_mul_hi_u32 s3, s2, s3
	s_add_i32 s2, s2, s3
	s_delay_alu instid0(SALU_CYCLE_1) | instskip(NEXT) | instid1(SALU_CYCLE_1)
	s_mul_hi_u32 s2, s11, s2
	s_mul_i32 s3, s2, s20
	s_delay_alu instid0(SALU_CYCLE_1)
	s_sub_i32 s3, s11, s3
	s_add_i32 s11, s2, 1
	s_sub_i32 s12, s3, s20
	s_cmp_ge_u32 s3, s20
	s_cselect_b32 s2, s11, s2
	s_cselect_b32 s3, s12, s3
	s_add_i32 s11, s2, 1
	s_cmp_ge_u32 s3, s20
	s_cselect_b32 s18, s11, s2
.LBB67_6:
	s_delay_alu instid0(SALU_CYCLE_1) | instskip(SKIP_3) | instid1(SALU_CYCLE_1)
	s_cmp_eq_u32 s16, s18
	s_mul_hi_u32 s2, s16, s8
	s_cselect_b32 s3, -1, 0
	s_add_i32 s2, s2, s16
	s_lshr_b32 s11, s2, s9
	s_delay_alu instid0(SALU_CYCLE_1) | instskip(NEXT) | instid1(SALU_CYCLE_1)
	s_mul_i32 s2, s11, s10
	s_cmp_eq_u32 s2, s16
	s_mul_hi_u32 s2, s18, s8
	s_cselect_b32 s12, -1, 0
	s_add_i32 s2, s2, s18
	s_delay_alu instid0(SALU_CYCLE_1) | instskip(NEXT) | instid1(SALU_CYCLE_1)
	s_lshr_b32 s2, s2, s9
	s_cmp_eq_u32 s11, s2
	s_mul_i32 s2, s2, s10
	s_cselect_b32 s17, -1, 0
	s_cmp_lg_u32 s2, s18
	s_cselect_b32 s2, -1, 0
	s_or_b32 s3, s3, s12
	s_and_b32 s2, s17, s2
	s_delay_alu instid0(SALU_CYCLE_1) | instskip(NEXT) | instid1(SALU_CYCLE_1)
	s_or_b32 s2, s3, s2
	s_and_b32 vcc_lo, exec_lo, s2
	s_cbranch_vccnz .LBB67_24
; %bb.7:
	s_load_b256 s[24:31], s[0:1], 0x20
	s_waitcnt lgkmcnt(0)
	s_mul_hi_u32 s2, s16, s24
	s_delay_alu instid0(SALU_CYCLE_1) | instskip(NEXT) | instid1(SALU_CYCLE_1)
	s_add_i32 s2, s2, s16
	s_lshr_b32 s17, s2, s25
	s_load_b32 s2, s[0:1], 0x40
	s_mul_i32 s3, s17, s26
	s_delay_alu instid0(SALU_CYCLE_1) | instskip(NEXT) | instid1(SALU_CYCLE_1)
	s_sub_i32 s3, s16, s3
	s_mul_hi_u32 s12, s3, s27
	s_delay_alu instid0(SALU_CYCLE_1) | instskip(NEXT) | instid1(SALU_CYCLE_1)
	s_add_i32 s12, s3, s12
	s_lshr_b32 s19, s12, s28
	s_delay_alu instid0(SALU_CYCLE_1) | instskip(NEXT) | instid1(SALU_CYCLE_1)
	s_mul_i32 s12, s19, s29
	s_sub_i32 s3, s3, s12
	s_delay_alu instid0(SALU_CYCLE_1) | instskip(NEXT) | instid1(SALU_CYCLE_1)
	s_mul_hi_u32 s12, s3, s30
	s_add_i32 s12, s3, s12
	s_delay_alu instid0(SALU_CYCLE_1) | instskip(SKIP_3) | instid1(SALU_CYCLE_1)
	s_lshr_b32 s21, s12, s31
	s_mov_b32 s12, 0
	s_waitcnt lgkmcnt(0)
	s_mul_i32 s2, s21, s2
	s_sub_i32 s2, s3, s2
	s_delay_alu instid0(SALU_CYCLE_1) | instskip(NEXT) | instid1(SALU_CYCLE_1)
	s_mul_hi_u32 s3, s2, s8
	s_add_i32 s2, s2, s3
	s_delay_alu instid0(SALU_CYCLE_1) | instskip(NEXT) | instid1(SALU_CYCLE_1)
	s_lshr_b32 s18, s2, s9
	s_lshl_b32 s2, s18, 2
	s_delay_alu instid0(SALU_CYCLE_1) | instskip(NEXT) | instid1(SALU_CYCLE_1)
	s_add_i32 s2, s2, s14
	s_cmp_lt_i32 s2, s4
	s_cselect_b32 s2, -1, 0
	s_add_i32 s21, s21, s15
	s_delay_alu instid0(SALU_CYCLE_1) | instskip(SKIP_1) | instid1(SALU_CYCLE_1)
	s_cmp_lt_i32 s21, s6
	s_cselect_b32 s3, -1, 0
	s_and_b32 s2, s2, s3
	s_delay_alu instid0(SALU_CYCLE_1)
	s_and_not1_b32 vcc_lo, exec_lo, s2
	s_cbranch_vccnz .LBB67_24
; %bb.8:
	s_load_b128 s[0:3], s[0:1], 0x0
	s_lshl_b32 s22, s20, 4
	s_mov_b32 s23, s12
	s_add_i32 s15, s14, s15
	s_lshl_b64 s[22:23], s[22:23], 2
	s_mul_i32 s4, s17, s4
	s_mul_i32 s19, s19, s6
	v_cvt_f32_ubyte0_e32 v3, 0
	v_cvt_f32_u32_e32 v4, s20
	s_waitcnt lgkmcnt(0)
	s_add_u32 s6, s2, s22
	s_addc_u32 s17, s3, s23
	s_add_i32 s4, s4, s14
	s_add_i32 s14, s21, s19
	s_mul_i32 s4, s4, s5
	s_mul_i32 s5, s5, s18
	s_add_i32 s4, s14, s4
	s_mulk_i32 s5, 0xa0
	s_mul_i32 s4, s4, 40
	s_delay_alu instid0(SALU_CYCLE_1) | instskip(NEXT) | instid1(VALU_DEP_1)
	v_add3_u32 v1, s5, s4, v0
	v_ashrrev_i32_e32 v2, 31, v1
	s_delay_alu instid0(VALU_DEP_1) | instskip(NEXT) | instid1(VALU_DEP_1)
	v_lshlrev_b64 v[1:2], 2, v[1:2]
	v_add_co_u32 v1, vcc_lo, s0, v1
	s_delay_alu instid0(VALU_DEP_2) | instskip(SKIP_1) | instid1(SALU_CYCLE_1)
	v_add_co_ci_u32_e32 v2, vcc_lo, s1, v2, vcc_lo
	s_lshl_b32 s0, s13, 2
	s_add_i32 s0, s0, s15
	global_load_b32 v5, v[1:2], off
	s_ashr_i32 s1, s0, 31
	s_delay_alu instid0(SALU_CYCLE_1) | instskip(NEXT) | instid1(SALU_CYCLE_1)
	s_lshl_b64 s[0:1], s[0:1], 3
	s_add_u32 s0, s2, s0
	s_addc_u32 s1, s3, s1
	s_add_i32 s18, s13, -1
	s_load_b64 s[0:1], s[0:1], 0x0
	v_fmac_f32_e32 v4, 0x4f800000, v3
	s_sub_i32 s14, 0, s20
	s_delay_alu instid0(VALU_DEP_1)
	v_rcp_f32_e32 v3, v4
	s_waitcnt_depctr 0xfff
	v_mul_f32_e32 v6, 0x5f7ffffc, v3
	v_cvt_f32_u32_e32 v3, s20
	s_waitcnt lgkmcnt(0)
	v_mov_b32_e32 v8, s0
	s_delay_alu instid0(VALU_DEP_3) | instskip(NEXT) | instid1(VALU_DEP_3)
	v_mul_f32_e32 v4, 0x2f800000, v6
	v_rcp_iflag_f32_e32 v7, v3
	s_delay_alu instid0(VALU_DEP_1) | instskip(SKIP_1) | instid1(VALU_DEP_2)
	v_trunc_f32_e32 v9, v4
	v_mad_u64_u32 v[3:4], null, s15, 40, v[0:1]
	v_fmac_f32_e32 v6, 0xcf800000, v9
	s_waitcnt_depctr 0xfff
	v_dual_mul_f32 v10, 0x4f7ffffe, v7 :: v_dual_mov_b32 v7, s1
	v_cvt_u32_f32_e32 v4, v9
	v_cvt_u32_f32_e32 v0, v6
	s_delay_alu instid0(VALU_DEP_3)
	v_cvt_u32_f32_e32 v6, v10
.LBB67_9:                               ; =>This Inner Loop Header: Depth=1
	s_mul_hi_i32 s13, s18, s7
	s_mul_i32 s4, s18, s7
	s_cmp_lg_u64 s[12:13], 0
	s_mov_b32 s5, -1
                                        ; implicit-def: $sgpr0_sgpr1
	s_cbranch_scc0 .LBB67_11
; %bb.10:                               ;   in Loop: Header=BB67_9 Depth=1
	v_readfirstlane_b32 s0, v0
	v_readfirstlane_b32 s1, v4
	s_sub_u32 s5, 0, s20
	s_subb_u32 s19, 0, 0
	s_delay_alu instid0(VALU_DEP_2) | instskip(NEXT) | instid1(VALU_DEP_1)
	s_mul_hi_u32 s21, s5, s0
	s_mul_i32 s22, s5, s1
	s_mul_i32 s23, s19, s0
	s_add_i32 s21, s21, s22
	s_mul_i32 s22, s5, s0
	s_add_i32 s21, s21, s23
	s_mul_hi_u32 s23, s0, s22
	s_mul_i32 s24, s0, s21
	s_mul_hi_u32 s0, s0, s21
	s_add_u32 s23, s23, s24
	s_mul_i32 s25, s1, s22
	s_addc_u32 s0, 0, s0
	s_mul_hi_u32 s22, s1, s22
	s_mul_hi_u32 s24, s1, s21
	s_add_u32 s23, s23, s25
	s_addc_u32 s0, s0, s22
	s_mul_i32 s21, s1, s21
	s_addc_u32 s22, s24, 0
	s_add_u32 s0, s0, s21
	s_addc_u32 s21, 0, s22
	v_add_co_u32 v9, s0, v0, s0
	s_delay_alu instid0(VALU_DEP_1) | instskip(SKIP_1) | instid1(VALU_DEP_1)
	s_cmp_lg_u32 s0, 0
	s_addc_u32 s1, s1, s21
	v_readfirstlane_b32 s0, v9
	s_mul_i32 s21, s5, s1
	s_delay_alu instid0(VALU_DEP_1)
	s_mul_hi_u32 s22, s5, s0
	s_mul_i32 s19, s19, s0
	s_add_i32 s21, s22, s21
	s_mul_i32 s5, s5, s0
	s_add_i32 s21, s21, s19
	s_mul_hi_u32 s19, s1, s5
	s_mul_i32 s23, s1, s5
	s_mul_i32 s24, s0, s21
	s_mul_hi_u32 s5, s0, s5
	s_mul_hi_u32 s0, s0, s21
	s_add_u32 s5, s5, s24
	s_addc_u32 s0, 0, s0
	s_mul_hi_u32 s22, s1, s21
	s_add_u32 s5, s5, s23
	s_addc_u32 s0, s0, s19
	s_mul_i32 s5, s1, s21
	s_addc_u32 s19, s22, 0
	s_add_u32 s0, s0, s5
	s_addc_u32 s5, 0, s19
	v_add_co_u32 v9, s0, v9, s0
	s_delay_alu instid0(VALU_DEP_1) | instskip(SKIP_2) | instid1(SALU_CYCLE_1)
	s_cmp_lg_u32 s0, 0
	s_addc_u32 s5, s1, s5
	s_ashr_i32 s0, s13, 31
	s_add_u32 s22, s4, s0
	s_addc_u32 s23, s13, s0
	v_readfirstlane_b32 s13, v9
	s_mov_b32 s1, s0
	s_delay_alu instid0(SALU_CYCLE_1) | instskip(NEXT) | instid1(SALU_CYCLE_1)
	s_xor_b64 s[22:23], s[22:23], s[0:1]
	s_mul_i32 s19, s22, s5
	s_delay_alu instid0(VALU_DEP_1)
	s_mul_hi_u32 s21, s22, s13
	s_mul_hi_u32 s24, s22, s5
	s_add_u32 s19, s21, s19
	s_mul_i32 s25, s23, s13
	s_addc_u32 s21, 0, s24
	s_mul_hi_u32 s13, s23, s13
	s_mul_hi_u32 s24, s23, s5
	s_add_u32 s19, s19, s25
	s_addc_u32 s13, s21, s13
	s_mul_i32 s5, s23, s5
	s_addc_u32 s19, s24, 0
	s_add_u32 s5, s13, s5
	s_addc_u32 s13, 0, s19
	s_mul_i32 s21, s20, s5
	s_add_u32 s19, s5, 1
	v_sub_co_u32 v9, s21, s22, s21
	s_addc_u32 s22, s13, 0
	s_mul_i32 s25, s20, s13
	s_mul_hi_u32 s27, s20, s5
	s_delay_alu instid0(VALU_DEP_1)
	v_sub_co_u32 v10, s26, v9, s20
	s_add_u32 s24, s5, 2
	s_addc_u32 s28, s13, 0
	s_add_i32 s27, s27, s25
	s_cmp_lg_u32 s21, 0
	v_readfirstlane_b32 s21, v10
	s_subb_u32 s23, s23, s27
	s_cmp_lg_u32 s26, 0
	s_subb_u32 s25, s23, 0
	s_delay_alu instid0(VALU_DEP_1) | instskip(SKIP_4) | instid1(SALU_CYCLE_1)
	s_cmp_ge_u32 s21, s20
	s_cselect_b32 s21, -1, 0
	s_cmp_eq_u32 s25, 0
	v_readfirstlane_b32 s25, v9
	s_cselect_b32 s21, s21, -1
	s_cmp_lg_u32 s21, 0
	s_cselect_b32 s19, s24, s19
	s_cselect_b32 s21, s28, s22
	s_cmp_ge_u32 s25, s20
	s_cselect_b32 s22, -1, 0
	s_cmp_eq_u32 s23, 0
	s_cselect_b32 s22, s22, -1
	s_delay_alu instid0(SALU_CYCLE_1) | instskip(SKIP_4) | instid1(SALU_CYCLE_1)
	s_cmp_lg_u32 s22, 0
	s_cselect_b32 s23, s21, s13
	s_cselect_b32 s22, s19, s5
	s_mov_b32 s5, 0
	s_xor_b64 s[22:23], s[22:23], s[0:1]
	s_sub_u32 s0, s22, s0
.LBB67_11:                              ;   in Loop: Header=BB67_9 Depth=1
	s_and_not1_b32 vcc_lo, exec_lo, s5
	s_cbranch_vccnz .LBB67_13
; %bb.12:                               ;   in Loop: Header=BB67_9 Depth=1
	v_readfirstlane_b32 s0, v6
	s_delay_alu instid0(VALU_DEP_1) | instskip(NEXT) | instid1(SALU_CYCLE_1)
	s_mul_i32 s1, s14, s0
	s_mul_hi_u32 s1, s0, s1
	s_delay_alu instid0(SALU_CYCLE_1) | instskip(NEXT) | instid1(SALU_CYCLE_1)
	s_add_i32 s0, s0, s1
	s_mul_hi_u32 s0, s4, s0
	s_delay_alu instid0(SALU_CYCLE_1) | instskip(NEXT) | instid1(SALU_CYCLE_1)
	s_mul_i32 s1, s0, s20
	s_sub_i32 s1, s4, s1
	s_add_i32 s4, s0, 1
	s_sub_i32 s5, s1, s20
	s_cmp_ge_u32 s1, s20
	s_cselect_b32 s0, s4, s0
	s_cselect_b32 s1, s5, s1
	s_add_i32 s4, s0, 1
	s_cmp_ge_u32 s1, s20
	s_cselect_b32 s0, s4, s0
.LBB67_13:                              ;   in Loop: Header=BB67_9 Depth=1
	s_delay_alu instid0(SALU_CYCLE_1)
	s_cmp_lg_u32 s16, s0
	s_cbranch_scc0 .LBB67_17
; %bb.14:                               ;   in Loop: Header=BB67_9 Depth=1
	s_add_i32 s1, s18, s20
	s_mov_b32 s5, s12
	s_lshl_b32 s1, s1, 2
	s_mov_b32 s19, s16
	s_add_i32 s4, s1, s15
	s_mul_hi_u32 s1, s0, s8
	s_lshl_b64 s[4:5], s[4:5], 3
	s_delay_alu instid0(SALU_CYCLE_1) | instskip(SKIP_2) | instid1(SALU_CYCLE_1)
	s_add_u32 s4, s2, s4
	s_addc_u32 s5, s3, s5
	s_add_i32 s1, s1, s0
	s_lshr_b32 s1, s1, s9
	s_delay_alu instid0(SALU_CYCLE_1) | instskip(NEXT) | instid1(SALU_CYCLE_1)
	s_mul_i32 s13, s1, s10
	s_cmp_eq_u32 s13, s0
	s_cselect_b32 s13, -1, 0
	s_cmp_lt_u32 s1, s11
	s_cselect_b32 s1, -1, 0
	s_delay_alu instid0(SALU_CYCLE_1)
	s_or_b32 s1, s1, s13
	s_mov_b32 s13, -1
	s_and_b32 vcc_lo, exec_lo, s1
	s_mov_b32 s1, s18
	s_cbranch_vccnz .LBB67_16
; %bb.15:                               ;   in Loop: Header=BB67_9 Depth=1
	s_add_i32 s1, s18, -1
	s_mov_b32 s13, 0
	s_mov_b32 s19, s0
.LBB67_16:                              ;   in Loop: Header=BB67_9 Depth=1
	v_mad_u64_u32 v[9:10], null, 0xa0, s18, v[3:4]
	s_load_b64 s[4:5], s[4:5], 0x0
	s_delay_alu instid0(VALU_DEP_1) | instskip(NEXT) | instid1(VALU_DEP_1)
	v_ashrrev_i32_e32 v10, 31, v9
	v_lshlrev_b64 v[9:10], 2, v[9:10]
	s_delay_alu instid0(VALU_DEP_1) | instskip(NEXT) | instid1(VALU_DEP_2)
	v_add_co_u32 v9, vcc_lo, s6, v9
	v_add_co_ci_u32_e32 v10, vcc_lo, s17, v10, vcc_lo
	s_waitcnt lgkmcnt(0)
	v_max_f32_e64 v11, s4, s4
	global_load_b32 v10, v[9:10], off
	v_max_f32_e32 v9, v8, v8
	s_delay_alu instid0(VALU_DEP_1) | instskip(NEXT) | instid1(VALU_DEP_1)
	v_max_f32_e32 v9, v9, v11
	v_sub_f32_e32 v12, v8, v9
	s_delay_alu instid0(VALU_DEP_1) | instskip(NEXT) | instid1(VALU_DEP_1)
	v_dual_mul_f32 v14, 0x3fb8aa3b, v12 :: v_dual_sub_f32 v11, s4, v9
	v_rndne_f32_e32 v18, v14
	s_delay_alu instid0(VALU_DEP_2) | instskip(SKIP_2) | instid1(VALU_DEP_4)
	v_mul_f32_e32 v13, 0x3fb8aa3b, v11
	v_fma_f32 v17, 0x3fb8aa3b, v12, -v14
	v_cmp_ngt_f32_e32 vcc_lo, 0xc2ce8ed0, v11
	v_sub_f32_e32 v14, v14, v18
	s_delay_alu instid0(VALU_DEP_4) | instskip(SKIP_2) | instid1(VALU_DEP_3)
	v_fma_f32 v15, 0x3fb8aa3b, v11, -v13
	v_rndne_f32_e32 v16, v13
	v_fmac_f32_e32 v17, 0x32a5705f, v12
	v_fmac_f32_e32 v15, 0x32a5705f, v11
	s_delay_alu instid0(VALU_DEP_2) | instskip(NEXT) | instid1(VALU_DEP_1)
	v_dual_sub_f32 v13, v13, v16 :: v_dual_add_f32 v14, v14, v17
	v_add_f32_e32 v13, v13, v15
	s_delay_alu instid0(VALU_DEP_2) | instskip(SKIP_2) | instid1(VALU_DEP_3)
	v_exp_f32_e32 v14, v14
	v_cvt_i32_f32_e32 v15, v16
	v_cvt_i32_f32_e32 v16, v18
	v_exp_f32_e32 v13, v13
	s_waitcnt_depctr 0xfff
	v_ldexp_f32 v14, v14, v16
	v_ldexp_f32 v13, v13, v15
	s_delay_alu instid0(VALU_DEP_1) | instskip(SKIP_1) | instid1(VALU_DEP_4)
	v_cndmask_b32_e32 v13, 0, v13, vcc_lo
	v_cmp_ngt_f32_e32 vcc_lo, 0xc2ce8ed0, v12
	v_cndmask_b32_e32 v14, 0, v14, vcc_lo
	v_cmp_nlt_f32_e32 vcc_lo, 0x42b17218, v11
	s_delay_alu instid0(VALU_DEP_4) | instskip(SKIP_1) | instid1(VALU_DEP_4)
	v_cndmask_b32_e32 v13, 0x7f800000, v13, vcc_lo
	v_cmp_nlt_f32_e32 vcc_lo, 0x42b17218, v12
	v_cndmask_b32_e32 v14, 0x7f800000, v14, vcc_lo
	v_cmp_le_f32_e32 vcc_lo, 0xc1a00000, v11
	s_delay_alu instid0(VALU_DEP_4) | instskip(SKIP_1) | instid1(VALU_DEP_4)
	v_cndmask_b32_e32 v11, 0, v13, vcc_lo
	v_cmp_le_f32_e32 vcc_lo, 0xc1a00000, v12
	v_cndmask_b32_e32 v12, 0, v14, vcc_lo
	s_waitcnt vmcnt(0)
	s_delay_alu instid0(VALU_DEP_3) | instskip(NEXT) | instid1(VALU_DEP_1)
	v_mul_f32_e32 v10, v10, v11
	v_dual_mul_f32 v11, s5, v11 :: v_dual_fmac_f32 v10, v5, v12
	s_delay_alu instid0(VALU_DEP_1)
	v_fmac_f32_e32 v11, v7, v12
	s_cbranch_execz .LBB67_18
	s_branch .LBB67_19
.LBB67_17:                              ;   in Loop: Header=BB67_9 Depth=1
                                        ; implicit-def: $sgpr13
                                        ; implicit-def: $vgpr10
                                        ; implicit-def: $vgpr9
                                        ; implicit-def: $vgpr11
                                        ; implicit-def: $sgpr1
                                        ; implicit-def: $sgpr19
.LBB67_18:                              ;   in Loop: Header=BB67_9 Depth=1
	s_waitcnt vmcnt(0)
	v_dual_mov_b32 v11, v7 :: v_dual_mov_b32 v10, v5
	v_mov_b32_e32 v9, v8
	s_add_i32 s1, s18, -1
	s_mov_b32 s13, 0
	s_mov_b32 s19, s16
.LBB67_19:                              ;   in Loop: Header=BB67_9 Depth=1
	s_and_not1_b32 vcc_lo, exec_lo, s13
	s_cbranch_vccz .LBB67_23
; %bb.20:                               ;   in Loop: Header=BB67_9 Depth=1
	v_dual_mov_b32 v7, v11 :: v_dual_mov_b32 v8, v9
	s_waitcnt vmcnt(0)
	v_mov_b32_e32 v5, v10
	s_mov_b32 s16, s19
	s_mov_b32 s18, s1
	s_branch .LBB67_9
.LBB67_21:
                                        ; implicit-def: $sgpr16_sgpr17
	s_load_b128 s[8:11], s[0:1], 0x44
	s_branch .LBB67_2
.LBB67_22:
                                        ; implicit-def: $sgpr18_sgpr19
	s_branch .LBB67_5
.LBB67_23:
	v_div_scale_f32 v0, null, v11, v11, v10
	s_delay_alu instid0(VALU_DEP_1) | instskip(SKIP_2) | instid1(VALU_DEP_1)
	v_rcp_f32_e32 v3, v0
	s_waitcnt_depctr 0xfff
	v_fma_f32 v4, -v0, v3, 1.0
	v_fmac_f32_e32 v3, v4, v3
	v_div_scale_f32 v4, vcc_lo, v10, v11, v10
	s_waitcnt vmcnt(0)
	s_delay_alu instid0(VALU_DEP_1) | instskip(NEXT) | instid1(VALU_DEP_1)
	v_mul_f32_e32 v5, v4, v3
	v_fma_f32 v6, -v0, v5, v4
	s_delay_alu instid0(VALU_DEP_1) | instskip(NEXT) | instid1(VALU_DEP_1)
	v_fmac_f32_e32 v5, v6, v3
	v_fma_f32 v0, -v0, v5, v4
	s_delay_alu instid0(VALU_DEP_1) | instskip(NEXT) | instid1(VALU_DEP_1)
	v_div_fmas_f32 v0, v0, v3, v5
	v_div_fixup_f32 v0, v0, v11, v10
	global_store_b32 v[1:2], v0, off
.LBB67_24:
	s_nop 0
	s_sendmsg sendmsg(MSG_DEALLOC_VGPRS)
	s_endpgm
	.section	.rodata,"a",@progbits
	.p2align	6, 0x0
	.amdhsa_kernel _ZL33flash_attn_stream_k_fixup_generalILi40ELi4ELi1EEvPfPK15HIP_vector_typeIfLj2EEiiiiS1_IjLj3EES5_S5_S5_
		.amdhsa_group_segment_fixed_size 0
		.amdhsa_private_segment_fixed_size 0
		.amdhsa_kernarg_size 336
		.amdhsa_user_sgpr_count 13
		.amdhsa_user_sgpr_dispatch_ptr 0
		.amdhsa_user_sgpr_queue_ptr 0
		.amdhsa_user_sgpr_kernarg_segment_ptr 1
		.amdhsa_user_sgpr_dispatch_id 0
		.amdhsa_user_sgpr_private_segment_size 0
		.amdhsa_wavefront_size32 1
		.amdhsa_uses_dynamic_stack 0
		.amdhsa_enable_private_segment 0
		.amdhsa_system_sgpr_workgroup_id_x 1
		.amdhsa_system_sgpr_workgroup_id_y 1
		.amdhsa_system_sgpr_workgroup_id_z 1
		.amdhsa_system_sgpr_workgroup_info 0
		.amdhsa_system_vgpr_workitem_id 0
		.amdhsa_next_free_vgpr 19
		.amdhsa_next_free_sgpr 32
		.amdhsa_reserve_vcc 1
		.amdhsa_float_round_mode_32 0
		.amdhsa_float_round_mode_16_64 0
		.amdhsa_float_denorm_mode_32 3
		.amdhsa_float_denorm_mode_16_64 3
		.amdhsa_dx10_clamp 1
		.amdhsa_ieee_mode 1
		.amdhsa_fp16_overflow 0
		.amdhsa_workgroup_processor_mode 1
		.amdhsa_memory_ordered 1
		.amdhsa_forward_progress 0
		.amdhsa_shared_vgpr_count 0
		.amdhsa_exception_fp_ieee_invalid_op 0
		.amdhsa_exception_fp_denorm_src 0
		.amdhsa_exception_fp_ieee_div_zero 0
		.amdhsa_exception_fp_ieee_overflow 0
		.amdhsa_exception_fp_ieee_underflow 0
		.amdhsa_exception_fp_ieee_inexact 0
		.amdhsa_exception_int_div_zero 0
	.end_amdhsa_kernel
	.section	.text._ZL33flash_attn_stream_k_fixup_generalILi40ELi4ELi1EEvPfPK15HIP_vector_typeIfLj2EEiiiiS1_IjLj3EES5_S5_S5_,"axG",@progbits,_ZL33flash_attn_stream_k_fixup_generalILi40ELi4ELi1EEvPfPK15HIP_vector_typeIfLj2EEiiiiS1_IjLj3EES5_S5_S5_,comdat
.Lfunc_end67:
	.size	_ZL33flash_attn_stream_k_fixup_generalILi40ELi4ELi1EEvPfPK15HIP_vector_typeIfLj2EEiiiiS1_IjLj3EES5_S5_S5_, .Lfunc_end67-_ZL33flash_attn_stream_k_fixup_generalILi40ELi4ELi1EEvPfPK15HIP_vector_typeIfLj2EEiiiiS1_IjLj3EES5_S5_S5_
                                        ; -- End function
	.section	.AMDGPU.csdata,"",@progbits
; Kernel info:
; codeLenInByte = 3216
; NumSgprs: 34
; NumVgprs: 19
; ScratchSize: 0
; MemoryBound: 0
; FloatMode: 240
; IeeeMode: 1
; LDSByteSize: 0 bytes/workgroup (compile time only)
; SGPRBlocks: 4
; VGPRBlocks: 2
; NumSGPRsForWavesPerEU: 34
; NumVGPRsForWavesPerEU: 19
; Occupancy: 16
; WaveLimiterHint : 0
; COMPUTE_PGM_RSRC2:SCRATCH_EN: 0
; COMPUTE_PGM_RSRC2:USER_SGPR: 13
; COMPUTE_PGM_RSRC2:TRAP_HANDLER: 0
; COMPUTE_PGM_RSRC2:TGID_X_EN: 1
; COMPUTE_PGM_RSRC2:TGID_Y_EN: 1
; COMPUTE_PGM_RSRC2:TGID_Z_EN: 1
; COMPUTE_PGM_RSRC2:TIDIG_COMP_CNT: 0
	.section	.text._ZL15flash_attn_tileILi40ELi40ELi2ELi1ELb0EEvPKcS1_S1_S1_S1_PKiPfP15HIP_vector_typeIfLj2EEffffjfiS5_IjLj3EEiiiiiiiiiiiliiliiiiil,"axG",@progbits,_ZL15flash_attn_tileILi40ELi40ELi2ELi1ELb0EEvPKcS1_S1_S1_S1_PKiPfP15HIP_vector_typeIfLj2EEffffjfiS5_IjLj3EEiiiiiiiiiiiliiliiiiil,comdat
	.globl	_ZL15flash_attn_tileILi40ELi40ELi2ELi1ELb0EEvPKcS1_S1_S1_S1_PKiPfP15HIP_vector_typeIfLj2EEffffjfiS5_IjLj3EEiiiiiiiiiiiliiliiiiil ; -- Begin function _ZL15flash_attn_tileILi40ELi40ELi2ELi1ELb0EEvPKcS1_S1_S1_S1_PKiPfP15HIP_vector_typeIfLj2EEffffjfiS5_IjLj3EEiiiiiiiiiiiliiliiiiil
	.p2align	8
	.type	_ZL15flash_attn_tileILi40ELi40ELi2ELi1ELb0EEvPKcS1_S1_S1_S1_PKiPfP15HIP_vector_typeIfLj2EEffffjfiS5_IjLj3EEiiiiiiiiiiiliiliiiiil,@function
_ZL15flash_attn_tileILi40ELi40ELi2ELi1ELb0EEvPKcS1_S1_S1_S1_PKiPfP15HIP_vector_typeIfLj2EEffffjfiS5_IjLj3EEiiiiiiiiiiiliiliiiiil: ; @_ZL15flash_attn_tileILi40ELi40ELi2ELi1ELb0EEvPKcS1_S1_S1_S1_PKiPfP15HIP_vector_typeIfLj2EEffffjfiS5_IjLj3EEiiiiiiiiiiiliiliiiiil
; %bb.0:
	s_clause 0x3
	s_load_b128 s[8:11], s[0:1], 0x5c
	s_load_b64 s[42:43], s[0:1], 0x80
	s_load_b512 s[16:31], s[0:1], 0x0
	s_load_b64 s[44:45], s[0:1], 0xb8
	s_mov_b64 s[40:41], 0
	s_waitcnt lgkmcnt(0)
	v_cvt_f32_u32_e32 v1, s11
	s_sub_i32 s3, 0, s11
	s_delay_alu instid0(VALU_DEP_1) | instskip(SKIP_2) | instid1(VALU_DEP_1)
	v_rcp_iflag_f32_e32 v1, v1
	s_waitcnt_depctr 0xfff
	v_mul_f32_e32 v1, 0x4f7ffffe, v1
	v_cvt_u32_f32_e32 v1, v1
	s_delay_alu instid0(VALU_DEP_1) | instskip(NEXT) | instid1(VALU_DEP_1)
	v_readfirstlane_b32 s2, v1
	s_mul_i32 s3, s3, s2
	s_delay_alu instid0(SALU_CYCLE_1) | instskip(NEXT) | instid1(SALU_CYCLE_1)
	s_mul_hi_u32 s3, s2, s3
	s_add_i32 s2, s2, s3
	s_delay_alu instid0(SALU_CYCLE_1) | instskip(NEXT) | instid1(SALU_CYCLE_1)
	s_mul_hi_u32 s2, s15, s2
	s_mul_i32 s3, s2, s11
	s_add_i32 s4, s2, 1
	s_sub_i32 s3, s15, s3
	s_delay_alu instid0(SALU_CYCLE_1)
	s_sub_i32 s5, s3, s11
	s_cmp_ge_u32 s3, s11
	s_cselect_b32 s2, s4, s2
	s_cselect_b32 s3, s5, s3
	s_add_i32 s4, s2, 1
	s_cmp_ge_u32 s3, s11
	s_cselect_b32 s12, s4, s2
	s_abs_i32 s2, s43
	s_abs_i32 s6, s11
	v_cvt_f32_u32_e32 v1, s2
	s_sub_i32 s4, 0, s2
	s_xor_b32 s5, s11, s43
	s_delay_alu instid0(SALU_CYCLE_1) | instskip(NEXT) | instid1(VALU_DEP_1)
	s_ashr_i32 s5, s5, 31
	v_rcp_iflag_f32_e32 v1, v1
	s_waitcnt_depctr 0xfff
	v_mul_f32_e32 v1, 0x4f7ffffe, v1
	s_delay_alu instid0(VALU_DEP_1) | instskip(NEXT) | instid1(VALU_DEP_1)
	v_cvt_u32_f32_e32 v1, v1
	v_readfirstlane_b32 s3, v1
	s_delay_alu instid0(VALU_DEP_1) | instskip(NEXT) | instid1(SALU_CYCLE_1)
	s_mul_i32 s4, s4, s3
	s_mul_hi_u32 s4, s3, s4
	s_delay_alu instid0(SALU_CYCLE_1) | instskip(SKIP_4) | instid1(SALU_CYCLE_1)
	s_add_i32 s3, s3, s4
	s_mul_i32 s4, s12, s11
	s_mul_hi_u32 s3, s6, s3
	s_sub_i32 s34, s15, s4
	s_mul_i32 s7, s3, s2
	s_sub_i32 s4, s6, s7
	s_add_i32 s6, s3, 1
	s_sub_i32 s7, s4, s2
	s_cmp_ge_u32 s4, s2
	s_cselect_b32 s3, s6, s3
	s_cselect_b32 s4, s7, s4
	s_add_i32 s6, s3, 1
	s_cmp_ge_u32 s4, s2
	s_cselect_b32 s2, s6, s3
	s_delay_alu instid0(SALU_CYCLE_1) | instskip(NEXT) | instid1(SALU_CYCLE_1)
	s_xor_b32 s2, s2, s5
	s_sub_i32 s5, s2, s5
	s_delay_alu instid0(SALU_CYCLE_1) | instskip(NEXT) | instid1(SALU_CYCLE_1)
	s_abs_i32 s15, s5
	v_cvt_f32_u32_e32 v1, s15
	s_sub_i32 s2, 0, s15
	s_cmp_eq_u64 s[22:23], 0
	s_delay_alu instid0(VALU_DEP_1) | instskip(SKIP_2) | instid1(VALU_DEP_1)
	v_rcp_iflag_f32_e32 v1, v1
	s_waitcnt_depctr 0xfff
	v_mul_f32_e32 v1, 0x4f7ffffe, v1
	v_cvt_u32_f32_e32 v1, v1
	s_delay_alu instid0(VALU_DEP_1) | instskip(NEXT) | instid1(VALU_DEP_1)
	v_readfirstlane_b32 s6, v1
	s_mul_i32 s2, s2, s6
	s_delay_alu instid0(SALU_CYCLE_1)
	s_mul_hi_u32 s2, s6, s2
	s_cbranch_scc1 .LBB68_2
; %bb.1:
	s_abs_i32 s3, s44
	s_abs_i32 s33, s12
	v_cvt_f32_u32_e32 v1, s3
	s_sub_i32 s7, 0, s3
	s_load_b64 s[36:37], s[0:1], 0xc8
	s_delay_alu instid0(VALU_DEP_1) | instskip(SKIP_2) | instid1(VALU_DEP_1)
	v_rcp_iflag_f32_e32 v1, v1
	s_waitcnt_depctr 0xfff
	v_mul_f32_e32 v1, 0x4f7ffffe, v1
	v_cvt_u32_f32_e32 v1, v1
	s_delay_alu instid0(VALU_DEP_1) | instskip(NEXT) | instid1(VALU_DEP_1)
	v_readfirstlane_b32 s4, v1
	s_mul_i32 s7, s7, s4
	s_delay_alu instid0(SALU_CYCLE_1) | instskip(NEXT) | instid1(SALU_CYCLE_1)
	s_mul_hi_u32 s7, s4, s7
	s_add_i32 s4, s4, s7
	s_ashr_i32 s7, s12, 31
	s_mul_hi_u32 s4, s33, s4
	s_delay_alu instid0(SALU_CYCLE_1) | instskip(NEXT) | instid1(SALU_CYCLE_1)
	s_mul_i32 s4, s4, s3
	s_sub_i32 s4, s33, s4
	s_delay_alu instid0(SALU_CYCLE_1) | instskip(SKIP_2) | instid1(SALU_CYCLE_1)
	s_sub_i32 s33, s4, s3
	s_cmp_ge_u32 s4, s3
	s_cselect_b32 s4, s33, s4
	s_sub_i32 s33, s4, s3
	s_cmp_ge_u32 s4, s3
	s_cselect_b32 s3, s33, s4
	s_delay_alu instid0(SALU_CYCLE_1) | instskip(NEXT) | instid1(SALU_CYCLE_1)
	s_xor_b32 s3, s3, s7
	s_sub_i32 s3, s3, s7
	s_waitcnt lgkmcnt(0)
	s_mul_i32 s4, s3, s37
	s_mul_hi_u32 s7, s3, s36
	s_ashr_i32 s33, s3, 31
	s_add_i32 s4, s7, s4
	s_mul_i32 s33, s33, s36
	s_mul_i32 s3, s3, s36
	s_add_i32 s4, s4, s33
	s_add_u32 s40, s22, s3
	s_addc_u32 s41, s23, s4
.LBB68_2:
	s_clause 0x1
	s_load_b128 s[36:39], s[0:1], 0x40
	s_load_b32 s3, s[0:1], 0x50
	v_mov_b32_e32 v18, 1.0
	s_abs_i32 s23, s34
	s_add_i32 s6, s6, s2
	s_waitcnt lgkmcnt(0)
	v_cmp_le_f32_e64 s4, s37, 0
	s_delay_alu instid0(VALU_DEP_1)
	s_and_b32 vcc_lo, exec_lo, s4
	s_cbranch_vccnz .LBB68_4
; %bb.3:
	s_sub_i32 s2, s34, s3
	s_add_i32 s4, s34, 1
	s_lshl_b32 s2, s2, 1
	v_mov_b32_e32 v1, s38
	s_or_b32 s2, s2, 1
	s_cmp_lt_u32 s34, s3
	s_cselect_b32 vcc_lo, -1, 0
	s_delay_alu instid0(VALU_DEP_1)
	v_cndmask_b32_e32 v3, s39, v1, vcc_lo
	s_and_b32 s3, vcc_lo, exec_lo
	s_cselect_b32 s2, s4, s2
	s_mov_b32 s3, 0x3e76c4e1
	v_cvt_f32_i32_e32 v1, s2
	v_cmp_neq_f32_e32 vcc_lo, 1.0, v3
	s_delay_alu instid0(VALU_DEP_2) | instskip(NEXT) | instid1(VALU_DEP_1)
	v_cndmask_b32_e32 v4, 1.0, v1, vcc_lo
	v_cmp_eq_f32_e32 vcc_lo, 0, v4
	v_cndmask_b32_e64 v5, |v3|, 1.0, vcc_lo
	s_delay_alu instid0(VALU_DEP_1) | instskip(NEXT) | instid1(VALU_DEP_1)
	v_frexp_mant_f32_e32 v1, v5
	v_cmp_gt_f32_e64 s2, 0x3f2aaaab, v1
	s_delay_alu instid0(VALU_DEP_1) | instskip(NEXT) | instid1(VALU_DEP_1)
	v_cndmask_b32_e64 v2, 1.0, 2.0, s2
	v_mul_f32_e32 v1, v1, v2
	s_delay_alu instid0(VALU_DEP_1) | instskip(SKIP_1) | instid1(VALU_DEP_2)
	v_add_f32_e32 v2, 1.0, v1
	v_add_f32_e32 v7, -1.0, v1
	v_rcp_f32_e32 v6, v2
	s_waitcnt_depctr 0xfff
	v_mul_f32_e32 v8, v7, v6
	s_delay_alu instid0(VALU_DEP_1) | instskip(NEXT) | instid1(VALU_DEP_1)
	v_dual_add_f32 v9, -1.0, v2 :: v_dual_mul_f32 v10, v2, v8
	v_sub_f32_e32 v1, v1, v9
	v_cndmask_b32_e64 v3, v3, 1.0, vcc_lo
	s_delay_alu instid0(VALU_DEP_3) | instskip(NEXT) | instid1(VALU_DEP_2)
	v_fma_f32 v2, v8, v2, -v10
	v_cmp_eq_f32_e64 s4, 0, v3
	s_delay_alu instid0(VALU_DEP_2) | instskip(NEXT) | instid1(VALU_DEP_1)
	v_fmac_f32_e32 v2, v8, v1
	v_add_f32_e32 v1, v10, v2
	s_delay_alu instid0(VALU_DEP_1) | instskip(NEXT) | instid1(VALU_DEP_1)
	v_dual_sub_f32 v10, v1, v10 :: v_dual_sub_f32 v9, v7, v1
	v_dual_sub_f32 v2, v10, v2 :: v_dual_sub_f32 v7, v7, v9
	s_delay_alu instid0(VALU_DEP_1) | instskip(NEXT) | instid1(VALU_DEP_1)
	v_sub_f32_e32 v1, v7, v1
	v_add_f32_e32 v1, v2, v1
	s_delay_alu instid0(VALU_DEP_1) | instskip(NEXT) | instid1(VALU_DEP_1)
	v_add_f32_e32 v1, v9, v1
	v_mul_f32_e32 v1, v6, v1
	s_delay_alu instid0(VALU_DEP_1) | instskip(NEXT) | instid1(VALU_DEP_1)
	v_add_f32_e32 v6, v8, v1
	v_sub_f32_e32 v2, v6, v8
	v_mul_f32_e32 v7, v6, v6
	s_delay_alu instid0(VALU_DEP_2) | instskip(NEXT) | instid1(VALU_DEP_2)
	v_sub_f32_e32 v8, v1, v2
	v_fma_f32 v9, v6, v6, -v7
	s_delay_alu instid0(VALU_DEP_2) | instskip(NEXT) | instid1(VALU_DEP_1)
	v_add_f32_e32 v1, v8, v8
	v_fmac_f32_e32 v9, v6, v1
	v_cvt_f64_f32_e32 v[1:2], v5
	s_delay_alu instid0(VALU_DEP_2) | instskip(NEXT) | instid1(VALU_DEP_1)
	v_add_f32_e32 v10, v7, v9
	v_fmaak_f32 v11, s3, v10, 0x3e91f4c4
	v_sub_f32_e32 v7, v10, v7
	v_mul_f32_e32 v14, v6, v10
	s_delay_alu instid0(VALU_DEP_3) | instskip(NEXT) | instid1(VALU_DEP_3)
	v_fmaak_f32 v11, v10, v11, 0x3ecccdef
	v_sub_f32_e32 v7, v9, v7
	s_delay_alu instid0(VALU_DEP_2) | instskip(NEXT) | instid1(VALU_DEP_1)
	v_mul_f32_e32 v12, v10, v11
	v_fma_f32 v9, v10, v11, -v12
	s_delay_alu instid0(VALU_DEP_1) | instskip(NEXT) | instid1(VALU_DEP_1)
	v_fmac_f32_e32 v9, v7, v11
	v_add_f32_e32 v11, v12, v9
	v_frexp_exp_i32_f64_e32 v1, v[1:2]
	s_delay_alu instid0(VALU_DEP_2) | instskip(NEXT) | instid1(VALU_DEP_1)
	v_sub_f32_e32 v12, v11, v12
	v_sub_f32_e32 v2, v9, v12
	v_fma_f32 v12, v10, v6, -v14
	s_delay_alu instid0(VALU_DEP_2) | instskip(NEXT) | instid1(VALU_DEP_2)
	v_add_f32_e32 v2, 0x31739010, v2
	v_dual_add_f32 v13, 0x3f2aaaaa, v11 :: v_dual_fmac_f32 v12, v10, v8
	v_ldexp_f32 v8, v8, 1
	s_delay_alu instid0(VALU_DEP_2) | instskip(NEXT) | instid1(VALU_DEP_1)
	v_dual_add_f32 v9, 0xbf2aaaaa, v13 :: v_dual_fmac_f32 v12, v7, v6
	v_sub_f32_e32 v9, v11, v9
	s_delay_alu instid0(VALU_DEP_1) | instskip(NEXT) | instid1(VALU_DEP_3)
	v_add_f32_e32 v2, v2, v9
	v_add_f32_e32 v9, v14, v12
	s_delay_alu instid0(VALU_DEP_2) | instskip(NEXT) | instid1(VALU_DEP_1)
	v_add_f32_e32 v7, v13, v2
	v_sub_f32_e32 v10, v13, v7
	s_delay_alu instid0(VALU_DEP_3) | instskip(SKIP_2) | instid1(VALU_DEP_4)
	v_mul_f32_e32 v11, v9, v7
	v_sub_f32_e32 v13, v9, v14
	v_subrev_co_ci_u32_e64 v1, s2, 0, v1, s2
	v_add_f32_e32 v2, v2, v10
	s_delay_alu instid0(VALU_DEP_4) | instskip(NEXT) | instid1(VALU_DEP_4)
	v_fma_f32 v10, v9, v7, -v11
	v_sub_f32_e32 v12, v12, v13
	s_delay_alu instid0(VALU_DEP_4) | instskip(NEXT) | instid1(VALU_DEP_3)
	v_cvt_f32_i32_e32 v1, v1
	v_fmac_f32_e32 v10, v9, v2
	v_ldexp_f32 v2, v6, 1
	s_delay_alu instid0(VALU_DEP_2) | instskip(NEXT) | instid1(VALU_DEP_1)
	v_fmac_f32_e32 v10, v12, v7
	v_add_f32_e32 v6, v11, v10
	s_delay_alu instid0(VALU_DEP_1) | instskip(NEXT) | instid1(VALU_DEP_1)
	v_add_f32_e32 v7, v2, v6
	v_dual_sub_f32 v2, v7, v2 :: v_dual_sub_f32 v9, v6, v11
	s_delay_alu instid0(VALU_DEP_1) | instskip(NEXT) | instid1(VALU_DEP_2)
	v_sub_f32_e32 v2, v6, v2
	v_sub_f32_e32 v9, v10, v9
	s_delay_alu instid0(VALU_DEP_1) | instskip(NEXT) | instid1(VALU_DEP_1)
	v_add_f32_e32 v6, v8, v9
	v_dual_mul_f32 v11, 0x3f317218, v1 :: v_dual_add_f32 v2, v6, v2
	s_delay_alu instid0(VALU_DEP_1) | instskip(NEXT) | instid1(VALU_DEP_2)
	v_fma_f32 v10, 0x3f317218, v1, -v11
	v_add_f32_e32 v8, v7, v2
	s_delay_alu instid0(VALU_DEP_1) | instskip(NEXT) | instid1(VALU_DEP_1)
	v_sub_f32_e32 v7, v8, v7
	v_dual_fmamk_f32 v1, v1, 0xb102e308, v10 :: v_dual_sub_f32 v2, v2, v7
	s_delay_alu instid0(VALU_DEP_1) | instskip(NEXT) | instid1(VALU_DEP_1)
	v_add_f32_e32 v6, v11, v1
	v_add_f32_e32 v9, v6, v8
	s_delay_alu instid0(VALU_DEP_1) | instskip(NEXT) | instid1(VALU_DEP_1)
	v_dual_sub_f32 v11, v6, v11 :: v_dual_sub_f32 v10, v9, v6
	v_sub_f32_e32 v12, v9, v10
	s_delay_alu instid0(VALU_DEP_2) | instskip(NEXT) | instid1(VALU_DEP_2)
	v_sub_f32_e32 v1, v1, v11
	v_dual_sub_f32 v7, v8, v10 :: v_dual_sub_f32 v6, v6, v12
	s_delay_alu instid0(VALU_DEP_2) | instskip(NEXT) | instid1(VALU_DEP_2)
	v_add_f32_e32 v8, v1, v2
	v_add_f32_e32 v6, v7, v6
	s_delay_alu instid0(VALU_DEP_1) | instskip(NEXT) | instid1(VALU_DEP_1)
	v_add_f32_e32 v6, v8, v6
	v_dual_sub_f32 v7, v8, v1 :: v_dual_add_f32 v10, v9, v6
	s_delay_alu instid0(VALU_DEP_1) | instskip(SKIP_1) | instid1(VALU_DEP_3)
	v_sub_f32_e32 v8, v8, v7
	v_sub_f32_e32 v2, v2, v7
	v_sub_f32_e32 v7, v10, v9
	s_delay_alu instid0(VALU_DEP_3) | instskip(NEXT) | instid1(VALU_DEP_1)
	v_sub_f32_e32 v1, v1, v8
	v_add_f32_e32 v1, v2, v1
	s_delay_alu instid0(VALU_DEP_3) | instskip(NEXT) | instid1(VALU_DEP_1)
	v_sub_f32_e32 v2, v6, v7
	v_add_f32_e32 v1, v1, v2
	s_delay_alu instid0(VALU_DEP_1) | instskip(NEXT) | instid1(VALU_DEP_1)
	v_add_f32_e32 v2, v10, v1
	v_mul_f32_e32 v7, v4, v2
	v_sub_f32_e32 v6, v2, v10
	s_delay_alu instid0(VALU_DEP_2) | instskip(NEXT) | instid1(VALU_DEP_2)
	v_fma_f32 v2, v4, v2, -v7
	v_sub_f32_e32 v1, v1, v6
	v_cmp_class_f32_e64 s2, v7, 0x204
	s_delay_alu instid0(VALU_DEP_2) | instskip(NEXT) | instid1(VALU_DEP_1)
	v_fmac_f32_e32 v2, v4, v1
	v_add_f32_e32 v1, v7, v2
	s_delay_alu instid0(VALU_DEP_1) | instskip(NEXT) | instid1(VALU_DEP_1)
	v_cndmask_b32_e64 v6, v1, v7, s2
	v_cmp_eq_f32_e64 s2, 0x42b17218, v6
	s_delay_alu instid0(VALU_DEP_1) | instskip(SKIP_1) | instid1(VALU_DEP_2)
	v_cndmask_b32_e64 v8, 0, 0x37000000, s2
	v_cmp_neq_f32_e64 s2, 0x7f800000, |v6|
	v_sub_f32_e32 v9, v6, v8
	v_trunc_f32_e32 v6, v4
	s_delay_alu instid0(VALU_DEP_2) | instskip(NEXT) | instid1(VALU_DEP_1)
	v_mul_f32_e32 v10, 0x3fb8aa3b, v9
	v_fma_f32 v11, 0x3fb8aa3b, v9, -v10
	v_rndne_f32_e32 v12, v10
	s_delay_alu instid0(VALU_DEP_1) | instskip(NEXT) | instid1(VALU_DEP_1)
	v_dual_fmamk_f32 v11, v9, 0x32a5705f, v11 :: v_dual_sub_f32 v10, v10, v12
	v_add_f32_e32 v10, v10, v11
	v_sub_f32_e32 v1, v1, v7
	v_cvt_i32_f32_e32 v7, v12
	s_delay_alu instid0(VALU_DEP_3) | instskip(NEXT) | instid1(VALU_DEP_2)
	v_exp_f32_e32 v10, v10
	v_sub_f32_e32 v1, v2, v1
	s_delay_alu instid0(VALU_DEP_1)
	v_cndmask_b32_e64 v1, 0, v1, s2
	v_cmp_ngt_f32_e64 s2, 0xc2ce8ed0, v9
	s_waitcnt_depctr 0xfff
	v_ldexp_f32 v2, v10, v7
	v_mul_f32_e32 v7, 0.5, v4
	v_add_f32_e32 v1, v8, v1
	s_delay_alu instid0(VALU_DEP_3) | instskip(NEXT) | instid1(VALU_DEP_3)
	v_cndmask_b32_e64 v2, 0, v2, s2
	v_trunc_f32_e32 v10, v7
	v_cmp_nlt_f32_e64 s2, 0x42b17218, v9
	s_delay_alu instid0(VALU_DEP_2) | instskip(NEXT) | instid1(VALU_DEP_2)
	v_cmp_neq_f32_e64 s3, v10, v7
	v_cndmask_b32_e64 v2, 0x7f800000, v2, s2
	v_cmp_eq_f32_e64 s2, v6, v4
	s_delay_alu instid0(VALU_DEP_2) | instskip(NEXT) | instid1(VALU_DEP_2)
	v_fma_f32 v1, v2, v1, v2
	s_and_b32 vcc_lo, s2, s3
	v_cmp_class_f32_e64 s3, v2, 0x204
	v_cndmask_b32_e32 v6, 1.0, v3, vcc_lo
	s_delay_alu instid0(VALU_DEP_2) | instskip(SKIP_1) | instid1(VALU_DEP_2)
	v_cndmask_b32_e64 v1, v1, v2, s3
	v_cmp_gt_f32_e64 s3, 0, v4
	v_bfi_b32 v1, 0x7fffffff, v1, v6
	s_delay_alu instid0(VALU_DEP_2)
	s_xor_b32 s3, s3, s4
	v_cndmask_b32_e32 v6, 0, v3, vcc_lo
	v_cndmask_b32_e64 v2, 0x7f800000, 0, s3
	v_cmp_eq_f32_e32 vcc_lo, 0x7f800000, v5
	v_cndmask_b32_e64 v4, 0x7fc00000, v1, s2
	v_cmp_gt_f32_e64 s2, 0, v3
	s_delay_alu instid0(VALU_DEP_4) | instskip(SKIP_1) | instid1(VALU_DEP_2)
	v_bfi_b32 v2, 0x7fffffff, v2, v6
	s_or_b32 vcc_lo, vcc_lo, s4
	v_cndmask_b32_e64 v1, v1, v4, s2
	s_delay_alu instid0(VALU_DEP_1) | instskip(SKIP_1) | instid1(VALU_DEP_2)
	v_cndmask_b32_e32 v1, v1, v2, vcc_lo
	v_cmp_o_f32_e32 vcc_lo, v3, v3
	v_cndmask_b32_e32 v18, 0x7fc00000, v1, vcc_lo
.LBB68_4:
	v_and_b32_e32 v1, 0x3ff, v0
	v_bfe_u32 v20, v0, 10, 10
	s_lshl_b32 s3, s13, 1
	s_delay_alu instid0(VALU_DEP_2) | instskip(NEXT) | instid1(VALU_DEP_2)
	v_cmp_gt_u32_e64 s2, 20, v1
	v_add_nc_u32_e32 v0, s3, v20
	s_mul_hi_u32 s3, s23, s6
	s_delay_alu instid0(VALU_DEP_2)
	s_and_saveexec_b32 s4, s2
	s_cbranch_execz .LBB68_6
; %bb.5:
	s_load_b128 s[48:51], s[0:1], 0x70
	v_mul_hi_u32 v2, s8, v0
	s_delay_alu instid0(VALU_DEP_1) | instskip(NEXT) | instid1(VALU_DEP_1)
	v_add_nc_u32_e32 v2, v0, v2
	v_lshrrev_b32_e32 v2, s9, v2
	s_delay_alu instid0(VALU_DEP_1)
	v_mul_lo_u32 v2, v2, s10
	s_waitcnt lgkmcnt(0)
	s_mul_i32 s6, s12, s50
	s_mul_i32 s7, s34, s49
	s_ashr_i32 s22, s6, 31
	s_add_u32 s6, s16, s6
	s_addc_u32 s16, s17, s22
	s_ashr_i32 s17, s7, 31
	s_add_u32 s6, s6, s7
	s_addc_u32 s7, s16, s17
	s_ashr_i32 s16, s48, 31
	v_sub_nc_u32_e32 v6, v0, v2
	v_alignbit_b32 v4, s16, s48, 2
	s_lshr_b32 s16, s16, 2
	s_delay_alu instid0(VALU_DEP_1) | instskip(NEXT) | instid1(VALU_DEP_1)
	v_mad_u64_u32 v[2:3], null, v4, v6, 0
	v_mad_u64_u32 v[4:5], null, s16, v6, v[3:4]
	s_delay_alu instid0(VALU_DEP_1) | instskip(NEXT) | instid1(VALU_DEP_1)
	v_dual_mov_b32 v3, v4 :: v_dual_lshlrev_b32 v4, 3, v1
	v_lshlrev_b64 v[2:3], 2, v[2:3]
	s_delay_alu instid0(VALU_DEP_1) | instskip(NEXT) | instid1(VALU_DEP_2)
	v_add_co_u32 v2, vcc_lo, s6, v2
	v_add_co_ci_u32_e32 v3, vcc_lo, s7, v3, vcc_lo
	s_delay_alu instid0(VALU_DEP_2) | instskip(NEXT) | instid1(VALU_DEP_2)
	v_add_co_u32 v2, vcc_lo, v2, v4
	v_add_co_ci_u32_e32 v3, vcc_lo, 0, v3, vcc_lo
	v_mul_u32_u24_e32 v4, 20, v20
	global_load_b64 v[2:3], v[2:3], off
	s_waitcnt vmcnt(0)
	v_fma_mixlo_f16 v2, v2, s36, 0
	s_delay_alu instid0(VALU_DEP_1)
	v_fma_mixhi_f16 v2, v3, s36, 0
	v_add_lshl_u32 v3, v4, v1, 2
	ds_store_b32 v3, v2 offset:3168
.LBB68_6:
	s_or_b32 exec_lo, exec_lo, s4
	s_ashr_i32 s35, s34, 31
	s_ashr_i32 s16, s5, 31
	s_cmp_eq_u64 s[26:27], 0
	s_waitcnt lgkmcnt(0)
	s_barrier
	buffer_gl0_inv
	s_cbranch_scc1 .LBB68_8
; %bb.7:
	s_load_b32 s4, s[0:1], 0xd0
	s_mov_b32 s5, 0
	s_waitcnt lgkmcnt(0)
	s_mul_i32 s4, s4, s12
	s_delay_alu instid0(SALU_CYCLE_1) | instskip(NEXT) | instid1(SALU_CYCLE_1)
	s_add_i32 s4, s4, s13
	s_lshl_b64 s[4:5], s[4:5], 2
	s_delay_alu instid0(SALU_CYCLE_1)
	s_add_u32 s4, s26, s4
	s_addc_u32 s5, s27, s5
	s_load_b32 s42, s[4:5], 0x0
.LBB68_8:
	s_clause 0x2
	s_load_b64 s[26:27], s[0:1], 0x8c
	s_load_b128 s[4:7], s[0:1], 0x98
	s_load_b64 s[36:37], s[0:1], 0xa8
	s_ashr_i32 s33, s12, 31
	s_ashr_i32 s17, s45, 1
	s_mul_i32 s38, s3, s15
	v_lshrrev_b32_e32 v24, 2, v1
	v_lshlrev_b32_e32 v15, 2, v1
	v_mul_u32_u24_e32 v21, 0x60, v1
	v_mul_u32_u24_e32 v22, 0x50, v20
	v_mbcnt_lo_u32_b32 v16, -1, 0
	s_waitcnt lgkmcnt(0)
	s_ashr_i32 s22, s26, 2
	s_ashr_i32 s13, s6, 2
	s_mul_i32 s5, s12, s5
	s_mul_hi_u32 s6, s12, s4
	s_mul_i32 s26, s33, s4
	s_add_i32 s5, s6, s5
	s_mul_i32 s4, s12, s4
	s_add_i32 s5, s5, s26
	s_add_u32 s4, s18, s4
	s_addc_u32 s5, s19, s5
	s_xor_b32 s6, s35, s16
	s_sub_i32 s16, s23, s38
	s_add_i32 s18, s3, 1
	s_sub_i32 s19, s16, s15
	s_cmp_ge_u32 s16, s15
	s_mul_i32 s33, s33, s36
	s_cselect_b32 s3, s18, s3
	s_cselect_b32 s16, s19, s16
	s_add_i32 s18, s3, 1
	s_cmp_ge_u32 s16, s15
	s_mul_i32 s15, s12, s37
	s_cselect_b32 s3, s18, s3
	s_mul_hi_u32 s16, s12, s36
	s_xor_b32 s3, s3, s6
	s_mul_i32 s19, s12, s36
	s_sub_i32 s3, s3, s6
	s_delay_alu instid0(SALU_CYCLE_1)
	s_mul_i32 s6, s3, s27
	s_mul_i32 s3, s3, s7
	s_ashr_i32 s18, s6, 31
	s_add_u32 s6, s4, s6
	s_addc_u32 s18, s5, s18
	s_add_i32 s4, s16, s15
	s_delay_alu instid0(SALU_CYCLE_1)
	s_add_i32 s4, s4, s33
	s_add_u32 s5, s20, s19
	s_addc_u32 s4, s21, s4
	s_ashr_i32 s15, s3, 31
	s_add_u32 s7, s5, s3
	s_addc_u32 s15, s4, s15
	s_lshl_b32 s16, s14, 5
	s_sub_i32 s19, s42, 32
	s_delay_alu instid0(SALU_CYCLE_1)
	s_cmp_ge_i32 s16, s19
	s_cbranch_scc1 .LBB68_19
; %bb.9:
	v_mul_hi_u32 v2, s8, v0
	v_mov_b32_e32 v17, 0
	v_lshl_add_u32 v4, v20, 3, v24
	v_lshl_add_u32 v3, v20, 5, v1
	v_dual_mov_b32 v36, 0xfeffffff :: v_dual_and_b32 v19, 12, v15
	v_lshl_add_u32 v25, v20, 6, 0xd00
	s_delay_alu instid0(VALU_DEP_4)
	v_mul_lo_u32 v5, s22, v4
	v_add_nc_u32_e32 v2, v0, v2
	v_mul_lo_u32 v11, s13, v4
	v_mul_lo_u32 v7, s22, v3
	;; [unrolled: 1-line block ×3, first 2 shown]
	v_lshlrev_b32_e32 v6, 2, v19
	v_lshrrev_b32_e32 v2, s9, v2
	v_mad_u32_u24 v26, 0x60, v3, 64
	v_lshlrev_b32_e32 v8, 4, v3
	v_lshl_add_u32 v13, s22, 4, v5
	v_lshl_add_u32 v34, s13, 4, v11
	v_mul_lo_u32 v2, v2, s10
	v_mad_u32_u24 v28, 0x60, v4, v6
	v_mad_u32_u24 v30, 0x50, v4, v6
	v_sub_nc_u32_e32 v29, v26, v8
	v_ashrrev_i32_e32 v6, 31, v5
	v_ashrrev_i32_e32 v8, 31, v7
	;; [unrolled: 1-line block ×4, first 2 shown]
	v_sub_nc_u32_e32 v4, v0, v2
	v_ashrrev_i32_e32 v12, 31, v11
	v_ashrrev_i32_e32 v35, 31, v34
	v_cmp_gt_u32_e64 s3, 32, v3
	v_lshlrev_b64 v[5:6], 2, v[5:6]
	v_mad_u64_u32 v[2:3], null, v4, s17, v[1:2]
	v_lshlrev_b64 v[3:4], 2, v[7:8]
	v_lshlrev_b64 v[7:8], 2, v[13:14]
	;; [unrolled: 1-line block ×5, first 2 shown]
	v_mov_b32_e32 v35, 0
	s_cmp_lg_u64 s[40:41], 0
	v_lshl_add_u32 v27, v1, 1, v25
	v_add_nc_u32_e32 v31, 0x600, v28
	v_add_nc_u32_e32 v32, 0x500, v30
	v_lshlrev_b32_e32 v33, 2, v19
	v_mbcnt_lo_u32_b32 v34, -1, 0
	s_cselect_b32 s20, -1, 0
	s_add_u32 s4, s0, 0xd0
	s_addc_u32 s5, s1, 0
.LBB68_10:                              ; =>This Inner Loop Header: Depth=1
	s_mul_hi_i32 s27, s16, s22
	s_mul_i32 s26, s16, s22
	s_delay_alu instid0(SALU_CYCLE_1) | instskip(NEXT) | instid1(SALU_CYCLE_1)
	s_lshl_b64 s[26:27], s[26:27], 2
	s_add_u32 s21, s6, s26
	s_addc_u32 s23, s18, s27
	s_and_saveexec_b32 s26, s3
	s_cbranch_execz .LBB68_12
; %bb.11:                               ;   in Loop: Header=BB68_10 Depth=1
	v_add_co_u32 v37, vcc_lo, s21, v3
	v_add_co_ci_u32_e32 v38, vcc_lo, s23, v4, vcc_lo
	global_load_b128 v[37:40], v[37:38], off offset:64
	s_waitcnt vmcnt(0)
	ds_store_b128 v26, v[37:40]
.LBB68_12:                              ;   in Loop: Header=BB68_10 Depth=1
	s_or_b32 exec_lo, exec_lo, s26
	v_add_co_u32 v19, vcc_lo, s21, v5
	v_add_co_ci_u32_e32 v23, vcc_lo, s23, v6, vcc_lo
	v_add_co_u32 v39, vcc_lo, s21, v7
	v_add_co_ci_u32_e32 v40, vcc_lo, s23, v8, vcc_lo
	s_delay_alu instid0(VALU_DEP_4) | instskip(NEXT) | instid1(VALU_DEP_4)
	v_add_co_u32 v37, vcc_lo, v19, v33
	v_add_co_ci_u32_e32 v38, vcc_lo, 0, v23, vcc_lo
	s_delay_alu instid0(VALU_DEP_4) | instskip(NEXT) | instid1(VALU_DEP_4)
	v_add_co_u32 v41, vcc_lo, v39, v33
	v_add_co_ci_u32_e32 v42, vcc_lo, 0, v40, vcc_lo
	s_clause 0x1
	global_load_b128 v[37:40], v[37:38], off
	global_load_b128 v[41:44], v[41:42], off
	v_mov_b32_e32 v19, 0
	s_and_not1_b32 vcc_lo, exec_lo, s20
	s_waitcnt vmcnt(1)
	ds_store_b128 v28, v[37:40]
	s_waitcnt vmcnt(0)
	ds_store_b128 v31, v[41:44]
	s_waitcnt lgkmcnt(0)
	s_barrier
	buffer_gl0_inv
	ds_load_b128 v[37:40], v21
	ds_load_b128 v[41:44], v22 offset:3168
	s_waitcnt lgkmcnt(0)
	;;#ASMSTART
	v_dot2_f32_f16 v19, v37, v41, v19
	;;#ASMEND
	;;#ASMSTART
	v_dot2_f32_f16 v19, v38, v42, v19
	;;#ASMEND
	;;#ASMSTART
	v_dot2_f32_f16 v19, v39, v43, v19
	;;#ASMEND
	;;#ASMSTART
	v_dot2_f32_f16 v19, v40, v44, v19
	;;#ASMEND
	ds_load_b128 v[37:40], v21 offset:16
	ds_load_b128 v[41:44], v22 offset:3184
	s_waitcnt lgkmcnt(0)
	;;#ASMSTART
	v_dot2_f32_f16 v19, v37, v41, v19
	;;#ASMEND
	;;#ASMSTART
	v_dot2_f32_f16 v19, v38, v42, v19
	;;#ASMEND
	;;#ASMSTART
	v_dot2_f32_f16 v19, v39, v43, v19
	;;#ASMEND
	;;#ASMSTART
	v_dot2_f32_f16 v19, v40, v44, v19
	;;#ASMEND
	ds_load_b128 v[37:40], v21 offset:32
	;; [unrolled: 15-line block ×4, first 2 shown]
	ds_load_b128 v[41:44], v22 offset:3232
	s_waitcnt lgkmcnt(0)
	;;#ASMSTART
	v_dot2_f32_f16 v19, v37, v41, v19
	;;#ASMEND
	;;#ASMSTART
	v_dot2_f32_f16 v19, v38, v42, v19
	;;#ASMEND
	;; [unrolled: 3-line block ×4, first 2 shown]
	s_cbranch_vccnz .LBB68_14
; %bb.13:                               ;   in Loop: Header=BB68_10 Depth=1
	v_add_nc_u32_e32 v37, s16, v2
	s_delay_alu instid0(VALU_DEP_1) | instskip(NEXT) | instid1(VALU_DEP_1)
	v_ashrrev_i32_e32 v38, 31, v37
	v_lshlrev_b64 v[37:38], 1, v[37:38]
	s_delay_alu instid0(VALU_DEP_1) | instskip(NEXT) | instid1(VALU_DEP_2)
	v_add_co_u32 v37, vcc_lo, s40, v37
	v_add_co_ci_u32_e32 v38, vcc_lo, s41, v38, vcc_lo
	flat_load_u16 v23, v[37:38]
	s_waitcnt vmcnt(0) lgkmcnt(0)
	v_cvt_f32_f16_e32 v23, v23
	s_delay_alu instid0(VALU_DEP_1)
	v_mul_f32_e32 v23, v18, v23
	s_branch .LBB68_15
.LBB68_14:                              ;   in Loop: Header=BB68_10 Depth=1
	v_mov_b32_e32 v23, 0
.LBB68_15:                              ;   in Loop: Header=BB68_10 Depth=1
	s_delay_alu instid0(VALU_DEP_1)
	v_add_f32_e32 v19, v19, v23
	v_xor_b32_e32 v23, 16, v34
	v_max_f32_e32 v37, v36, v36
	s_mul_hi_i32 s27, s16, s13
	s_mul_i32 s26, s16, s13
	v_add_f32_e32 v38, 0x40051340, v19
	v_cmp_gt_i32_e32 vcc_lo, 32, v23
	s_lshl_b64 s[26:27], s[26:27], 2
	s_delay_alu instid0(SALU_CYCLE_1) | instskip(NEXT) | instid1(VALU_DEP_2)
	s_add_u32 s21, s7, s26
	v_max_f32_e32 v37, v37, v38
	v_xor_b32_e32 v38, 8, v34
	v_cndmask_b32_e32 v23, v34, v23, vcc_lo
	s_addc_u32 s23, s15, s27
	s_barrier
	buffer_gl0_inv
	v_cmp_gt_i32_e32 vcc_lo, 32, v38
	v_cndmask_b32_e32 v38, v34, v38, vcc_lo
	s_delay_alu instid0(VALU_DEP_1) | instskip(SKIP_4) | instid1(VALU_DEP_1)
	v_lshlrev_b32_e32 v38, 2, v38
	v_lshlrev_b32_e32 v23, 2, v23
	ds_bpermute_b32 v23, v23, v37
	s_waitcnt lgkmcnt(0)
	v_max_f32_e32 v23, v23, v23
	v_max_f32_e32 v23, v37, v23
	ds_bpermute_b32 v37, v38, v23
	v_xor_b32_e32 v38, 4, v34
	s_delay_alu instid0(VALU_DEP_1) | instskip(SKIP_2) | instid1(VALU_DEP_1)
	v_cmp_gt_i32_e32 vcc_lo, 32, v38
	v_cndmask_b32_e32 v38, v34, v38, vcc_lo
	s_waitcnt lgkmcnt(0)
	v_dual_max_f32 v37, v37, v37 :: v_dual_lshlrev_b32 v38, 2, v38
	s_delay_alu instid0(VALU_DEP_1) | instskip(SKIP_2) | instid1(VALU_DEP_1)
	v_max_f32_e32 v23, v23, v37
	ds_bpermute_b32 v37, v38, v23
	v_xor_b32_e32 v38, 2, v34
	v_cmp_gt_i32_e32 vcc_lo, 32, v38
	v_cndmask_b32_e32 v38, v34, v38, vcc_lo
	s_waitcnt lgkmcnt(0)
	s_delay_alu instid0(VALU_DEP_1) | instskip(NEXT) | instid1(VALU_DEP_1)
	v_dual_max_f32 v37, v37, v37 :: v_dual_lshlrev_b32 v38, 2, v38
	v_max_f32_e32 v23, v23, v37
	ds_bpermute_b32 v37, v38, v23
	v_xor_b32_e32 v38, 1, v34
	s_delay_alu instid0(VALU_DEP_1) | instskip(SKIP_2) | instid1(VALU_DEP_1)
	v_cmp_gt_i32_e32 vcc_lo, 32, v38
	v_cndmask_b32_e32 v38, v34, v38, vcc_lo
	s_waitcnt lgkmcnt(0)
	v_dual_max_f32 v37, v37, v37 :: v_dual_lshlrev_b32 v38, 2, v38
	s_delay_alu instid0(VALU_DEP_1) | instskip(SKIP_3) | instid1(VALU_DEP_1)
	v_max_f32_e32 v23, v23, v37
	ds_bpermute_b32 v37, v38, v23
	s_waitcnt lgkmcnt(0)
	v_max_f32_e32 v37, v37, v37
	v_max_f32_e32 v23, v23, v37
	s_delay_alu instid0(VALU_DEP_1) | instskip(NEXT) | instid1(VALU_DEP_1)
	v_sub_f32_e32 v19, v19, v23
	v_mul_f32_e32 v37, 0x3fb8aa3b, v19
	v_cmp_ngt_f32_e32 vcc_lo, 0xc2ce8ed0, v19
	s_delay_alu instid0(VALU_DEP_2) | instskip(SKIP_1) | instid1(VALU_DEP_2)
	v_fma_f32 v38, 0x3fb8aa3b, v19, -v37
	v_rndne_f32_e32 v39, v37
	v_fmac_f32_e32 v38, 0x32a5705f, v19
	s_delay_alu instid0(VALU_DEP_2) | instskip(NEXT) | instid1(VALU_DEP_1)
	v_sub_f32_e32 v37, v37, v39
	v_add_f32_e32 v37, v37, v38
	v_cvt_i32_f32_e32 v38, v39
	s_delay_alu instid0(VALU_DEP_2) | instskip(SKIP_2) | instid1(VALU_DEP_1)
	v_exp_f32_e32 v37, v37
	s_waitcnt_depctr 0xfff
	v_ldexp_f32 v37, v37, v38
	v_cndmask_b32_e32 v37, 0, v37, vcc_lo
	v_cmp_nlt_f32_e32 vcc_lo, 0x42b17218, v19
	s_delay_alu instid0(VALU_DEP_2) | instskip(NEXT) | instid1(VALU_DEP_1)
	v_cndmask_b32_e32 v19, 0x7f800000, v37, vcc_lo
	v_cvt_f16_f32_e32 v37, v19
	ds_store_b16 v27, v37
	s_and_saveexec_b32 s26, s3
	s_cbranch_execz .LBB68_17
; %bb.16:                               ;   in Loop: Header=BB68_10 Depth=1
	v_add_co_u32 v37, vcc_lo, s21, v9
	v_add_co_ci_u32_e32 v38, vcc_lo, s23, v10, vcc_lo
	global_load_b128 v[37:40], v[37:38], off offset:64
	s_waitcnt vmcnt(0)
	ds_store_b128 v29, v[37:40]
.LBB68_17:                              ;   in Loop: Header=BB68_10 Depth=1
	s_or_b32 exec_lo, exec_lo, s26
	v_add_co_u32 v37, vcc_lo, s21, v11
	v_add_co_ci_u32_e32 v38, vcc_lo, s23, v12, vcc_lo
	v_add_co_u32 v39, vcc_lo, s21, v13
	v_add_co_ci_u32_e32 v40, vcc_lo, s23, v14, vcc_lo
	s_delay_alu instid0(VALU_DEP_4) | instskip(NEXT) | instid1(VALU_DEP_4)
	v_add_co_u32 v37, vcc_lo, v37, v33
	v_add_co_ci_u32_e32 v38, vcc_lo, 0, v38, vcc_lo
	s_delay_alu instid0(VALU_DEP_4) | instskip(NEXT) | instid1(VALU_DEP_4)
	v_add_co_u32 v41, vcc_lo, v39, v33
	v_add_co_ci_u32_e32 v42, vcc_lo, 0, v40, vcc_lo
	s_clause 0x1
	global_load_b128 v[37:40], v[37:38], off
	global_load_b128 v[41:44], v[41:42], off
	v_sub_f32_e32 v46, v36, v23
	s_waitcnt vmcnt(1)
	ds_store_b128 v30, v[37:40]
	s_waitcnt vmcnt(0)
	ds_store_b128 v32, v[41:44]
	v_mul_f32_e32 v36, 0x3fb8aa3b, v46
	s_waitcnt lgkmcnt(0)
	s_barrier
	buffer_gl0_inv
	v_cmp_ngt_f32_e32 vcc_lo, 0xc2ce8ed0, v46
	v_fma_f32 v45, 0x3fb8aa3b, v46, -v36
	v_rndne_f32_e32 v47, v36
	s_delay_alu instid0(VALU_DEP_1) | instskip(SKIP_1) | instid1(VALU_DEP_2)
	v_dual_fmac_f32 v45, 0x32a5705f, v46 :: v_dual_sub_f32 v36, v36, v47
	v_cvt_i32_f32_e32 v47, v47
	v_add_f32_e32 v36, v36, v45
	s_delay_alu instid0(VALU_DEP_1)
	v_exp_f32_e32 v48, v36
	ds_load_2addr_b32 v[44:45], v15 offset1:20
	ds_load_b128 v[36:39], v25
	v_ldexp_f32 v40, v48, v47
	ds_load_2addr_b32 v[48:49], v15 offset0:80 offset1:100
	v_cndmask_b32_e32 v40, 0, v40, vcc_lo
	v_cmp_nlt_f32_e32 vcc_lo, 0x42b17218, v46
	ds_load_2addr_b32 v[46:47], v15 offset0:40 offset1:60
	v_cndmask_b32_e32 v50, 0x7f800000, v40, vcc_lo
	s_waitcnt lgkmcnt(2)
	v_pk_mul_f16 v44, v44, v36 op_sel_hi:[1,0]
	ds_load_b128 v[40:43], v25 offset:16
	v_cvt_f16_f32_e32 v51, v50
	v_fmac_f32_e32 v19, v35, v50
	s_delay_alu instid0(VALU_DEP_2) | instskip(SKIP_1) | instid1(VALU_DEP_2)
	v_pk_fma_f16 v17, v17, v51, v44 op_sel_hi:[1,0,1]
	v_add_nc_u32_e32 v51, 0x400, v15
	v_pk_fma_f16 v17, v45, v36, v17 op_sel:[0,1,0]
	ds_load_2addr_b32 v[44:45], v15 offset0:120 offset1:140
	s_waitcnt lgkmcnt(2)
	v_pk_fma_f16 v17, v46, v37, v17 op_sel_hi:[1,0,1]
	s_delay_alu instid0(VALU_DEP_1) | instskip(SKIP_3) | instid1(VALU_DEP_1)
	v_pk_fma_f16 v17, v47, v37, v17 op_sel:[0,1,0]
	ds_load_2addr_b32 v[36:37], v15 offset0:160 offset1:180
	ds_load_2addr_b32 v[46:47], v15 offset0:200 offset1:220
	v_pk_fma_f16 v17, v48, v38, v17 op_sel_hi:[1,0,1]
	v_pk_fma_f16 v17, v49, v38, v17 op_sel:[0,1,0]
	v_add_nc_u32_e32 v38, 0x200, v15
	ds_load_2addr_b32 v[48:49], v51 offset0:24 offset1:44
	s_waitcnt lgkmcnt(3)
	v_pk_fma_f16 v17, v44, v39, v17 op_sel_hi:[1,0,1]
	s_delay_alu instid0(VALU_DEP_1) | instskip(SKIP_3) | instid1(VALU_DEP_1)
	v_pk_fma_f16 v17, v45, v39, v17 op_sel:[0,1,0]
	ds_load_2addr_b32 v[44:45], v38 offset0:112 offset1:132
	s_waitcnt lgkmcnt(3)
	v_pk_fma_f16 v17, v36, v40, v17 op_sel_hi:[1,0,1]
	v_pk_fma_f16 v17, v37, v40, v17 op_sel:[0,1,0]
	ds_load_b128 v[36:39], v25 offset:32
	s_waitcnt lgkmcnt(3)
	v_pk_fma_f16 v17, v46, v41, v17 op_sel_hi:[1,0,1]
	s_delay_alu instid0(VALU_DEP_1) | instskip(SKIP_3) | instid1(VALU_DEP_1)
	v_pk_fma_f16 v17, v47, v41, v17 op_sel:[0,1,0]
	ds_load_2addr_b32 v[46:47], v51 offset0:64 offset1:84
	s_waitcnt lgkmcnt(2)
	v_pk_fma_f16 v17, v44, v42, v17 op_sel_hi:[1,0,1]
	v_pk_fma_f16 v17, v45, v42, v17 op_sel:[0,1,0]
	ds_load_2addr_b32 v[44:45], v51 offset0:104 offset1:124
	v_pk_fma_f16 v17, v48, v43, v17 op_sel_hi:[1,0,1]
	s_delay_alu instid0(VALU_DEP_1) | instskip(SKIP_4) | instid1(VALU_DEP_1)
	v_pk_fma_f16 v17, v49, v43, v17 op_sel:[0,1,0]
	ds_load_b128 v[40:43], v25 offset:48
	ds_load_2addr_b32 v[48:49], v51 offset0:144 offset1:164
	s_waitcnt lgkmcnt(3)
	v_pk_fma_f16 v17, v46, v36, v17 op_sel_hi:[1,0,1]
	v_pk_fma_f16 v17, v47, v36, v17 op_sel:[0,1,0]
	ds_load_2addr_b32 v[46:47], v51 offset0:184 offset1:204
	s_waitcnt lgkmcnt(3)
	v_pk_fma_f16 v17, v44, v37, v17 op_sel_hi:[1,0,1]
	s_delay_alu instid0(VALU_DEP_1) | instskip(SKIP_4) | instid1(VALU_DEP_2)
	v_pk_fma_f16 v17, v45, v37, v17 op_sel:[0,1,0]
	ds_load_2addr_b32 v[36:37], v51 offset0:224 offset1:244
	s_waitcnt lgkmcnt(2)
	v_pk_fma_f16 v17, v48, v38, v17 op_sel_hi:[1,0,1]
	v_add_nc_u32_e32 v48, 0x800, v15
	v_pk_fma_f16 v17, v49, v38, v17 op_sel:[0,1,0]
	ds_load_2addr_b32 v[44:45], v48 offset0:8 offset1:28
	s_waitcnt lgkmcnt(2)
	v_pk_fma_f16 v17, v46, v39, v17 op_sel_hi:[1,0,1]
	s_delay_alu instid0(VALU_DEP_1) | instskip(SKIP_3) | instid1(VALU_DEP_1)
	v_pk_fma_f16 v17, v47, v39, v17 op_sel:[0,1,0]
	ds_load_2addr_b32 v[38:39], v48 offset0:48 offset1:68
	s_waitcnt lgkmcnt(2)
	v_pk_fma_f16 v17, v36, v40, v17 op_sel_hi:[1,0,1]
	v_pk_fma_f16 v17, v37, v40, v17 op_sel:[0,1,0]
	ds_load_2addr_b32 v[36:37], v48 offset0:88 offset1:108
	s_waitcnt lgkmcnt(0)
	s_barrier
	buffer_gl0_inv
	v_pk_fma_f16 v17, v44, v41, v17 op_sel_hi:[1,0,1]
	s_load_b32 s21, s[4:5], 0x4
	s_delay_alu instid0(VALU_DEP_1) | instskip(NEXT) | instid1(VALU_DEP_1)
	v_pk_fma_f16 v17, v45, v41, v17 op_sel:[0,1,0]
	v_pk_fma_f16 v17, v38, v42, v17 op_sel_hi:[1,0,1]
	s_delay_alu instid0(VALU_DEP_1) | instskip(NEXT) | instid1(VALU_DEP_1)
	v_pk_fma_f16 v17, v39, v42, v17 op_sel:[0,1,0]
	v_pk_fma_f16 v17, v36, v43, v17 op_sel_hi:[1,0,1]
	s_waitcnt lgkmcnt(0)
	s_lshl_b32 s21, s21, 5
	s_delay_alu instid0(SALU_CYCLE_1) | instskip(NEXT) | instid1(VALU_DEP_1)
	s_add_i32 s16, s21, s16
	v_pk_fma_f16 v17, v37, v43, v17 op_sel:[0,1,0]
	s_cmp_lt_i32 s16, s19
	s_cbranch_scc0 .LBB68_20
; %bb.18:                               ;   in Loop: Header=BB68_10 Depth=1
	v_mov_b32_e32 v36, v23
	v_mov_b32_e32 v35, v19
	s_branch .LBB68_10
.LBB68_19:
	v_mov_b32_e32 v17, 0
	v_mov_b32_e32 v23, 0xfeffffff
	;; [unrolled: 1-line block ×3, first 2 shown]
.LBB68_20:
	s_cmp_gt_i32 s42, s16
	s_cbranch_scc1 .LBB68_22
; %bb.21:
	v_mbcnt_lo_u32_b32 v3, -1, 0
	v_mov_b32_e32 v12, 32
	s_delay_alu instid0(VALU_DEP_2)
	v_xor_b32_e32 v4, 16, v3
	v_xor_b32_e32 v6, 8, v3
	;; [unrolled: 1-line block ×5, first 2 shown]
	v_mov_b32_e32 v2, v23
	s_cbranch_execz .LBB68_23
	s_branch .LBB68_33
.LBB68_22:
                                        ; implicit-def: $vgpr3
                                        ; implicit-def: $vgpr12
                                        ; implicit-def: $vgpr4
                                        ; implicit-def: $vgpr6
                                        ; implicit-def: $vgpr7
                                        ; implicit-def: $vgpr9
                                        ; implicit-def: $vgpr10
	s_delay_alu instid0(VALU_DEP_2)
	v_mov_b32_e32 v2, v23
.LBB68_23:
	v_lshlrev_b32_e32 v13, 5, v20
	s_mul_hi_i32 s5, s16, s22
	s_mul_i32 s4, s16, s22
	s_sub_i32 s19, s42, s16
	s_lshl_b64 s[20:21], s[4:5], 2
	v_add_nc_u32_e32 v8, v13, v1
	s_add_u32 s4, s6, s20
	s_addc_u32 s6, s18, s21
	s_delay_alu instid0(VALU_DEP_1) | instskip(SKIP_1) | instid1(VALU_DEP_2)
	v_cmp_gt_u32_e64 s5, 32, v8
	v_cmp_gt_i32_e32 vcc_lo, s19, v8
	s_and_saveexec_b32 s18, s5
	s_cbranch_execz .LBB68_25
; %bb.24:
	v_mul_lo_u32 v2, s22, v8
	s_mov_b64 s[20:21], src_private_base
	s_delay_alu instid0(VALU_DEP_1) | instskip(NEXT) | instid1(VALU_DEP_1)
	v_ashrrev_i32_e32 v3, 31, v2
	v_lshlrev_b64 v[2:3], 2, v[2:3]
	s_delay_alu instid0(VALU_DEP_1) | instskip(NEXT) | instid1(VALU_DEP_1)
	v_add_co_u32 v4, s3, s4, v2
	v_add_co_ci_u32_e64 v3, s3, s6, v3, s3
	s_delay_alu instid0(VALU_DEP_2) | instskip(SKIP_1) | instid1(VALU_DEP_3)
	v_add_co_u32 v5, s3, v4, 64
	v_mov_b32_e32 v2, 0
	v_add_co_ci_u32_e64 v6, s3, 0, v3, s3
	s_delay_alu instid0(VALU_DEP_3) | instskip(NEXT) | instid1(VALU_DEP_2)
	v_cndmask_b32_e32 v5, 0, v5, vcc_lo
	v_dual_mov_b32 v3, v2 :: v_dual_cndmask_b32 v6, s21, v6
	v_mov_b32_e32 v4, v2
	s_clause 0x1
	scratch_store_b32 off, v2, off
	scratch_store_b96 off, v[2:4], off offset:4
	flat_load_b128 v[2:5], v[5:6]
	v_mul_u32_u24_e32 v6, 0x60, v8
	s_waitcnt vmcnt(0) lgkmcnt(0)
	ds_store_b128 v6, v[2:5] offset:64
.LBB68_25:
	s_or_b32 exec_lo, exec_lo, s18
	v_lshl_add_u32 v3, v20, 3, v24
	s_mov_b32 s36, 0
	s_mov_b64 s[20:21], src_private_base
	s_mov_b32 s37, s36
	s_mov_b32 s38, s36
	v_mul_lo_u32 v4, s22, v3
	v_and_b32_e32 v2, 12, v15
	v_dual_mov_b32 v28, s36 :: v_dual_add_nc_u32 v11, 16, v3
	v_dual_mov_b32 v29, s37 :: v_dual_mov_b32 v30, s38
	s_mov_b32 s18, exec_lo
	v_mov_b32_e32 v12, 0
	v_ashrrev_i32_e32 v5, 31, v4
	s_clause 0x1
	scratch_store_b32 off, v12, off
	scratch_store_b96 off, v[28:30], off offset:4
	v_lshlrev_b64 v[6:7], 2, v[4:5]
	v_lshlrev_b32_e32 v5, 2, v2
	s_delay_alu instid0(VALU_DEP_1) | instskip(NEXT) | instid1(VALU_DEP_3)
	v_mad_u32_u24 v9, 0x60, v3, v5
	v_add_co_u32 v2, s3, s4, v6
	s_delay_alu instid0(VALU_DEP_1) | instskip(NEXT) | instid1(VALU_DEP_2)
	v_add_co_ci_u32_e64 v6, s3, s6, v7, s3
	v_add_co_u32 v2, s3, v2, v5
	s_delay_alu instid0(VALU_DEP_1) | instskip(SKIP_1) | instid1(VALU_DEP_1)
	v_add_co_ci_u32_e64 v6, s3, 0, v6, s3
	v_cmp_gt_i32_e64 s3, s19, v3
	v_cndmask_b32_e64 v7, s21, v6, s3
	s_delay_alu instid0(VALU_DEP_4)
	v_cndmask_b32_e64 v6, 0, v2, s3
	flat_load_b128 v[24:27], v[6:7]
	v_lshl_add_u32 v6, s22, 4, v4
	s_clause 0x1
	scratch_store_b32 off, v12, off
	scratch_store_b96 off, v[28:30], off offset:4
	v_ashrrev_i32_e32 v7, 31, v6
	s_delay_alu instid0(VALU_DEP_1) | instskip(NEXT) | instid1(VALU_DEP_1)
	v_lshlrev_b64 v[6:7], 2, v[6:7]
	v_add_co_u32 v2, s4, s4, v6
	s_delay_alu instid0(VALU_DEP_1) | instskip(NEXT) | instid1(VALU_DEP_2)
	v_add_co_ci_u32_e64 v4, s4, s6, v7, s4
	v_add_co_u32 v2, s4, v2, v5
	s_delay_alu instid0(VALU_DEP_1) | instskip(SKIP_1) | instid1(VALU_DEP_1)
	v_add_co_ci_u32_e64 v4, s4, 0, v4, s4
	v_cmp_gt_i32_e64 s4, s19, v11
	v_cndmask_b32_e64 v7, s21, v4, s4
	s_delay_alu instid0(VALU_DEP_4)
	v_cndmask_b32_e64 v6, 0, v2, s4
	v_mov_b32_e32 v2, v23
	s_waitcnt vmcnt(0) lgkmcnt(0)
	ds_store_b128 v9, v[24:27]
	flat_load_b128 v[24:27], v[6:7]
	s_waitcnt vmcnt(0) lgkmcnt(0)
	ds_store_b128 v9, v[24:27] offset:1536
	s_waitcnt lgkmcnt(0)
	s_waitcnt_vscnt null, 0x0
	s_barrier
	buffer_gl0_inv
	ds_load_b128 v[24:27], v21
	ds_load_b128 v[28:31], v22 offset:3168
	s_waitcnt lgkmcnt(0)
	;;#ASMSTART
	v_dot2_f32_f16 v12, v24, v28, v12
	;;#ASMEND
	;;#ASMSTART
	v_dot2_f32_f16 v12, v25, v29, v12
	;;#ASMEND
	;;#ASMSTART
	v_dot2_f32_f16 v12, v26, v30, v12
	;;#ASMEND
	;;#ASMSTART
	v_dot2_f32_f16 v12, v27, v31, v12
	;;#ASMEND
	ds_load_b128 v[24:27], v21 offset:16
	ds_load_b128 v[28:31], v22 offset:3184
	s_waitcnt lgkmcnt(0)
	;;#ASMSTART
	v_dot2_f32_f16 v12, v24, v28, v12
	;;#ASMEND
	;;#ASMSTART
	v_dot2_f32_f16 v12, v25, v29, v12
	;;#ASMEND
	;;#ASMSTART
	v_dot2_f32_f16 v12, v26, v30, v12
	;;#ASMEND
	;;#ASMSTART
	v_dot2_f32_f16 v12, v27, v31, v12
	;;#ASMEND
	ds_load_b128 v[24:27], v21 offset:32
	;; [unrolled: 15-line block ×4, first 2 shown]
	ds_load_b128 v[28:31], v22 offset:3232
	s_waitcnt lgkmcnt(0)
	;;#ASMSTART
	v_dot2_f32_f16 v12, v24, v28, v12
	;;#ASMEND
	;;#ASMSTART
	v_dot2_f32_f16 v12, v25, v29, v12
	;;#ASMEND
	;; [unrolled: 3-line block ×4, first 2 shown]
	v_cmpx_gt_i32_e64 s19, v1
	s_cbranch_execz .LBB68_30
; %bb.26:
	s_cmp_eq_u64 s[40:41], 0
	s_cbranch_scc1 .LBB68_28
; %bb.27:
	v_mul_hi_u32 v2, s8, v0
	s_delay_alu instid0(VALU_DEP_1) | instskip(NEXT) | instid1(VALU_DEP_1)
	v_add_nc_u32_e32 v2, v0, v2
	v_lshrrev_b32_e32 v2, s9, v2
	s_delay_alu instid0(VALU_DEP_1) | instskip(NEXT) | instid1(VALU_DEP_1)
	v_mul_lo_u32 v2, v2, s10
	v_sub_nc_u32_e32 v2, v0, v2
	s_delay_alu instid0(VALU_DEP_1) | instskip(NEXT) | instid1(VALU_DEP_1)
	v_mul_lo_u32 v2, v2, s17
	v_add3_u32 v6, v2, v1, s16
	s_delay_alu instid0(VALU_DEP_1) | instskip(NEXT) | instid1(VALU_DEP_1)
	v_ashrrev_i32_e32 v7, 31, v6
	v_lshlrev_b64 v[6:7], 1, v[6:7]
	s_delay_alu instid0(VALU_DEP_1) | instskip(NEXT) | instid1(VALU_DEP_1)
	v_add_co_u32 v6, s6, s40, v6
	v_add_co_ci_u32_e64 v7, s6, s41, v7, s6
	flat_load_u16 v2, v[6:7]
	s_waitcnt vmcnt(0) lgkmcnt(0)
	v_cvt_f32_f16_e32 v2, v2
	s_delay_alu instid0(VALU_DEP_1)
	v_mul_f32_e32 v2, v18, v2
	s_branch .LBB68_29
.LBB68_28:
	v_mov_b32_e32 v2, 0
.LBB68_29:
	s_delay_alu instid0(VALU_DEP_1) | instskip(SKIP_1) | instid1(VALU_DEP_2)
	v_add_f32_e32 v12, v12, v2
	v_max_f32_e32 v4, v23, v23
	v_add_f32_e32 v2, 0x40051340, v12
	s_delay_alu instid0(VALU_DEP_1)
	v_max_f32_e32 v2, v4, v2
.LBB68_30:
	s_or_b32 exec_lo, exec_lo, s18
	v_xor_b32_e32 v4, 16, v16
	v_lshl_add_u32 v13, v13, 1, 0xd00
	s_mul_hi_i32 s9, s16, s13
	s_mul_i32 s8, s16, s13
	s_delay_alu instid0(VALU_DEP_2) | instskip(SKIP_4) | instid1(VALU_DEP_1)
	v_cmp_gt_i32_e64 s6, 32, v4
	s_lshl_b64 s[8:9], s[8:9], 2
	s_barrier
	buffer_gl0_inv
	v_cndmask_b32_e64 v6, v16, v4, s6
	v_lshlrev_b32_e32 v6, 2, v6
	ds_bpermute_b32 v7, v6, v2
	v_xor_b32_e32 v6, 8, v16
	s_delay_alu instid0(VALU_DEP_1) | instskip(NEXT) | instid1(VALU_DEP_1)
	v_cmp_gt_i32_e64 s6, 32, v6
	v_cndmask_b32_e64 v9, v16, v6, s6
	s_delay_alu instid0(VALU_DEP_1) | instskip(SKIP_2) | instid1(VALU_DEP_1)
	v_dual_max_f32 v2, v2, v2 :: v_dual_lshlrev_b32 v9, 2, v9
	s_waitcnt lgkmcnt(0)
	v_max_f32_e32 v7, v7, v7
	v_max_f32_e32 v2, v2, v7
	v_xor_b32_e32 v7, 4, v16
	ds_bpermute_b32 v9, v9, v2
	v_cmp_gt_i32_e64 s6, 32, v7
	s_delay_alu instid0(VALU_DEP_1) | instskip(SKIP_1) | instid1(VALU_DEP_1)
	v_cndmask_b32_e64 v10, v16, v7, s6
	s_waitcnt lgkmcnt(0)
	v_dual_max_f32 v9, v9, v9 :: v_dual_lshlrev_b32 v10, 2, v10
	s_delay_alu instid0(VALU_DEP_1) | instskip(SKIP_3) | instid1(VALU_DEP_1)
	v_max_f32_e32 v2, v2, v9
	v_xor_b32_e32 v9, 2, v16
	ds_bpermute_b32 v10, v10, v2
	v_cmp_gt_i32_e64 s6, 32, v9
	v_cndmask_b32_e64 v14, v16, v9, s6
	s_delay_alu instid0(VALU_DEP_1) | instskip(SKIP_2) | instid1(VALU_DEP_1)
	v_lshlrev_b32_e32 v14, 2, v14
	s_waitcnt lgkmcnt(0)
	v_max_f32_e32 v10, v10, v10
	v_max_f32_e32 v2, v2, v10
	v_xor_b32_e32 v10, 1, v16
	ds_bpermute_b32 v14, v14, v2
	v_cmp_gt_i32_e64 s6, 32, v10
	s_delay_alu instid0(VALU_DEP_1) | instskip(NEXT) | instid1(VALU_DEP_1)
	v_cndmask_b32_e64 v18, v16, v10, s6
	v_lshlrev_b32_e32 v18, 2, v18
	s_waitcnt lgkmcnt(0)
	v_max_f32_e32 v14, v14, v14
	s_delay_alu instid0(VALU_DEP_1) | instskip(SKIP_3) | instid1(VALU_DEP_1)
	v_max_f32_e32 v2, v2, v14
	ds_bpermute_b32 v14, v18, v2
	s_waitcnt lgkmcnt(0)
	v_max_f32_e32 v14, v14, v14
	v_max_f32_e32 v2, v2, v14
	s_delay_alu instid0(VALU_DEP_1) | instskip(NEXT) | instid1(VALU_DEP_1)
	v_sub_f32_e32 v12, v12, v2
	v_mul_f32_e32 v14, 0x3fb8aa3b, v12
	v_cmp_ngt_f32_e64 s6, 0xc2ce8ed0, v12
	s_delay_alu instid0(VALU_DEP_2) | instskip(SKIP_1) | instid1(VALU_DEP_2)
	v_fma_f32 v18, 0x3fb8aa3b, v12, -v14
	v_rndne_f32_e32 v20, v14
	v_fmac_f32_e32 v18, 0x32a5705f, v12
	s_delay_alu instid0(VALU_DEP_2) | instskip(NEXT) | instid1(VALU_DEP_1)
	v_sub_f32_e32 v14, v14, v20
	v_add_f32_e32 v14, v14, v18
	v_cvt_i32_f32_e32 v18, v20
	v_lshl_add_u32 v20, v1, 1, v13
	s_delay_alu instid0(VALU_DEP_3) | instskip(SKIP_2) | instid1(VALU_DEP_1)
	v_exp_f32_e32 v14, v14
	s_waitcnt_depctr 0xfff
	v_ldexp_f32 v14, v14, v18
	v_cndmask_b32_e64 v14, 0, v14, s6
	v_cmp_nlt_f32_e64 s6, 0x42b17218, v12
	v_mov_b32_e32 v12, 32
	s_delay_alu instid0(VALU_DEP_2) | instskip(SKIP_1) | instid1(VALU_DEP_1)
	v_cndmask_b32_e64 v14, 0x7f800000, v14, s6
	v_cmp_gt_u32_e64 s6, s19, v1
	v_cndmask_b32_e64 v14, 0, v14, s6
	s_add_u32 s6, s7, s8
	s_addc_u32 s7, s15, s9
	s_delay_alu instid0(VALU_DEP_1)
	v_cvt_f16_f32_e32 v18, v14
	ds_store_b16 v20, v18
	s_and_saveexec_b32 s8, s5
	s_cbranch_execz .LBB68_32
; %bb.31:
	v_mul_lo_u32 v20, s13, v8
	s_mov_b64 s[16:17], src_private_base
	v_mul_u32_u24_e32 v8, 0x50, v8
	s_delay_alu instid0(VALU_DEP_2) | instskip(NEXT) | instid1(VALU_DEP_1)
	v_ashrrev_i32_e32 v21, 31, v20
	v_lshlrev_b64 v[20:21], 2, v[20:21]
	s_delay_alu instid0(VALU_DEP_1) | instskip(NEXT) | instid1(VALU_DEP_1)
	v_add_co_u32 v18, s5, s6, v20
	v_add_co_ci_u32_e64 v21, s5, s7, v21, s5
	s_delay_alu instid0(VALU_DEP_2) | instskip(NEXT) | instid1(VALU_DEP_1)
	v_add_co_u32 v18, s5, v18, 64
	v_add_co_ci_u32_e64 v24, s5, 0, v21, s5
	s_delay_alu instid0(VALU_DEP_1) | instskip(NEXT) | instid1(VALU_DEP_1)
	v_dual_mov_b32 v20, 0 :: v_dual_cndmask_b32 v25, s17, v24
	v_dual_cndmask_b32 v24, 0, v18 :: v_dual_mov_b32 v21, v20
	v_mov_b32_e32 v22, v20
	s_clause 0x1
	scratch_store_b32 off, v20, off
	scratch_store_b96 off, v[20:22], off offset:4
	flat_load_b128 v[24:27], v[24:25]
	s_waitcnt vmcnt(0) lgkmcnt(0)
	ds_store_b128 v8, v[24:27] offset:64
.LBB68_32:
	s_or_b32 exec_lo, exec_lo, s8
	v_mul_lo_u32 v20, s13, v3
	s_mov_b32 s16, 0
	s_mov_b64 s[8:9], src_private_base
	s_mov_b32 s18, s16
	s_mov_b32 s17, s16
	v_mov_b32_e32 v30, 0
	v_mul_lo_u32 v28, s13, v11
	v_mad_u32_u24 v3, 0x50, v3, v5
	v_ashrrev_i32_e32 v21, 31, v20
	s_delay_alu instid0(VALU_DEP_1) | instskip(NEXT) | instid1(VALU_DEP_4)
	v_lshlrev_b64 v[20:21], 2, v[20:21]
	v_ashrrev_i32_e32 v29, 31, v28
	s_delay_alu instid0(VALU_DEP_1) | instskip(NEXT) | instid1(VALU_DEP_3)
	v_lshlrev_b64 v[28:29], 2, v[28:29]
	v_add_co_u32 v8, vcc_lo, s6, v20
	s_delay_alu instid0(VALU_DEP_4) | instskip(SKIP_1) | instid1(VALU_DEP_3)
	v_add_co_ci_u32_e32 v18, vcc_lo, s7, v21, vcc_lo
	v_mov_b32_e32 v22, s18
	v_add_co_u32 v8, vcc_lo, v8, v5
	s_delay_alu instid0(VALU_DEP_3) | instskip(SKIP_1) | instid1(VALU_DEP_3)
	v_add_co_ci_u32_e32 v18, vcc_lo, 0, v18, vcc_lo
	v_dual_mov_b32 v21, s17 :: v_dual_mov_b32 v20, s16
	v_cndmask_b32_e64 v24, 0, v8, s3
	s_delay_alu instid0(VALU_DEP_3)
	v_cndmask_b32_e64 v25, s9, v18, s3
	s_clause 0x1
	scratch_store_b32 off, v30, off
	scratch_store_b96 off, v[20:22], off offset:4
	v_add_co_u32 v8, vcc_lo, s6, v28
	flat_load_b128 v[24:27], v[24:25]
	v_add_co_ci_u32_e32 v18, vcc_lo, s7, v29, vcc_lo
	v_add_co_u32 v8, vcc_lo, v8, v5
	s_clause 0x1
	scratch_store_b32 off, v30, off
	scratch_store_b96 off, v[20:22], off offset:4
	v_add_co_ci_u32_e32 v18, vcc_lo, 0, v18, vcc_lo
	v_cndmask_b32_e64 v28, 0, v8, s4
	v_mad_u32_u24 v5, 0x50, v11, v5
	s_delay_alu instid0(VALU_DEP_3) | instskip(SKIP_4) | instid1(VALU_DEP_1)
	v_cndmask_b32_e64 v29, s9, v18, s4
	s_waitcnt vmcnt(0) lgkmcnt(0)
	ds_store_b128 v3, v[24:27]
	flat_load_b128 v[24:27], v[28:29]
	v_sub_f32_e32 v3, v23, v2
	v_mul_f32_e32 v8, 0x3fb8aa3b, v3
	v_cmp_ngt_f32_e32 vcc_lo, 0xc2ce8ed0, v3
	s_delay_alu instid0(VALU_DEP_2) | instskip(SKIP_1) | instid1(VALU_DEP_2)
	v_fma_f32 v18, 0x3fb8aa3b, v3, -v8
	v_rndne_f32_e32 v20, v8
	v_fmac_f32_e32 v18, 0x32a5705f, v3
	s_delay_alu instid0(VALU_DEP_2) | instskip(SKIP_1) | instid1(VALU_DEP_2)
	v_sub_f32_e32 v8, v8, v20
	v_cvt_i32_f32_e32 v11, v20
	v_add_f32_e32 v8, v8, v18
	s_delay_alu instid0(VALU_DEP_1)
	v_exp_f32_e32 v8, v8
	s_waitcnt vmcnt(0) lgkmcnt(0)
	ds_store_b128 v5, v[24:27]
	s_waitcnt lgkmcnt(0)
	s_waitcnt_vscnt null, 0x0
	s_barrier
	buffer_gl0_inv
	ds_load_2addr_b32 v[28:29], v15 offset1:20
	ds_load_b128 v[20:23], v13
	v_ldexp_f32 v5, v8, v11
	ds_load_2addr_b32 v[30:31], v15 offset0:40 offset1:60
	ds_load_2addr_b32 v[32:33], v15 offset0:80 offset1:100
	ds_load_b128 v[24:27], v13 offset:16
	v_cndmask_b32_e32 v5, 0, v5, vcc_lo
	v_cmp_nlt_f32_e32 vcc_lo, 0x42b17218, v3
	s_delay_alu instid0(VALU_DEP_2) | instskip(NEXT) | instid1(VALU_DEP_1)
	v_cndmask_b32_e32 v3, 0x7f800000, v5, vcc_lo
	v_cvt_f16_f32_e32 v5, v3
	v_fmac_f32_e32 v14, v19, v3
	s_waitcnt lgkmcnt(3)
	v_pk_mul_f16 v8, v28, v20 op_sel_hi:[1,0]
	s_delay_alu instid0(VALU_DEP_2) | instskip(NEXT) | instid1(VALU_DEP_2)
	v_mov_b32_e32 v19, v14
	v_pk_fma_f16 v5, v17, v5, v8 op_sel_hi:[1,0,1]
	ds_load_2addr_b32 v[17:18], v15 offset0:120 offset1:140
	v_add_nc_u32_e32 v8, 0x200, v15
	v_pk_fma_f16 v5, v29, v20, v5 op_sel:[0,1,0]
	ds_load_2addr_b32 v[28:29], v15 offset0:200 offset1:220
	s_waitcnt lgkmcnt(4)
	v_pk_fma_f16 v5, v30, v21, v5 op_sel_hi:[1,0,1]
	s_delay_alu instid0(VALU_DEP_1) | instskip(SKIP_3) | instid1(VALU_DEP_1)
	v_pk_fma_f16 v5, v31, v21, v5 op_sel:[0,1,0]
	ds_load_2addr_b32 v[20:21], v15 offset0:160 offset1:180
	s_waitcnt lgkmcnt(4)
	v_pk_fma_f16 v5, v32, v22, v5 op_sel_hi:[1,0,1]
	v_pk_fma_f16 v5, v33, v22, v5 op_sel:[0,1,0]
	s_waitcnt lgkmcnt(2)
	s_delay_alu instid0(VALU_DEP_1) | instskip(NEXT) | instid1(VALU_DEP_1)
	v_pk_fma_f16 v5, v17, v23, v5 op_sel_hi:[1,0,1]
	v_pk_fma_f16 v5, v18, v23, v5 op_sel:[0,1,0]
	ds_load_2addr_b32 v[17:18], v8 offset0:112 offset1:132
	v_add_nc_u32_e32 v8, 0x400, v15
	s_waitcnt lgkmcnt(1)
	v_pk_fma_f16 v5, v20, v24, v5 op_sel_hi:[1,0,1]
	ds_load_2addr_b32 v[30:31], v8 offset0:24 offset1:44
	v_pk_fma_f16 v5, v21, v24, v5 op_sel:[0,1,0]
	ds_load_b128 v[20:23], v13 offset:32
	v_pk_fma_f16 v5, v28, v25, v5 op_sel_hi:[1,0,1]
	s_delay_alu instid0(VALU_DEP_1) | instskip(SKIP_3) | instid1(VALU_DEP_1)
	v_pk_fma_f16 v5, v29, v25, v5 op_sel:[0,1,0]
	ds_load_2addr_b32 v[28:29], v8 offset0:64 offset1:84
	s_waitcnt lgkmcnt(3)
	v_pk_fma_f16 v5, v17, v26, v5 op_sel_hi:[1,0,1]
	v_pk_fma_f16 v5, v18, v26, v5 op_sel:[0,1,0]
	ds_load_2addr_b32 v[17:18], v8 offset0:104 offset1:124
	s_waitcnt lgkmcnt(3)
	v_pk_fma_f16 v5, v30, v27, v5 op_sel_hi:[1,0,1]
	s_delay_alu instid0(VALU_DEP_1) | instskip(SKIP_4) | instid1(VALU_DEP_1)
	v_pk_fma_f16 v5, v31, v27, v5 op_sel:[0,1,0]
	ds_load_b128 v[24:27], v13 offset:48
	ds_load_2addr_b32 v[30:31], v8 offset0:144 offset1:164
	s_waitcnt lgkmcnt(3)
	v_pk_fma_f16 v5, v28, v20, v5 op_sel_hi:[1,0,1]
	v_pk_fma_f16 v5, v29, v20, v5 op_sel:[0,1,0]
	ds_load_2addr_b32 v[28:29], v8 offset0:184 offset1:204
	s_waitcnt lgkmcnt(3)
	v_pk_fma_f16 v5, v17, v21, v5 op_sel_hi:[1,0,1]
	s_delay_alu instid0(VALU_DEP_1)
	v_pk_fma_f16 v5, v18, v21, v5 op_sel:[0,1,0]
	ds_load_2addr_b32 v[17:18], v8 offset0:224 offset1:244
	v_add_nc_u32_e32 v8, 0x800, v15
	s_waitcnt lgkmcnt(2)
	v_pk_fma_f16 v5, v30, v22, v5 op_sel_hi:[1,0,1]
	ds_load_2addr_b32 v[20:21], v8 offset0:8 offset1:28
	v_pk_fma_f16 v5, v31, v22, v5 op_sel:[0,1,0]
	s_waitcnt lgkmcnt(2)
	s_delay_alu instid0(VALU_DEP_1) | instskip(NEXT) | instid1(VALU_DEP_1)
	v_pk_fma_f16 v5, v28, v23, v5 op_sel_hi:[1,0,1]
	v_pk_fma_f16 v5, v29, v23, v5 op_sel:[0,1,0]
	ds_load_2addr_b32 v[22:23], v8 offset0:48 offset1:68
	s_waitcnt lgkmcnt(2)
	v_pk_fma_f16 v5, v17, v24, v5 op_sel_hi:[1,0,1]
	s_delay_alu instid0(VALU_DEP_1)
	v_pk_fma_f16 v5, v18, v24, v5 op_sel:[0,1,0]
	ds_load_2addr_b32 v[17:18], v8 offset0:88 offset1:108
	s_waitcnt lgkmcnt(0)
	s_barrier
	buffer_gl0_inv
	v_pk_fma_f16 v5, v20, v25, v5 op_sel_hi:[1,0,1]
	s_delay_alu instid0(VALU_DEP_1) | instskip(NEXT) | instid1(VALU_DEP_1)
	v_pk_fma_f16 v5, v21, v25, v5 op_sel:[0,1,0]
	v_pk_fma_f16 v5, v22, v26, v5 op_sel_hi:[1,0,1]
	s_delay_alu instid0(VALU_DEP_1) | instskip(NEXT) | instid1(VALU_DEP_1)
	v_pk_fma_f16 v5, v23, v26, v5 op_sel:[0,1,0]
	v_pk_fma_f16 v3, v17, v27, v5 op_sel_hi:[1,0,1]
	s_delay_alu instid0(VALU_DEP_1)
	v_pk_fma_f16 v17, v18, v27, v3 op_sel:[0,1,0]
	v_mov_b32_e32 v3, v16
.LBB68_33:
	v_cmp_lt_i32_e32 vcc_lo, v4, v12
	s_cmp_eq_u64 s[24:25], 0
	s_cselect_b32 s3, -1, 0
	s_cmp_lg_u32 s14, 0
	v_cndmask_b32_e32 v4, v3, v4, vcc_lo
	v_cmp_lt_i32_e32 vcc_lo, v6, v12
	s_cselect_b32 s4, -1, 0
	s_delay_alu instid0(SALU_CYCLE_1) | instskip(SKIP_2) | instid1(VALU_DEP_2)
	s_or_b32 s3, s4, s3
	v_cndmask_b32_e32 v5, v3, v6, vcc_lo
	v_cmp_lt_i32_e32 vcc_lo, v7, v12
	v_lshlrev_b32_e32 v5, 2, v5
	v_lshlrev_b32_e32 v4, 2, v4
	v_cndmask_b32_e32 v6, v3, v7, vcc_lo
	v_cmp_lt_i32_e32 vcc_lo, v9, v12
	ds_bpermute_b32 v4, v4, v19
	v_lshlrev_b32_e32 v6, 2, v6
	s_waitcnt lgkmcnt(0)
	v_add_f32_e32 v4, v19, v4
	ds_bpermute_b32 v5, v5, v4
	s_waitcnt lgkmcnt(0)
	v_add_f32_e32 v4, v4, v5
	ds_bpermute_b32 v5, v6, v4
	v_cndmask_b32_e32 v6, v3, v9, vcc_lo
	v_cmp_lt_i32_e32 vcc_lo, v10, v12
	s_delay_alu instid0(VALU_DEP_2) | instskip(SKIP_3) | instid1(VALU_DEP_1)
	v_lshlrev_b32_e32 v6, 2, v6
	v_cndmask_b32_e32 v3, v3, v10, vcc_lo
	s_and_b32 vcc_lo, exec_lo, s3
	s_waitcnt lgkmcnt(0)
	v_dual_add_f32 v4, v4, v5 :: v_dual_lshlrev_b32 v3, 2, v3
	ds_bpermute_b32 v5, v6, v4
	s_waitcnt lgkmcnt(0)
	v_add_f32_e32 v4, v4, v5
	ds_bpermute_b32 v3, v3, v4
	s_waitcnt lgkmcnt(0)
	v_add_f32_e32 v3, v4, v3
	s_cbranch_vccnz .LBB68_35
; %bb.34:
	s_lshl_b64 s[4:5], s[34:35], 2
	v_dual_mov_b32 v4, 0 :: v_dual_max_f32 v5, v2, v2
	s_add_u32 s4, s24, s4
	s_addc_u32 s5, s25, s5
	global_load_b32 v4, v4, s[4:5]
	s_waitcnt vmcnt(0)
	v_max_f32_e32 v6, v4, v4
	s_delay_alu instid0(VALU_DEP_1) | instskip(NEXT) | instid1(VALU_DEP_1)
	v_max_f32_e32 v5, v5, v6
	v_sub_f32_e32 v2, v2, v5
	s_delay_alu instid0(VALU_DEP_1) | instskip(NEXT) | instid1(VALU_DEP_1)
	v_mul_f32_e32 v6, 0x3fb8aa3b, v2
	v_rndne_f32_e32 v9, v6
	v_fma_f32 v8, 0x3fb8aa3b, v2, -v6
	s_delay_alu instid0(VALU_DEP_2) | instskip(SKIP_1) | instid1(VALU_DEP_1)
	v_sub_f32_e32 v6, v6, v9
	v_sub_f32_e32 v4, v4, v5
	v_mul_f32_e32 v7, 0x3fb8aa3b, v4
	s_delay_alu instid0(VALU_DEP_4) | instskip(SKIP_1) | instid1(VALU_DEP_3)
	v_fmac_f32_e32 v8, 0x32a5705f, v2
	v_cmp_ngt_f32_e32 vcc_lo, 0xc2ce8ed0, v2
	v_fma_f32 v10, 0x3fb8aa3b, v4, -v7
	v_rndne_f32_e32 v11, v7
	s_delay_alu instid0(VALU_DEP_4) | instskip(SKIP_1) | instid1(VALU_DEP_3)
	v_add_f32_e32 v6, v6, v8
	v_cvt_i32_f32_e32 v8, v9
	v_dual_fmac_f32 v10, 0x32a5705f, v4 :: v_dual_sub_f32 v7, v7, v11
	s_delay_alu instid0(VALU_DEP_3) | instskip(SKIP_1) | instid1(VALU_DEP_2)
	v_exp_f32_e32 v6, v6
	v_cvt_i32_f32_e32 v9, v11
	v_add_f32_e32 v7, v7, v10
	s_delay_alu instid0(VALU_DEP_1) | instskip(SKIP_2) | instid1(VALU_DEP_1)
	v_exp_f32_e32 v7, v7
	s_waitcnt_depctr 0xfff
	v_ldexp_f32 v6, v6, v8
	v_cndmask_b32_e32 v6, 0, v6, vcc_lo
	v_cmp_ngt_f32_e32 vcc_lo, 0xc2ce8ed0, v4
	v_ldexp_f32 v7, v7, v9
	s_delay_alu instid0(VALU_DEP_1) | instskip(SKIP_3) | instid1(VALU_DEP_2)
	v_cndmask_b32_e32 v7, 0, v7, vcc_lo
	v_cmp_nlt_f32_e32 vcc_lo, 0x42b17218, v2
	v_cndmask_b32_e32 v2, 0x7f800000, v6, vcc_lo
	v_cmp_nlt_f32_e32 vcc_lo, 0x42b17218, v4
	v_cvt_f16_f32_e32 v6, v2
	v_cndmask_b32_e32 v4, 0x7f800000, v7, vcc_lo
	s_delay_alu instid0(VALU_DEP_2) | instskip(NEXT) | instid1(VALU_DEP_2)
	v_pk_mul_f16 v17, v17, v6 op_sel_hi:[1,0]
	v_fmac_f32_e32 v4, v3, v2
	s_delay_alu instid0(VALU_DEP_1)
	v_dual_mov_b32 v2, v5 :: v_dual_mov_b32 v3, v4
.LBB68_35:
	s_mov_b32 s3, exec_lo
	v_cmpx_gt_i32_e64 s10, v0
	s_cbranch_execz .LBB68_40
; %bb.36:
	s_load_b32 s0, s[0:1], 0xd4
	v_mad_u64_u32 v[4:5], null, s12, s10, v[0:1]
	s_delay_alu instid0(VALU_DEP_1) | instskip(SKIP_1) | instid1(VALU_DEP_1)
	v_mad_u64_u32 v[6:7], null, v4, s11, s[34:35]
	s_waitcnt lgkmcnt(0)
	v_mad_u64_u32 v[4:5], null, s0, v6, s[14:15]
	s_cmp_lg_u32 s0, 1
	s_cselect_b32 s0, -1, 0
	s_and_saveexec_b32 s1, s2
	s_cbranch_execz .LBB68_38
; %bb.37:
	v_div_scale_f32 v0, null, v3, v3, 1.0
	v_div_scale_f32 v7, vcc_lo, 1.0, v3, 1.0
	v_cvt_f32_f16_e32 v9, v17
	s_delay_alu instid0(VALU_DEP_3) | instskip(SKIP_2) | instid1(VALU_DEP_1)
	v_rcp_f32_e32 v5, v0
	s_waitcnt_depctr 0xfff
	v_fma_f32 v6, -v0, v5, 1.0
	v_fmac_f32_e32 v5, v6, v5
	s_delay_alu instid0(VALU_DEP_1) | instskip(NEXT) | instid1(VALU_DEP_1)
	v_mul_f32_e32 v6, v7, v5
	v_fma_f32 v8, -v0, v6, v7
	s_delay_alu instid0(VALU_DEP_1) | instskip(SKIP_1) | instid1(VALU_DEP_2)
	v_fmac_f32_e32 v6, v8, v5
	v_lshrrev_b32_e32 v8, 16, v17
	v_fma_f32 v0, -v0, v6, v7
	v_mul_lo_u32 v7, v4, 40
	s_delay_alu instid0(VALU_DEP_2) | instskip(SKIP_1) | instid1(VALU_DEP_3)
	v_div_fmas_f32 v0, v0, v5, v6
	v_mov_b32_e32 v6, 0
	v_lshl_add_u32 v5, v1, 1, v7
	s_delay_alu instid0(VALU_DEP_3) | instskip(SKIP_1) | instid1(VALU_DEP_3)
	v_div_fixup_f32 v0, v0, v3, 1.0
	v_cvt_f32_f16_e32 v7, v8
	v_lshlrev_b64 v[5:6], 2, v[5:6]
	s_delay_alu instid0(VALU_DEP_3) | instskip(NEXT) | instid1(VALU_DEP_2)
	v_cndmask_b32_e64 v0, v0, 1.0, s0
	v_add_co_u32 v5, vcc_lo, s28, v5
	s_delay_alu instid0(VALU_DEP_2)
	v_mul_f32_e32 v8, v0, v7
	v_mul_f32_e32 v7, v0, v9
	v_add_co_ci_u32_e32 v6, vcc_lo, s29, v6, vcc_lo
	global_store_b64 v[5:6], v[7:8], off
.LBB68_38:
	s_or_b32 exec_lo, exec_lo, s1
	v_cmp_eq_u32_e32 vcc_lo, 0, v1
	s_and_b32 s0, vcc_lo, s0
	s_delay_alu instid0(SALU_CYCLE_1)
	s_and_b32 exec_lo, exec_lo, s0
	s_cbranch_execz .LBB68_40
; %bb.39:
	v_ashrrev_i32_e32 v5, 31, v4
	s_delay_alu instid0(VALU_DEP_1) | instskip(NEXT) | instid1(VALU_DEP_1)
	v_lshlrev_b64 v[0:1], 3, v[4:5]
	v_add_co_u32 v0, vcc_lo, s30, v0
	s_delay_alu instid0(VALU_DEP_2)
	v_add_co_ci_u32_e32 v1, vcc_lo, s31, v1, vcc_lo
	global_store_b64 v[0:1], v[2:3], off
.LBB68_40:
	s_nop 0
	s_sendmsg sendmsg(MSG_DEALLOC_VGPRS)
	s_endpgm
	.section	.rodata,"a",@progbits
	.p2align	6, 0x0
	.amdhsa_kernel _ZL15flash_attn_tileILi40ELi40ELi2ELi1ELb0EEvPKcS1_S1_S1_S1_PKiPfP15HIP_vector_typeIfLj2EEffffjfiS5_IjLj3EEiiiiiiiiiiiliiliiiiil
		.amdhsa_group_segment_fixed_size 3456
		.amdhsa_private_segment_fixed_size 32
		.amdhsa_kernarg_size 464
		.amdhsa_user_sgpr_count 13
		.amdhsa_user_sgpr_dispatch_ptr 0
		.amdhsa_user_sgpr_queue_ptr 0
		.amdhsa_user_sgpr_kernarg_segment_ptr 1
		.amdhsa_user_sgpr_dispatch_id 0
		.amdhsa_user_sgpr_private_segment_size 0
		.amdhsa_wavefront_size32 1
		.amdhsa_uses_dynamic_stack 0
		.amdhsa_enable_private_segment 1
		.amdhsa_system_sgpr_workgroup_id_x 1
		.amdhsa_system_sgpr_workgroup_id_y 1
		.amdhsa_system_sgpr_workgroup_id_z 1
		.amdhsa_system_sgpr_workgroup_info 0
		.amdhsa_system_vgpr_workitem_id 1
		.amdhsa_next_free_vgpr 52
		.amdhsa_next_free_sgpr 52
		.amdhsa_reserve_vcc 1
		.amdhsa_float_round_mode_32 0
		.amdhsa_float_round_mode_16_64 0
		.amdhsa_float_denorm_mode_32 3
		.amdhsa_float_denorm_mode_16_64 3
		.amdhsa_dx10_clamp 1
		.amdhsa_ieee_mode 1
		.amdhsa_fp16_overflow 0
		.amdhsa_workgroup_processor_mode 1
		.amdhsa_memory_ordered 1
		.amdhsa_forward_progress 0
		.amdhsa_shared_vgpr_count 0
		.amdhsa_exception_fp_ieee_invalid_op 0
		.amdhsa_exception_fp_denorm_src 0
		.amdhsa_exception_fp_ieee_div_zero 0
		.amdhsa_exception_fp_ieee_overflow 0
		.amdhsa_exception_fp_ieee_underflow 0
		.amdhsa_exception_fp_ieee_inexact 0
		.amdhsa_exception_int_div_zero 0
	.end_amdhsa_kernel
	.section	.text._ZL15flash_attn_tileILi40ELi40ELi2ELi1ELb0EEvPKcS1_S1_S1_S1_PKiPfP15HIP_vector_typeIfLj2EEffffjfiS5_IjLj3EEiiiiiiiiiiiliiliiiiil,"axG",@progbits,_ZL15flash_attn_tileILi40ELi40ELi2ELi1ELb0EEvPKcS1_S1_S1_S1_PKiPfP15HIP_vector_typeIfLj2EEffffjfiS5_IjLj3EEiiiiiiiiiiiliiliiiiil,comdat
.Lfunc_end68:
	.size	_ZL15flash_attn_tileILi40ELi40ELi2ELi1ELb0EEvPKcS1_S1_S1_S1_PKiPfP15HIP_vector_typeIfLj2EEffffjfiS5_IjLj3EEiiiiiiiiiiiliiliiiiil, .Lfunc_end68-_ZL15flash_attn_tileILi40ELi40ELi2ELi1ELb0EEvPKcS1_S1_S1_S1_PKiPfP15HIP_vector_typeIfLj2EEffffjfiS5_IjLj3EEiiiiiiiiiiiliiliiiiil
                                        ; -- End function
	.section	.AMDGPU.csdata,"",@progbits
; Kernel info:
; codeLenInByte = 8408
; NumSgprs: 54
; NumVgprs: 52
; ScratchSize: 32
; MemoryBound: 0
; FloatMode: 240
; IeeeMode: 1
; LDSByteSize: 3456 bytes/workgroup (compile time only)
; SGPRBlocks: 6
; VGPRBlocks: 6
; NumSGPRsForWavesPerEU: 54
; NumVGPRsForWavesPerEU: 52
; Occupancy: 16
; WaveLimiterHint : 1
; COMPUTE_PGM_RSRC2:SCRATCH_EN: 1
; COMPUTE_PGM_RSRC2:USER_SGPR: 13
; COMPUTE_PGM_RSRC2:TRAP_HANDLER: 0
; COMPUTE_PGM_RSRC2:TGID_X_EN: 1
; COMPUTE_PGM_RSRC2:TGID_Y_EN: 1
; COMPUTE_PGM_RSRC2:TGID_Z_EN: 1
; COMPUTE_PGM_RSRC2:TIDIG_COMP_CNT: 1
	.section	.text._ZL33flash_attn_stream_k_fixup_uniformILi40ELi2ELi1EEvPfPK15HIP_vector_typeIfLj2EEiiiiiiS1_IjLj3EES5_S5_,"axG",@progbits,_ZL33flash_attn_stream_k_fixup_uniformILi40ELi2ELi1EEvPfPK15HIP_vector_typeIfLj2EEiiiiiiS1_IjLj3EES5_S5_,comdat
	.globl	_ZL33flash_attn_stream_k_fixup_uniformILi40ELi2ELi1EEvPfPK15HIP_vector_typeIfLj2EEiiiiiiS1_IjLj3EES5_S5_ ; -- Begin function _ZL33flash_attn_stream_k_fixup_uniformILi40ELi2ELi1EEvPfPK15HIP_vector_typeIfLj2EEiiiiiiS1_IjLj3EES5_S5_
	.p2align	8
	.type	_ZL33flash_attn_stream_k_fixup_uniformILi40ELi2ELi1EEvPfPK15HIP_vector_typeIfLj2EEiiiiiiS1_IjLj3EES5_S5_,@function
_ZL33flash_attn_stream_k_fixup_uniformILi40ELi2ELi1EEvPfPK15HIP_vector_typeIfLj2EEiiiiiiS1_IjLj3EES5_S5_: ; @_ZL33flash_attn_stream_k_fixup_uniformILi40ELi2ELi1EEvPfPK15HIP_vector_typeIfLj2EEiiiiiiS1_IjLj3EES5_S5_
; %bb.0:
	s_clause 0x1
	s_load_b256 s[4:11], s[0:1], 0x1c
	s_load_b128 s[16:19], s[0:1], 0x3c
	s_waitcnt lgkmcnt(0)
	s_mul_hi_u32 s2, s7, s13
	s_delay_alu instid0(SALU_CYCLE_1) | instskip(NEXT) | instid1(SALU_CYCLE_1)
	s_add_i32 s2, s13, s2
	s_lshr_b32 s2, s2, s8
	s_delay_alu instid0(SALU_CYCLE_1) | instskip(SKIP_2) | instid1(SALU_CYCLE_1)
	s_mul_i32 s3, s2, s9
	s_load_b64 s[8:9], s[0:1], 0x10
	s_sub_i32 s3, s13, s3
	s_mul_hi_u32 s7, s3, s10
	s_delay_alu instid0(SALU_CYCLE_1) | instskip(NEXT) | instid1(SALU_CYCLE_1)
	s_add_i32 s7, s3, s7
	s_lshr_b32 s7, s7, s11
	s_delay_alu instid0(SALU_CYCLE_1) | instskip(NEXT) | instid1(SALU_CYCLE_1)
	s_mul_i32 s10, s7, s16
	s_sub_i32 s3, s3, s10
	s_delay_alu instid0(SALU_CYCLE_1) | instskip(NEXT) | instid1(SALU_CYCLE_1)
	s_mul_hi_u32 s10, s3, s17
	s_add_i32 s10, s3, s10
	s_delay_alu instid0(SALU_CYCLE_1) | instskip(NEXT) | instid1(SALU_CYCLE_1)
	s_lshr_b32 s11, s10, s18
	s_mul_i32 s10, s11, s19
	s_delay_alu instid0(SALU_CYCLE_1) | instskip(NEXT) | instid1(SALU_CYCLE_1)
	s_sub_i32 s10, s3, s10
	s_lshl_b32 s3, s10, 1
	s_delay_alu instid0(SALU_CYCLE_1) | instskip(SKIP_4) | instid1(SALU_CYCLE_1)
	s_add_i32 s3, s3, s14
	s_waitcnt lgkmcnt(0)
	s_cmp_lt_i32 s3, s8
	s_cselect_b32 s3, -1, 0
	s_add_i32 s11, s11, s15
	s_cmp_lt_i32 s11, s5
	s_cselect_b32 s12, -1, 0
	s_delay_alu instid0(SALU_CYCLE_1) | instskip(NEXT) | instid1(SALU_CYCLE_1)
	s_and_b32 s3, s3, s12
	s_and_not1_b32 vcc_lo, exec_lo, s3
	s_cbranch_vccnz .LBB69_6
; %bb.1:
	s_mul_i32 s8, s2, s8
	s_mul_i32 s7, s7, s5
	s_add_i32 s8, s8, s14
	s_add_i32 s5, s11, s7
	s_mul_i32 s8, s8, s9
	s_load_b128 s[0:3], s[0:1], 0x0
	s_mul_i32 s7, s9, s10
	s_add_i32 s5, s5, s8
	s_mulk_i32 s7, 0x50
	s_mul_i32 s5, s5, 40
	s_add_i32 s10, s14, s15
	v_add3_u32 v1, s5, s7, v0
	s_mul_i32 s5, s13, s6
	s_delay_alu instid0(SALU_CYCLE_1) | instskip(NEXT) | instid1(VALU_DEP_1)
	s_add_i32 s9, s5, s6
	v_ashrrev_i32_e32 v2, 31, v1
	s_delay_alu instid0(VALU_DEP_1) | instskip(SKIP_1) | instid1(VALU_DEP_1)
	v_lshlrev_b64 v[1:2], 2, v[1:2]
	s_waitcnt lgkmcnt(0)
	v_add_co_u32 v1, vcc_lo, s0, v1
	s_delay_alu instid0(VALU_DEP_2) | instskip(SKIP_1) | instid1(SALU_CYCLE_1)
	v_add_co_ci_u32_e32 v2, vcc_lo, s1, v2, vcc_lo
	s_lshl_b32 s0, s9, 1
	s_add_i32 s0, s10, s0
	global_load_b32 v5, v[1:2], off
	s_add_i32 s0, s0, -2
	s_delay_alu instid0(SALU_CYCLE_1) | instskip(NEXT) | instid1(SALU_CYCLE_1)
	s_ashr_i32 s1, s0, 31
	s_lshl_b64 s[0:1], s[0:1], 3
	s_delay_alu instid0(SALU_CYCLE_1)
	s_add_u32 s0, s2, s0
	s_addc_u32 s1, s3, s1
	s_add_i32 s7, s9, -2
	s_load_b32 s11, s[0:1], 0x4
	s_cmp_lt_i32 s7, s5
	s_cbranch_scc1 .LBB69_4
; %bb.2:
	s_load_b32 s12, s[0:1], 0x0
	s_lshl_b32 s0, s4, 3
	s_waitcnt lgkmcnt(0)
	v_mov_b32_e32 v6, s11
	s_ashr_i32 s1, s0, 31
	s_delay_alu instid0(SALU_CYCLE_1) | instskip(NEXT) | instid1(SALU_CYCLE_1)
	s_lshl_b64 s[0:1], s[0:1], 2
	s_add_u32 s7, s2, s0
	s_addc_u32 s8, s3, s1
	s_add_i32 s13, s13, 1
	s_mul_i32 s1, s10, 40
	s_mul_i32 s0, s6, s13
	s_delay_alu instid0(SALU_CYCLE_1)
	s_lshl_b32 s6, s0, 1
	s_mulk_i32 s0, 0x50
	s_add_i32 s6, s10, s6
	s_add_i32 s1, s1, s0
	s_lshl_b32 s0, s4, 1
	v_add3_u32 v3, s1, v0, 0xffffff60
	s_add_i32 s0, s6, s0
	v_mov_b32_e32 v0, s12
	s_add_i32 s4, s9, -1
	s_add_i32 s0, s0, -4
.LBB69_3:                               ; =>This Inner Loop Header: Depth=1
	s_delay_alu instid0(VALU_DEP_2) | instskip(SKIP_1) | instid1(SALU_CYCLE_1)
	v_ashrrev_i32_e32 v4, 31, v3
	s_ashr_i32 s1, s0, 31
	s_lshl_b64 s[10:11], s[0:1], 3
	s_delay_alu instid0(SALU_CYCLE_1) | instskip(NEXT) | instid1(VALU_DEP_1)
	s_add_u32 s10, s2, s10
	v_lshlrev_b64 v[7:8], 2, v[3:4]
	s_addc_u32 s11, s3, s11
	s_add_i32 s4, s4, -1
	s_add_i32 s0, s0, -2
	s_cmp_le_i32 s4, s5
	s_load_b64 s[10:11], s[10:11], 0x0
	v_add_co_u32 v7, vcc_lo, s7, v7
	v_add_co_ci_u32_e32 v8, vcc_lo, s8, v8, vcc_lo
	global_load_b32 v4, v[7:8], off
	v_max_f32_e32 v7, v0, v0
	s_waitcnt lgkmcnt(0)
	v_max_f32_e64 v8, s10, s10
	s_delay_alu instid0(VALU_DEP_1) | instskip(NEXT) | instid1(VALU_DEP_1)
	v_max_f32_e32 v7, v7, v8
	v_sub_f32_e32 v8, s10, v7
	s_delay_alu instid0(VALU_DEP_1) | instskip(NEXT) | instid1(VALU_DEP_1)
	v_dual_sub_f32 v0, v0, v7 :: v_dual_mul_f32 v9, 0x3fb8aa3b, v8
	v_fma_f32 v10, 0x3fb8aa3b, v8, -v9
	v_rndne_f32_e32 v11, v9
	s_delay_alu instid0(VALU_DEP_3) | instskip(NEXT) | instid1(VALU_DEP_2)
	v_mul_f32_e32 v12, 0x3fb8aa3b, v0
	v_dual_fmac_f32 v10, 0x32a5705f, v8 :: v_dual_sub_f32 v9, v9, v11
	v_cvt_i32_f32_e32 v11, v11
	s_delay_alu instid0(VALU_DEP_3) | instskip(SKIP_1) | instid1(VALU_DEP_4)
	v_fma_f32 v13, 0x3fb8aa3b, v0, -v12
	v_rndne_f32_e32 v14, v12
	v_add_f32_e32 v9, v9, v10
	v_cmp_ngt_f32_e32 vcc_lo, 0xc2ce8ed0, v8
	s_delay_alu instid0(VALU_DEP_3) | instskip(NEXT) | instid1(VALU_DEP_3)
	v_sub_f32_e32 v10, v12, v14
	v_exp_f32_e32 v9, v9
	s_waitcnt_depctr 0xfff
	v_ldexp_f32 v9, v9, v11
	v_cvt_i32_f32_e32 v11, v14
	s_delay_alu instid0(VALU_DEP_2) | instskip(SKIP_1) | instid1(VALU_DEP_2)
	v_cndmask_b32_e32 v9, 0, v9, vcc_lo
	v_cmp_nlt_f32_e32 vcc_lo, 0x42b17218, v8
	v_cndmask_b32_e32 v9, 0x7f800000, v9, vcc_lo
	v_cmp_ngt_f32_e32 vcc_lo, 0xc2ce8ed0, v0
	v_fmac_f32_e32 v13, 0x32a5705f, v0
	s_delay_alu instid0(VALU_DEP_1) | instskip(NEXT) | instid1(VALU_DEP_1)
	v_add_f32_e32 v10, v10, v13
	v_exp_f32_e32 v10, v10
	s_waitcnt_depctr 0xfff
	v_ldexp_f32 v10, v10, v11
	s_delay_alu instid0(VALU_DEP_1)
	v_dual_mov_b32 v11, v6 :: v_dual_cndmask_b32 v10, 0, v10
	v_cmp_le_f32_e32 vcc_lo, 0xc1a00000, v8
	s_waitcnt vmcnt(1)
	v_dual_cndmask_b32 v8, 0, v9 :: v_dual_mov_b32 v9, v5
	v_cmp_nlt_f32_e32 vcc_lo, 0x42b17218, v0
	v_cndmask_b32_e32 v5, 0x7f800000, v10, vcc_lo
	s_delay_alu instid0(VALU_DEP_3) | instskip(SKIP_2) | instid1(VALU_DEP_3)
	v_mul_f32_e32 v10, s11, v8
	v_cmp_le_f32_e32 vcc_lo, 0xc1a00000, v0
	v_mov_b32_e32 v0, v7
	v_mov_b32_e32 v6, v10
	s_waitcnt vmcnt(0)
	v_dual_cndmask_b32 v12, 0, v5 :: v_dual_mul_f32 v5, v4, v8
	s_delay_alu instid0(VALU_DEP_1) | instskip(NEXT) | instid1(VALU_DEP_2)
	v_dual_fmac_f32 v6, v11, v12 :: v_dual_add_nc_u32 v3, 0xffffffb0, v3
	v_fmac_f32_e32 v5, v9, v12
	s_cbranch_scc0 .LBB69_3
	s_branch .LBB69_5
.LBB69_4:
	s_waitcnt lgkmcnt(0)
	v_mov_b32_e32 v6, s11
.LBB69_5:
	s_waitcnt vmcnt(0)
	s_delay_alu instid0(VALU_DEP_1) | instskip(NEXT) | instid1(VALU_DEP_1)
	v_div_scale_f32 v0, null, v6, v6, v5
	v_rcp_f32_e32 v3, v0
	s_waitcnt_depctr 0xfff
	v_fma_f32 v4, -v0, v3, 1.0
	s_delay_alu instid0(VALU_DEP_1) | instskip(SKIP_1) | instid1(VALU_DEP_1)
	v_fmac_f32_e32 v3, v4, v3
	v_div_scale_f32 v4, vcc_lo, v5, v6, v5
	v_mul_f32_e32 v7, v4, v3
	s_delay_alu instid0(VALU_DEP_1) | instskip(NEXT) | instid1(VALU_DEP_1)
	v_fma_f32 v8, -v0, v7, v4
	v_fmac_f32_e32 v7, v8, v3
	s_delay_alu instid0(VALU_DEP_1) | instskip(NEXT) | instid1(VALU_DEP_1)
	v_fma_f32 v0, -v0, v7, v4
	v_div_fmas_f32 v0, v0, v3, v7
	s_delay_alu instid0(VALU_DEP_1)
	v_div_fixup_f32 v0, v0, v6, v5
	global_store_b32 v[1:2], v0, off
.LBB69_6:
	s_nop 0
	s_sendmsg sendmsg(MSG_DEALLOC_VGPRS)
	s_endpgm
	.section	.rodata,"a",@progbits
	.p2align	6, 0x0
	.amdhsa_kernel _ZL33flash_attn_stream_k_fixup_uniformILi40ELi2ELi1EEvPfPK15HIP_vector_typeIfLj2EEiiiiiiS1_IjLj3EES5_S5_
		.amdhsa_group_segment_fixed_size 0
		.amdhsa_private_segment_fixed_size 0
		.amdhsa_kernarg_size 76
		.amdhsa_user_sgpr_count 13
		.amdhsa_user_sgpr_dispatch_ptr 0
		.amdhsa_user_sgpr_queue_ptr 0
		.amdhsa_user_sgpr_kernarg_segment_ptr 1
		.amdhsa_user_sgpr_dispatch_id 0
		.amdhsa_user_sgpr_private_segment_size 0
		.amdhsa_wavefront_size32 1
		.amdhsa_uses_dynamic_stack 0
		.amdhsa_enable_private_segment 0
		.amdhsa_system_sgpr_workgroup_id_x 1
		.amdhsa_system_sgpr_workgroup_id_y 1
		.amdhsa_system_sgpr_workgroup_id_z 1
		.amdhsa_system_sgpr_workgroup_info 0
		.amdhsa_system_vgpr_workitem_id 0
		.amdhsa_next_free_vgpr 15
		.amdhsa_next_free_sgpr 20
		.amdhsa_reserve_vcc 1
		.amdhsa_float_round_mode_32 0
		.amdhsa_float_round_mode_16_64 0
		.amdhsa_float_denorm_mode_32 3
		.amdhsa_float_denorm_mode_16_64 3
		.amdhsa_dx10_clamp 1
		.amdhsa_ieee_mode 1
		.amdhsa_fp16_overflow 0
		.amdhsa_workgroup_processor_mode 1
		.amdhsa_memory_ordered 1
		.amdhsa_forward_progress 0
		.amdhsa_shared_vgpr_count 0
		.amdhsa_exception_fp_ieee_invalid_op 0
		.amdhsa_exception_fp_denorm_src 0
		.amdhsa_exception_fp_ieee_div_zero 0
		.amdhsa_exception_fp_ieee_overflow 0
		.amdhsa_exception_fp_ieee_underflow 0
		.amdhsa_exception_fp_ieee_inexact 0
		.amdhsa_exception_int_div_zero 0
	.end_amdhsa_kernel
	.section	.text._ZL33flash_attn_stream_k_fixup_uniformILi40ELi2ELi1EEvPfPK15HIP_vector_typeIfLj2EEiiiiiiS1_IjLj3EES5_S5_,"axG",@progbits,_ZL33flash_attn_stream_k_fixup_uniformILi40ELi2ELi1EEvPfPK15HIP_vector_typeIfLj2EEiiiiiiS1_IjLj3EES5_S5_,comdat
.Lfunc_end69:
	.size	_ZL33flash_attn_stream_k_fixup_uniformILi40ELi2ELi1EEvPfPK15HIP_vector_typeIfLj2EEiiiiiiS1_IjLj3EES5_S5_, .Lfunc_end69-_ZL33flash_attn_stream_k_fixup_uniformILi40ELi2ELi1EEvPfPK15HIP_vector_typeIfLj2EEiiiiiiS1_IjLj3EES5_S5_
                                        ; -- End function
	.section	.AMDGPU.csdata,"",@progbits
; Kernel info:
; codeLenInByte = 972
; NumSgprs: 22
; NumVgprs: 15
; ScratchSize: 0
; MemoryBound: 0
; FloatMode: 240
; IeeeMode: 1
; LDSByteSize: 0 bytes/workgroup (compile time only)
; SGPRBlocks: 2
; VGPRBlocks: 1
; NumSGPRsForWavesPerEU: 22
; NumVGPRsForWavesPerEU: 15
; Occupancy: 16
; WaveLimiterHint : 0
; COMPUTE_PGM_RSRC2:SCRATCH_EN: 0
; COMPUTE_PGM_RSRC2:USER_SGPR: 13
; COMPUTE_PGM_RSRC2:TRAP_HANDLER: 0
; COMPUTE_PGM_RSRC2:TGID_X_EN: 1
; COMPUTE_PGM_RSRC2:TGID_Y_EN: 1
; COMPUTE_PGM_RSRC2:TGID_Z_EN: 1
; COMPUTE_PGM_RSRC2:TIDIG_COMP_CNT: 0
	.section	.text._ZL33flash_attn_stream_k_fixup_generalILi40ELi2ELi1EEvPfPK15HIP_vector_typeIfLj2EEiiiiS1_IjLj3EES5_S5_S5_,"axG",@progbits,_ZL33flash_attn_stream_k_fixup_generalILi40ELi2ELi1EEvPfPK15HIP_vector_typeIfLj2EEiiiiS1_IjLj3EES5_S5_S5_,comdat
	.globl	_ZL33flash_attn_stream_k_fixup_generalILi40ELi2ELi1EEvPfPK15HIP_vector_typeIfLj2EEiiiiS1_IjLj3EES5_S5_S5_ ; -- Begin function _ZL33flash_attn_stream_k_fixup_generalILi40ELi2ELi1EEvPfPK15HIP_vector_typeIfLj2EEiiiiS1_IjLj3EES5_S5_S5_
	.p2align	8
	.type	_ZL33flash_attn_stream_k_fixup_generalILi40ELi2ELi1EEvPfPK15HIP_vector_typeIfLj2EEiiiiS1_IjLj3EES5_S5_S5_,@function
_ZL33flash_attn_stream_k_fixup_generalILi40ELi2ELi1EEvPfPK15HIP_vector_typeIfLj2EEiiiiS1_IjLj3EES5_S5_S5_: ; @_ZL33flash_attn_stream_k_fixup_generalILi40ELi2ELi1EEvPfPK15HIP_vector_typeIfLj2EEiiiiS1_IjLj3EES5_S5_S5_
; %bb.0:
	s_clause 0x1
	s_load_b128 s[4:7], s[0:1], 0x10
	s_load_b32 s20, s[0:1], 0x50
	s_mov_b32 s2, 0
	s_waitcnt lgkmcnt(0)
	s_mul_hi_i32 s3, s7, s13
	s_mul_i32 s12, s7, s13
	s_cmp_lg_u64 s[2:3], 0
	s_cbranch_scc0 .LBB70_21
; %bb.1:
	v_cvt_f32_ubyte0_e32 v1, 0
	v_cvt_f32_u32_e32 v2, s20
	s_sub_u32 s10, 0, s20
	s_subb_u32 s11, 0, 0
	s_delay_alu instid0(VALU_DEP_1) | instskip(NEXT) | instid1(VALU_DEP_1)
	v_fmamk_f32 v1, v1, 0x4f800000, v2
	v_rcp_f32_e32 v1, v1
	s_waitcnt_depctr 0xfff
	v_mul_f32_e32 v1, 0x5f7ffffc, v1
	s_delay_alu instid0(VALU_DEP_1) | instskip(NEXT) | instid1(VALU_DEP_1)
	v_mul_f32_e32 v2, 0x2f800000, v1
	v_trunc_f32_e32 v2, v2
	s_delay_alu instid0(VALU_DEP_1) | instskip(SKIP_1) | instid1(VALU_DEP_2)
	v_fmamk_f32 v1, v2, 0xcf800000, v1
	v_cvt_u32_f32_e32 v2, v2
	v_cvt_u32_f32_e32 v1, v1
	s_delay_alu instid0(VALU_DEP_2) | instskip(NEXT) | instid1(VALU_DEP_2)
	v_readfirstlane_b32 s8, v2
	v_readfirstlane_b32 s9, v1
	s_delay_alu instid0(VALU_DEP_2) | instskip(NEXT) | instid1(VALU_DEP_1)
	s_mul_i32 s16, s10, s8
	s_mul_hi_u32 s18, s10, s9
	s_mul_i32 s17, s11, s9
	s_add_i32 s16, s18, s16
	s_mul_i32 s19, s10, s9
	s_add_i32 s16, s16, s17
	s_mul_hi_u32 s18, s9, s19
	s_mul_hi_u32 s21, s8, s19
	s_mul_i32 s17, s8, s19
	s_mul_hi_u32 s19, s9, s16
	s_mul_i32 s9, s9, s16
	s_mul_hi_u32 s22, s8, s16
	s_add_u32 s9, s18, s9
	s_addc_u32 s18, 0, s19
	s_add_u32 s9, s9, s17
	s_mul_i32 s16, s8, s16
	s_addc_u32 s9, s18, s21
	s_addc_u32 s17, s22, 0
	s_add_u32 s9, s9, s16
	s_addc_u32 s16, 0, s17
	v_add_co_u32 v1, s9, v1, s9
	s_delay_alu instid0(VALU_DEP_1) | instskip(SKIP_1) | instid1(VALU_DEP_1)
	s_cmp_lg_u32 s9, 0
	s_addc_u32 s8, s8, s16
	v_readfirstlane_b32 s9, v1
	s_mul_i32 s16, s10, s8
	s_delay_alu instid0(VALU_DEP_1)
	s_mul_hi_u32 s17, s10, s9
	s_mul_i32 s11, s11, s9
	s_add_i32 s16, s17, s16
	s_mul_i32 s10, s10, s9
	s_add_i32 s16, s16, s11
	s_mul_hi_u32 s17, s8, s10
	s_mul_i32 s18, s8, s10
	s_mul_hi_u32 s10, s9, s10
	s_mul_hi_u32 s19, s9, s16
	s_mul_i32 s9, s9, s16
	s_mul_hi_u32 s11, s8, s16
	s_add_u32 s9, s10, s9
	s_addc_u32 s10, 0, s19
	s_add_u32 s9, s9, s18
	s_mul_i32 s16, s8, s16
	s_addc_u32 s9, s10, s17
	s_addc_u32 s10, s11, 0
	s_add_u32 s9, s9, s16
	s_addc_u32 s10, 0, s10
	v_add_co_u32 v1, s9, v1, s9
	s_delay_alu instid0(VALU_DEP_1) | instskip(SKIP_2) | instid1(SALU_CYCLE_1)
	s_cmp_lg_u32 s9, 0
	s_addc_u32 s16, s8, s10
	s_ashr_i32 s8, s3, 31
	s_add_u32 s10, s12, s8
	s_addc_u32 s11, s3, s8
	v_readfirstlane_b32 s3, v1
	s_mov_b32 s9, s8
	s_delay_alu instid0(SALU_CYCLE_1) | instskip(NEXT) | instid1(SALU_CYCLE_1)
	s_xor_b64 s[10:11], s[10:11], s[8:9]
	s_mul_i32 s18, s10, s16
	s_delay_alu instid0(VALU_DEP_1)
	s_mul_hi_u32 s19, s10, s3
	s_mul_hi_u32 s17, s10, s16
	;; [unrolled: 1-line block ×3, first 2 shown]
	s_mul_i32 s3, s11, s3
	s_add_u32 s18, s19, s18
	s_addc_u32 s17, 0, s17
	s_mul_hi_u32 s21, s11, s16
	s_add_u32 s3, s18, s3
	s_mul_i32 s16, s11, s16
	s_addc_u32 s3, s17, s22
	s_addc_u32 s17, s21, 0
	s_add_u32 s3, s3, s16
	s_addc_u32 s16, 0, s17
	s_mul_i32 s18, s20, s3
	s_add_u32 s17, s3, 1
	v_sub_co_u32 v1, s10, s10, s18
	s_mul_hi_u32 s18, s20, s3
	s_addc_u32 s19, s16, 0
	s_mul_i32 s21, s20, s16
	s_delay_alu instid0(VALU_DEP_1)
	v_sub_co_u32 v2, s22, v1, s20
	s_add_u32 s23, s3, 2
	s_addc_u32 s24, s16, 0
	s_add_i32 s18, s18, s21
	s_cmp_lg_u32 s10, 0
	v_readfirstlane_b32 s10, v2
	s_subb_u32 s11, s11, s18
	s_cmp_lg_u32 s22, 0
	s_subb_u32 s18, s11, 0
	s_delay_alu instid0(VALU_DEP_1) | instskip(SKIP_4) | instid1(SALU_CYCLE_1)
	s_cmp_ge_u32 s10, s20
	s_cselect_b32 s10, -1, 0
	s_cmp_eq_u32 s18, 0
	v_readfirstlane_b32 s18, v1
	s_cselect_b32 s10, s10, -1
	s_cmp_lg_u32 s10, 0
	s_cselect_b32 s10, s23, s17
	s_cselect_b32 s17, s24, s19
	s_cmp_ge_u32 s18, s20
	s_cselect_b32 s18, -1, 0
	s_cmp_eq_u32 s11, 0
	s_cselect_b32 s11, s18, -1
	s_delay_alu instid0(SALU_CYCLE_1) | instskip(SKIP_2) | instid1(SALU_CYCLE_1)
	s_cmp_lg_u32 s11, 0
	s_cselect_b32 s11, s17, s16
	s_cselect_b32 s10, s10, s3
	s_xor_b64 s[10:11], s[10:11], s[8:9]
	s_delay_alu instid0(SALU_CYCLE_1)
	s_sub_u32 s16, s10, s8
	s_load_b128 s[8:11], s[0:1], 0x44
	s_and_not1_b32 vcc_lo, exec_lo, s2
	s_cbranch_vccnz .LBB70_3
.LBB70_2:
	v_cvt_f32_u32_e32 v1, s20
	s_sub_i32 s3, 0, s20
	s_delay_alu instid0(VALU_DEP_1) | instskip(SKIP_2) | instid1(VALU_DEP_1)
	v_rcp_iflag_f32_e32 v1, v1
	s_waitcnt_depctr 0xfff
	v_mul_f32_e32 v1, 0x4f7ffffe, v1
	v_cvt_u32_f32_e32 v1, v1
	s_delay_alu instid0(VALU_DEP_1) | instskip(NEXT) | instid1(VALU_DEP_1)
	v_readfirstlane_b32 s2, v1
	s_mul_i32 s3, s3, s2
	s_delay_alu instid0(SALU_CYCLE_1) | instskip(NEXT) | instid1(SALU_CYCLE_1)
	s_mul_hi_u32 s3, s2, s3
	s_add_i32 s2, s2, s3
	s_delay_alu instid0(SALU_CYCLE_1) | instskip(NEXT) | instid1(SALU_CYCLE_1)
	s_mul_hi_u32 s2, s12, s2
	s_mul_i32 s3, s2, s20
	s_waitcnt lgkmcnt(0)
	s_add_i32 s11, s2, 1
	s_sub_i32 s3, s12, s3
	s_delay_alu instid0(SALU_CYCLE_1)
	s_sub_i32 s12, s3, s20
	s_cmp_ge_u32 s3, s20
	s_cselect_b32 s2, s11, s2
	s_cselect_b32 s3, s12, s3
	s_add_i32 s11, s2, 1
	s_cmp_ge_u32 s3, s20
	s_cselect_b32 s16, s11, s2
.LBB70_3:
	s_waitcnt lgkmcnt(0)
	s_add_i32 s11, s13, 1
	s_mov_b32 s2, 0
	s_mul_hi_i32 s3, s7, s11
	s_mul_i32 s11, s7, s11
	s_cmp_lg_u64 s[2:3], 0
	s_cbranch_scc0 .LBB70_22
; %bb.4:
	v_cvt_f32_ubyte0_e32 v1, 0
	v_cvt_f32_u32_e32 v2, s20
	s_sub_u32 s18, 0, s20
	s_subb_u32 s19, 0, 0
	s_delay_alu instid0(VALU_DEP_1) | instskip(NEXT) | instid1(VALU_DEP_1)
	v_fmamk_f32 v1, v1, 0x4f800000, v2
	v_rcp_f32_e32 v1, v1
	s_waitcnt_depctr 0xfff
	v_mul_f32_e32 v1, 0x5f7ffffc, v1
	s_delay_alu instid0(VALU_DEP_1) | instskip(NEXT) | instid1(VALU_DEP_1)
	v_mul_f32_e32 v2, 0x2f800000, v1
	v_trunc_f32_e32 v2, v2
	s_delay_alu instid0(VALU_DEP_1) | instskip(SKIP_1) | instid1(VALU_DEP_2)
	v_fmamk_f32 v1, v2, 0xcf800000, v1
	v_cvt_u32_f32_e32 v2, v2
	v_cvt_u32_f32_e32 v1, v1
	s_delay_alu instid0(VALU_DEP_2) | instskip(NEXT) | instid1(VALU_DEP_2)
	v_readfirstlane_b32 s12, v2
	v_readfirstlane_b32 s17, v1
	s_delay_alu instid0(VALU_DEP_2) | instskip(NEXT) | instid1(VALU_DEP_1)
	s_mul_i32 s21, s18, s12
	s_mul_hi_u32 s23, s18, s17
	s_mul_i32 s22, s19, s17
	s_add_i32 s21, s23, s21
	s_mul_i32 s24, s18, s17
	s_add_i32 s21, s21, s22
	s_mul_hi_u32 s23, s17, s24
	s_mul_hi_u32 s25, s12, s24
	s_mul_i32 s22, s12, s24
	s_mul_hi_u32 s24, s17, s21
	s_mul_i32 s17, s17, s21
	s_mul_hi_u32 s26, s12, s21
	s_add_u32 s17, s23, s17
	s_addc_u32 s23, 0, s24
	s_add_u32 s17, s17, s22
	s_mul_i32 s21, s12, s21
	s_addc_u32 s17, s23, s25
	s_addc_u32 s22, s26, 0
	s_add_u32 s17, s17, s21
	s_addc_u32 s21, 0, s22
	v_add_co_u32 v1, s17, v1, s17
	s_delay_alu instid0(VALU_DEP_1) | instskip(SKIP_1) | instid1(VALU_DEP_1)
	s_cmp_lg_u32 s17, 0
	s_addc_u32 s12, s12, s21
	v_readfirstlane_b32 s17, v1
	s_mul_i32 s21, s18, s12
	s_delay_alu instid0(VALU_DEP_1)
	s_mul_hi_u32 s22, s18, s17
	s_mul_i32 s19, s19, s17
	s_add_i32 s21, s22, s21
	s_mul_i32 s18, s18, s17
	s_add_i32 s21, s21, s19
	s_mul_hi_u32 s22, s12, s18
	s_mul_i32 s23, s12, s18
	s_mul_hi_u32 s18, s17, s18
	s_mul_hi_u32 s24, s17, s21
	s_mul_i32 s17, s17, s21
	s_mul_hi_u32 s19, s12, s21
	s_add_u32 s17, s18, s17
	s_addc_u32 s18, 0, s24
	s_add_u32 s17, s17, s23
	s_mul_i32 s21, s12, s21
	s_addc_u32 s17, s18, s22
	s_addc_u32 s18, s19, 0
	s_add_u32 s17, s17, s21
	s_addc_u32 s18, 0, s18
	v_add_co_u32 v1, s17, v1, s17
	s_delay_alu instid0(VALU_DEP_1) | instskip(SKIP_2) | instid1(SALU_CYCLE_1)
	s_cmp_lg_u32 s17, 0
	s_addc_u32 s12, s12, s18
	s_ashr_i32 s18, s3, 31
	s_add_u32 s22, s11, s18
	s_addc_u32 s23, s3, s18
	v_readfirstlane_b32 s3, v1
	s_mov_b32 s19, s18
	s_delay_alu instid0(SALU_CYCLE_1) | instskip(NEXT) | instid1(SALU_CYCLE_1)
	s_xor_b64 s[22:23], s[22:23], s[18:19]
	s_mul_i32 s21, s22, s12
	s_delay_alu instid0(VALU_DEP_1)
	s_mul_hi_u32 s24, s22, s3
	s_mul_hi_u32 s17, s22, s12
	;; [unrolled: 1-line block ×3, first 2 shown]
	s_mul_i32 s3, s23, s3
	s_add_u32 s21, s24, s21
	s_addc_u32 s17, 0, s17
	s_mul_hi_u32 s25, s23, s12
	s_add_u32 s3, s21, s3
	s_mul_i32 s12, s23, s12
	s_addc_u32 s3, s17, s26
	s_addc_u32 s17, s25, 0
	s_add_u32 s3, s3, s12
	s_addc_u32 s12, 0, s17
	s_mul_i32 s21, s20, s3
	s_add_u32 s17, s3, 1
	v_sub_co_u32 v1, s21, s22, s21
	s_mul_hi_u32 s22, s20, s3
	s_addc_u32 s24, s12, 0
	s_mul_i32 s25, s20, s12
	s_delay_alu instid0(VALU_DEP_1)
	v_sub_co_u32 v2, s26, v1, s20
	s_add_u32 s27, s3, 2
	s_addc_u32 s28, s12, 0
	s_add_i32 s22, s22, s25
	s_cmp_lg_u32 s21, 0
	v_readfirstlane_b32 s21, v2
	s_subb_u32 s22, s23, s22
	s_cmp_lg_u32 s26, 0
	s_subb_u32 s23, s22, 0
	s_delay_alu instid0(VALU_DEP_1) | instskip(SKIP_4) | instid1(SALU_CYCLE_1)
	s_cmp_ge_u32 s21, s20
	s_cselect_b32 s21, -1, 0
	s_cmp_eq_u32 s23, 0
	v_readfirstlane_b32 s23, v1
	s_cselect_b32 s21, s21, -1
	s_cmp_lg_u32 s21, 0
	s_cselect_b32 s17, s27, s17
	s_cselect_b32 s21, s28, s24
	s_cmp_ge_u32 s23, s20
	s_cselect_b32 s23, -1, 0
	s_cmp_eq_u32 s22, 0
	s_cselect_b32 s22, s23, -1
	s_delay_alu instid0(SALU_CYCLE_1) | instskip(SKIP_2) | instid1(SALU_CYCLE_1)
	s_cmp_lg_u32 s22, 0
	s_cselect_b32 s23, s21, s12
	s_cselect_b32 s22, s17, s3
	s_xor_b64 s[22:23], s[22:23], s[18:19]
	s_delay_alu instid0(SALU_CYCLE_1)
	s_sub_u32 s18, s22, s18
	s_and_not1_b32 vcc_lo, exec_lo, s2
	s_cbranch_vccnz .LBB70_6
.LBB70_5:
	v_cvt_f32_u32_e32 v1, s20
	s_sub_i32 s3, 0, s20
	s_delay_alu instid0(VALU_DEP_1) | instskip(SKIP_2) | instid1(VALU_DEP_1)
	v_rcp_iflag_f32_e32 v1, v1
	s_waitcnt_depctr 0xfff
	v_mul_f32_e32 v1, 0x4f7ffffe, v1
	v_cvt_u32_f32_e32 v1, v1
	s_delay_alu instid0(VALU_DEP_1) | instskip(NEXT) | instid1(VALU_DEP_1)
	v_readfirstlane_b32 s2, v1
	s_mul_i32 s3, s3, s2
	s_delay_alu instid0(SALU_CYCLE_1) | instskip(NEXT) | instid1(SALU_CYCLE_1)
	s_mul_hi_u32 s3, s2, s3
	s_add_i32 s2, s2, s3
	s_delay_alu instid0(SALU_CYCLE_1) | instskip(NEXT) | instid1(SALU_CYCLE_1)
	s_mul_hi_u32 s2, s11, s2
	s_mul_i32 s3, s2, s20
	s_delay_alu instid0(SALU_CYCLE_1)
	s_sub_i32 s3, s11, s3
	s_add_i32 s11, s2, 1
	s_sub_i32 s12, s3, s20
	s_cmp_ge_u32 s3, s20
	s_cselect_b32 s2, s11, s2
	s_cselect_b32 s3, s12, s3
	s_add_i32 s11, s2, 1
	s_cmp_ge_u32 s3, s20
	s_cselect_b32 s18, s11, s2
.LBB70_6:
	s_delay_alu instid0(SALU_CYCLE_1) | instskip(SKIP_3) | instid1(SALU_CYCLE_1)
	s_cmp_eq_u32 s16, s18
	s_mul_hi_u32 s2, s16, s8
	s_cselect_b32 s3, -1, 0
	s_add_i32 s2, s2, s16
	s_lshr_b32 s11, s2, s9
	s_delay_alu instid0(SALU_CYCLE_1) | instskip(NEXT) | instid1(SALU_CYCLE_1)
	s_mul_i32 s2, s11, s10
	s_cmp_eq_u32 s2, s16
	s_mul_hi_u32 s2, s18, s8
	s_cselect_b32 s12, -1, 0
	s_add_i32 s2, s2, s18
	s_delay_alu instid0(SALU_CYCLE_1) | instskip(NEXT) | instid1(SALU_CYCLE_1)
	s_lshr_b32 s2, s2, s9
	s_cmp_eq_u32 s11, s2
	s_mul_i32 s2, s2, s10
	s_cselect_b32 s17, -1, 0
	s_cmp_lg_u32 s2, s18
	s_cselect_b32 s2, -1, 0
	s_or_b32 s3, s3, s12
	s_and_b32 s2, s17, s2
	s_delay_alu instid0(SALU_CYCLE_1) | instskip(NEXT) | instid1(SALU_CYCLE_1)
	s_or_b32 s2, s3, s2
	s_and_b32 vcc_lo, exec_lo, s2
	s_cbranch_vccnz .LBB70_24
; %bb.7:
	s_load_b256 s[24:31], s[0:1], 0x20
	s_waitcnt lgkmcnt(0)
	s_mul_hi_u32 s2, s16, s24
	s_delay_alu instid0(SALU_CYCLE_1) | instskip(NEXT) | instid1(SALU_CYCLE_1)
	s_add_i32 s2, s2, s16
	s_lshr_b32 s17, s2, s25
	s_load_b32 s2, s[0:1], 0x40
	s_mul_i32 s3, s17, s26
	s_delay_alu instid0(SALU_CYCLE_1) | instskip(NEXT) | instid1(SALU_CYCLE_1)
	s_sub_i32 s3, s16, s3
	s_mul_hi_u32 s12, s3, s27
	s_delay_alu instid0(SALU_CYCLE_1) | instskip(NEXT) | instid1(SALU_CYCLE_1)
	s_add_i32 s12, s3, s12
	s_lshr_b32 s19, s12, s28
	s_delay_alu instid0(SALU_CYCLE_1) | instskip(NEXT) | instid1(SALU_CYCLE_1)
	s_mul_i32 s12, s19, s29
	s_sub_i32 s3, s3, s12
	s_delay_alu instid0(SALU_CYCLE_1) | instskip(NEXT) | instid1(SALU_CYCLE_1)
	s_mul_hi_u32 s12, s3, s30
	s_add_i32 s12, s3, s12
	s_delay_alu instid0(SALU_CYCLE_1) | instskip(SKIP_3) | instid1(SALU_CYCLE_1)
	s_lshr_b32 s21, s12, s31
	s_mov_b32 s12, 0
	s_waitcnt lgkmcnt(0)
	s_mul_i32 s2, s21, s2
	s_sub_i32 s2, s3, s2
	s_delay_alu instid0(SALU_CYCLE_1) | instskip(NEXT) | instid1(SALU_CYCLE_1)
	s_mul_hi_u32 s3, s2, s8
	s_add_i32 s2, s2, s3
	s_delay_alu instid0(SALU_CYCLE_1) | instskip(NEXT) | instid1(SALU_CYCLE_1)
	s_lshr_b32 s18, s2, s9
	s_lshl_b32 s2, s18, 1
	s_delay_alu instid0(SALU_CYCLE_1) | instskip(NEXT) | instid1(SALU_CYCLE_1)
	s_add_i32 s2, s2, s14
	s_cmp_lt_i32 s2, s4
	s_cselect_b32 s2, -1, 0
	s_add_i32 s21, s21, s15
	s_delay_alu instid0(SALU_CYCLE_1) | instskip(SKIP_1) | instid1(SALU_CYCLE_1)
	s_cmp_lt_i32 s21, s6
	s_cselect_b32 s3, -1, 0
	s_and_b32 s2, s2, s3
	s_delay_alu instid0(SALU_CYCLE_1)
	s_and_not1_b32 vcc_lo, exec_lo, s2
	s_cbranch_vccnz .LBB70_24
; %bb.8:
	s_load_b128 s[0:3], s[0:1], 0x0
	s_lshl_b32 s22, s20, 3
	s_mov_b32 s23, s12
	s_add_i32 s15, s14, s15
	s_lshl_b64 s[22:23], s[22:23], 2
	s_mul_i32 s4, s17, s4
	s_mul_i32 s19, s19, s6
	v_cvt_f32_ubyte0_e32 v3, 0
	v_cvt_f32_u32_e32 v4, s20
	s_waitcnt lgkmcnt(0)
	s_add_u32 s6, s2, s22
	s_addc_u32 s17, s3, s23
	s_add_i32 s4, s4, s14
	s_add_i32 s14, s21, s19
	s_mul_i32 s4, s4, s5
	s_mul_i32 s5, s5, s18
	s_add_i32 s4, s14, s4
	s_mulk_i32 s5, 0x50
	s_mul_i32 s4, s4, 40
	s_delay_alu instid0(SALU_CYCLE_1) | instskip(NEXT) | instid1(VALU_DEP_1)
	v_add3_u32 v1, s5, s4, v0
	v_ashrrev_i32_e32 v2, 31, v1
	s_delay_alu instid0(VALU_DEP_1) | instskip(NEXT) | instid1(VALU_DEP_1)
	v_lshlrev_b64 v[1:2], 2, v[1:2]
	v_add_co_u32 v1, vcc_lo, s0, v1
	s_delay_alu instid0(VALU_DEP_2) | instskip(SKIP_1) | instid1(SALU_CYCLE_1)
	v_add_co_ci_u32_e32 v2, vcc_lo, s1, v2, vcc_lo
	s_lshl_b32 s0, s13, 1
	s_add_i32 s0, s0, s15
	global_load_b32 v5, v[1:2], off
	s_ashr_i32 s1, s0, 31
	s_delay_alu instid0(SALU_CYCLE_1) | instskip(NEXT) | instid1(SALU_CYCLE_1)
	s_lshl_b64 s[0:1], s[0:1], 3
	s_add_u32 s0, s2, s0
	s_addc_u32 s1, s3, s1
	s_add_i32 s18, s13, -1
	s_load_b64 s[0:1], s[0:1], 0x0
	v_fmac_f32_e32 v4, 0x4f800000, v3
	s_sub_i32 s14, 0, s20
	s_delay_alu instid0(VALU_DEP_1)
	v_rcp_f32_e32 v3, v4
	s_waitcnt_depctr 0xfff
	v_mul_f32_e32 v6, 0x5f7ffffc, v3
	v_cvt_f32_u32_e32 v3, s20
	s_waitcnt lgkmcnt(0)
	v_mov_b32_e32 v8, s0
	s_delay_alu instid0(VALU_DEP_3) | instskip(NEXT) | instid1(VALU_DEP_3)
	v_mul_f32_e32 v4, 0x2f800000, v6
	v_rcp_iflag_f32_e32 v7, v3
	s_delay_alu instid0(VALU_DEP_1) | instskip(SKIP_1) | instid1(VALU_DEP_2)
	v_trunc_f32_e32 v9, v4
	v_mad_u64_u32 v[3:4], null, s15, 40, v[0:1]
	v_fmac_f32_e32 v6, 0xcf800000, v9
	s_waitcnt_depctr 0xfff
	v_dual_mul_f32 v10, 0x4f7ffffe, v7 :: v_dual_mov_b32 v7, s1
	v_cvt_u32_f32_e32 v4, v9
	v_cvt_u32_f32_e32 v0, v6
	s_delay_alu instid0(VALU_DEP_3)
	v_cvt_u32_f32_e32 v6, v10
.LBB70_9:                               ; =>This Inner Loop Header: Depth=1
	s_mul_hi_i32 s13, s18, s7
	s_mul_i32 s4, s18, s7
	s_cmp_lg_u64 s[12:13], 0
	s_mov_b32 s5, -1
                                        ; implicit-def: $sgpr0_sgpr1
	s_cbranch_scc0 .LBB70_11
; %bb.10:                               ;   in Loop: Header=BB70_9 Depth=1
	v_readfirstlane_b32 s0, v0
	v_readfirstlane_b32 s1, v4
	s_sub_u32 s5, 0, s20
	s_subb_u32 s19, 0, 0
	s_delay_alu instid0(VALU_DEP_2) | instskip(NEXT) | instid1(VALU_DEP_1)
	s_mul_hi_u32 s21, s5, s0
	s_mul_i32 s22, s5, s1
	s_mul_i32 s23, s19, s0
	s_add_i32 s21, s21, s22
	s_mul_i32 s22, s5, s0
	s_add_i32 s21, s21, s23
	s_mul_hi_u32 s23, s0, s22
	s_mul_i32 s24, s0, s21
	s_mul_hi_u32 s0, s0, s21
	s_add_u32 s23, s23, s24
	s_mul_i32 s25, s1, s22
	s_addc_u32 s0, 0, s0
	s_mul_hi_u32 s22, s1, s22
	s_mul_hi_u32 s24, s1, s21
	s_add_u32 s23, s23, s25
	s_addc_u32 s0, s0, s22
	s_mul_i32 s21, s1, s21
	s_addc_u32 s22, s24, 0
	s_add_u32 s0, s0, s21
	s_addc_u32 s21, 0, s22
	v_add_co_u32 v9, s0, v0, s0
	s_delay_alu instid0(VALU_DEP_1) | instskip(SKIP_1) | instid1(VALU_DEP_1)
	s_cmp_lg_u32 s0, 0
	s_addc_u32 s1, s1, s21
	v_readfirstlane_b32 s0, v9
	s_mul_i32 s21, s5, s1
	s_delay_alu instid0(VALU_DEP_1)
	s_mul_hi_u32 s22, s5, s0
	s_mul_i32 s19, s19, s0
	s_add_i32 s21, s22, s21
	s_mul_i32 s5, s5, s0
	s_add_i32 s21, s21, s19
	s_mul_hi_u32 s19, s1, s5
	s_mul_i32 s23, s1, s5
	s_mul_i32 s24, s0, s21
	s_mul_hi_u32 s5, s0, s5
	s_mul_hi_u32 s0, s0, s21
	s_add_u32 s5, s5, s24
	s_addc_u32 s0, 0, s0
	s_mul_hi_u32 s22, s1, s21
	s_add_u32 s5, s5, s23
	s_addc_u32 s0, s0, s19
	s_mul_i32 s5, s1, s21
	s_addc_u32 s19, s22, 0
	s_add_u32 s0, s0, s5
	s_addc_u32 s5, 0, s19
	v_add_co_u32 v9, s0, v9, s0
	s_delay_alu instid0(VALU_DEP_1) | instskip(SKIP_2) | instid1(SALU_CYCLE_1)
	s_cmp_lg_u32 s0, 0
	s_addc_u32 s5, s1, s5
	s_ashr_i32 s0, s13, 31
	s_add_u32 s22, s4, s0
	s_addc_u32 s23, s13, s0
	v_readfirstlane_b32 s13, v9
	s_mov_b32 s1, s0
	s_delay_alu instid0(SALU_CYCLE_1) | instskip(NEXT) | instid1(SALU_CYCLE_1)
	s_xor_b64 s[22:23], s[22:23], s[0:1]
	s_mul_i32 s19, s22, s5
	s_delay_alu instid0(VALU_DEP_1)
	s_mul_hi_u32 s21, s22, s13
	s_mul_hi_u32 s24, s22, s5
	s_add_u32 s19, s21, s19
	s_mul_i32 s25, s23, s13
	s_addc_u32 s21, 0, s24
	s_mul_hi_u32 s13, s23, s13
	s_mul_hi_u32 s24, s23, s5
	s_add_u32 s19, s19, s25
	s_addc_u32 s13, s21, s13
	s_mul_i32 s5, s23, s5
	s_addc_u32 s19, s24, 0
	s_add_u32 s5, s13, s5
	s_addc_u32 s13, 0, s19
	s_mul_i32 s21, s20, s5
	s_add_u32 s19, s5, 1
	v_sub_co_u32 v9, s21, s22, s21
	s_addc_u32 s22, s13, 0
	s_mul_i32 s25, s20, s13
	s_mul_hi_u32 s27, s20, s5
	s_delay_alu instid0(VALU_DEP_1)
	v_sub_co_u32 v10, s26, v9, s20
	s_add_u32 s24, s5, 2
	s_addc_u32 s28, s13, 0
	s_add_i32 s27, s27, s25
	s_cmp_lg_u32 s21, 0
	v_readfirstlane_b32 s21, v10
	s_subb_u32 s23, s23, s27
	s_cmp_lg_u32 s26, 0
	s_subb_u32 s25, s23, 0
	s_delay_alu instid0(VALU_DEP_1) | instskip(SKIP_4) | instid1(SALU_CYCLE_1)
	s_cmp_ge_u32 s21, s20
	s_cselect_b32 s21, -1, 0
	s_cmp_eq_u32 s25, 0
	v_readfirstlane_b32 s25, v9
	s_cselect_b32 s21, s21, -1
	s_cmp_lg_u32 s21, 0
	s_cselect_b32 s19, s24, s19
	s_cselect_b32 s21, s28, s22
	s_cmp_ge_u32 s25, s20
	s_cselect_b32 s22, -1, 0
	s_cmp_eq_u32 s23, 0
	s_cselect_b32 s22, s22, -1
	s_delay_alu instid0(SALU_CYCLE_1) | instskip(SKIP_4) | instid1(SALU_CYCLE_1)
	s_cmp_lg_u32 s22, 0
	s_cselect_b32 s23, s21, s13
	s_cselect_b32 s22, s19, s5
	s_mov_b32 s5, 0
	s_xor_b64 s[22:23], s[22:23], s[0:1]
	s_sub_u32 s0, s22, s0
.LBB70_11:                              ;   in Loop: Header=BB70_9 Depth=1
	s_and_not1_b32 vcc_lo, exec_lo, s5
	s_cbranch_vccnz .LBB70_13
; %bb.12:                               ;   in Loop: Header=BB70_9 Depth=1
	v_readfirstlane_b32 s0, v6
	s_delay_alu instid0(VALU_DEP_1) | instskip(NEXT) | instid1(SALU_CYCLE_1)
	s_mul_i32 s1, s14, s0
	s_mul_hi_u32 s1, s0, s1
	s_delay_alu instid0(SALU_CYCLE_1) | instskip(NEXT) | instid1(SALU_CYCLE_1)
	s_add_i32 s0, s0, s1
	s_mul_hi_u32 s0, s4, s0
	s_delay_alu instid0(SALU_CYCLE_1) | instskip(NEXT) | instid1(SALU_CYCLE_1)
	s_mul_i32 s1, s0, s20
	s_sub_i32 s1, s4, s1
	s_add_i32 s4, s0, 1
	s_sub_i32 s5, s1, s20
	s_cmp_ge_u32 s1, s20
	s_cselect_b32 s0, s4, s0
	s_cselect_b32 s1, s5, s1
	s_add_i32 s4, s0, 1
	s_cmp_ge_u32 s1, s20
	s_cselect_b32 s0, s4, s0
.LBB70_13:                              ;   in Loop: Header=BB70_9 Depth=1
	s_delay_alu instid0(SALU_CYCLE_1)
	s_cmp_lg_u32 s16, s0
	s_cbranch_scc0 .LBB70_17
; %bb.14:                               ;   in Loop: Header=BB70_9 Depth=1
	s_add_i32 s1, s18, s20
	s_mov_b32 s5, s12
	s_lshl_b32 s1, s1, 1
	s_mov_b32 s19, s16
	s_add_i32 s4, s1, s15
	s_mul_hi_u32 s1, s0, s8
	s_lshl_b64 s[4:5], s[4:5], 3
	s_delay_alu instid0(SALU_CYCLE_1) | instskip(SKIP_2) | instid1(SALU_CYCLE_1)
	s_add_u32 s4, s2, s4
	s_addc_u32 s5, s3, s5
	s_add_i32 s1, s1, s0
	s_lshr_b32 s1, s1, s9
	s_delay_alu instid0(SALU_CYCLE_1) | instskip(NEXT) | instid1(SALU_CYCLE_1)
	s_mul_i32 s13, s1, s10
	s_cmp_eq_u32 s13, s0
	s_cselect_b32 s13, -1, 0
	s_cmp_lt_u32 s1, s11
	s_cselect_b32 s1, -1, 0
	s_delay_alu instid0(SALU_CYCLE_1)
	s_or_b32 s1, s1, s13
	s_mov_b32 s13, -1
	s_and_b32 vcc_lo, exec_lo, s1
	s_mov_b32 s1, s18
	s_cbranch_vccnz .LBB70_16
; %bb.15:                               ;   in Loop: Header=BB70_9 Depth=1
	s_add_i32 s1, s18, -1
	s_mov_b32 s13, 0
	s_mov_b32 s19, s0
.LBB70_16:                              ;   in Loop: Header=BB70_9 Depth=1
	v_mad_u64_u32 v[9:10], null, 0x50, s18, v[3:4]
	s_load_b64 s[4:5], s[4:5], 0x0
	s_delay_alu instid0(VALU_DEP_1) | instskip(NEXT) | instid1(VALU_DEP_1)
	v_ashrrev_i32_e32 v10, 31, v9
	v_lshlrev_b64 v[9:10], 2, v[9:10]
	s_delay_alu instid0(VALU_DEP_1) | instskip(NEXT) | instid1(VALU_DEP_2)
	v_add_co_u32 v9, vcc_lo, s6, v9
	v_add_co_ci_u32_e32 v10, vcc_lo, s17, v10, vcc_lo
	s_waitcnt lgkmcnt(0)
	v_max_f32_e64 v11, s4, s4
	global_load_b32 v10, v[9:10], off
	v_max_f32_e32 v9, v8, v8
	s_delay_alu instid0(VALU_DEP_1) | instskip(NEXT) | instid1(VALU_DEP_1)
	v_max_f32_e32 v9, v9, v11
	v_sub_f32_e32 v12, v8, v9
	s_delay_alu instid0(VALU_DEP_1) | instskip(NEXT) | instid1(VALU_DEP_1)
	v_dual_mul_f32 v14, 0x3fb8aa3b, v12 :: v_dual_sub_f32 v11, s4, v9
	v_rndne_f32_e32 v18, v14
	s_delay_alu instid0(VALU_DEP_2) | instskip(SKIP_2) | instid1(VALU_DEP_4)
	v_mul_f32_e32 v13, 0x3fb8aa3b, v11
	v_fma_f32 v17, 0x3fb8aa3b, v12, -v14
	v_cmp_ngt_f32_e32 vcc_lo, 0xc2ce8ed0, v11
	v_sub_f32_e32 v14, v14, v18
	s_delay_alu instid0(VALU_DEP_4) | instskip(SKIP_2) | instid1(VALU_DEP_3)
	v_fma_f32 v15, 0x3fb8aa3b, v11, -v13
	v_rndne_f32_e32 v16, v13
	v_fmac_f32_e32 v17, 0x32a5705f, v12
	v_fmac_f32_e32 v15, 0x32a5705f, v11
	s_delay_alu instid0(VALU_DEP_2) | instskip(NEXT) | instid1(VALU_DEP_1)
	v_dual_sub_f32 v13, v13, v16 :: v_dual_add_f32 v14, v14, v17
	v_add_f32_e32 v13, v13, v15
	s_delay_alu instid0(VALU_DEP_2) | instskip(SKIP_2) | instid1(VALU_DEP_3)
	v_exp_f32_e32 v14, v14
	v_cvt_i32_f32_e32 v15, v16
	v_cvt_i32_f32_e32 v16, v18
	v_exp_f32_e32 v13, v13
	s_waitcnt_depctr 0xfff
	v_ldexp_f32 v14, v14, v16
	v_ldexp_f32 v13, v13, v15
	s_delay_alu instid0(VALU_DEP_1) | instskip(SKIP_1) | instid1(VALU_DEP_4)
	v_cndmask_b32_e32 v13, 0, v13, vcc_lo
	v_cmp_ngt_f32_e32 vcc_lo, 0xc2ce8ed0, v12
	v_cndmask_b32_e32 v14, 0, v14, vcc_lo
	v_cmp_nlt_f32_e32 vcc_lo, 0x42b17218, v11
	s_delay_alu instid0(VALU_DEP_4) | instskip(SKIP_1) | instid1(VALU_DEP_4)
	v_cndmask_b32_e32 v13, 0x7f800000, v13, vcc_lo
	v_cmp_nlt_f32_e32 vcc_lo, 0x42b17218, v12
	v_cndmask_b32_e32 v14, 0x7f800000, v14, vcc_lo
	v_cmp_le_f32_e32 vcc_lo, 0xc1a00000, v11
	s_delay_alu instid0(VALU_DEP_4) | instskip(SKIP_1) | instid1(VALU_DEP_4)
	v_cndmask_b32_e32 v11, 0, v13, vcc_lo
	v_cmp_le_f32_e32 vcc_lo, 0xc1a00000, v12
	v_cndmask_b32_e32 v12, 0, v14, vcc_lo
	s_waitcnt vmcnt(0)
	s_delay_alu instid0(VALU_DEP_3) | instskip(NEXT) | instid1(VALU_DEP_1)
	v_mul_f32_e32 v10, v10, v11
	v_dual_mul_f32 v11, s5, v11 :: v_dual_fmac_f32 v10, v5, v12
	s_delay_alu instid0(VALU_DEP_1)
	v_fmac_f32_e32 v11, v7, v12
	s_cbranch_execz .LBB70_18
	s_branch .LBB70_19
.LBB70_17:                              ;   in Loop: Header=BB70_9 Depth=1
                                        ; implicit-def: $sgpr13
                                        ; implicit-def: $vgpr10
                                        ; implicit-def: $vgpr9
                                        ; implicit-def: $vgpr11
                                        ; implicit-def: $sgpr1
                                        ; implicit-def: $sgpr19
.LBB70_18:                              ;   in Loop: Header=BB70_9 Depth=1
	s_waitcnt vmcnt(0)
	v_dual_mov_b32 v11, v7 :: v_dual_mov_b32 v10, v5
	v_mov_b32_e32 v9, v8
	s_add_i32 s1, s18, -1
	s_mov_b32 s13, 0
	s_mov_b32 s19, s16
.LBB70_19:                              ;   in Loop: Header=BB70_9 Depth=1
	s_and_not1_b32 vcc_lo, exec_lo, s13
	s_cbranch_vccz .LBB70_23
; %bb.20:                               ;   in Loop: Header=BB70_9 Depth=1
	v_dual_mov_b32 v7, v11 :: v_dual_mov_b32 v8, v9
	s_waitcnt vmcnt(0)
	v_mov_b32_e32 v5, v10
	s_mov_b32 s16, s19
	s_mov_b32 s18, s1
	s_branch .LBB70_9
.LBB70_21:
                                        ; implicit-def: $sgpr16_sgpr17
	s_load_b128 s[8:11], s[0:1], 0x44
	s_branch .LBB70_2
.LBB70_22:
                                        ; implicit-def: $sgpr18_sgpr19
	s_branch .LBB70_5
.LBB70_23:
	v_div_scale_f32 v0, null, v11, v11, v10
	s_delay_alu instid0(VALU_DEP_1) | instskip(SKIP_2) | instid1(VALU_DEP_1)
	v_rcp_f32_e32 v3, v0
	s_waitcnt_depctr 0xfff
	v_fma_f32 v4, -v0, v3, 1.0
	v_fmac_f32_e32 v3, v4, v3
	v_div_scale_f32 v4, vcc_lo, v10, v11, v10
	s_waitcnt vmcnt(0)
	s_delay_alu instid0(VALU_DEP_1) | instskip(NEXT) | instid1(VALU_DEP_1)
	v_mul_f32_e32 v5, v4, v3
	v_fma_f32 v6, -v0, v5, v4
	s_delay_alu instid0(VALU_DEP_1) | instskip(NEXT) | instid1(VALU_DEP_1)
	v_fmac_f32_e32 v5, v6, v3
	v_fma_f32 v0, -v0, v5, v4
	s_delay_alu instid0(VALU_DEP_1) | instskip(NEXT) | instid1(VALU_DEP_1)
	v_div_fmas_f32 v0, v0, v3, v5
	v_div_fixup_f32 v0, v0, v11, v10
	global_store_b32 v[1:2], v0, off
.LBB70_24:
	s_nop 0
	s_sendmsg sendmsg(MSG_DEALLOC_VGPRS)
	s_endpgm
	.section	.rodata,"a",@progbits
	.p2align	6, 0x0
	.amdhsa_kernel _ZL33flash_attn_stream_k_fixup_generalILi40ELi2ELi1EEvPfPK15HIP_vector_typeIfLj2EEiiiiS1_IjLj3EES5_S5_S5_
		.amdhsa_group_segment_fixed_size 0
		.amdhsa_private_segment_fixed_size 0
		.amdhsa_kernarg_size 336
		.amdhsa_user_sgpr_count 13
		.amdhsa_user_sgpr_dispatch_ptr 0
		.amdhsa_user_sgpr_queue_ptr 0
		.amdhsa_user_sgpr_kernarg_segment_ptr 1
		.amdhsa_user_sgpr_dispatch_id 0
		.amdhsa_user_sgpr_private_segment_size 0
		.amdhsa_wavefront_size32 1
		.amdhsa_uses_dynamic_stack 0
		.amdhsa_enable_private_segment 0
		.amdhsa_system_sgpr_workgroup_id_x 1
		.amdhsa_system_sgpr_workgroup_id_y 1
		.amdhsa_system_sgpr_workgroup_id_z 1
		.amdhsa_system_sgpr_workgroup_info 0
		.amdhsa_system_vgpr_workitem_id 0
		.amdhsa_next_free_vgpr 19
		.amdhsa_next_free_sgpr 32
		.amdhsa_reserve_vcc 1
		.amdhsa_float_round_mode_32 0
		.amdhsa_float_round_mode_16_64 0
		.amdhsa_float_denorm_mode_32 3
		.amdhsa_float_denorm_mode_16_64 3
		.amdhsa_dx10_clamp 1
		.amdhsa_ieee_mode 1
		.amdhsa_fp16_overflow 0
		.amdhsa_workgroup_processor_mode 1
		.amdhsa_memory_ordered 1
		.amdhsa_forward_progress 0
		.amdhsa_shared_vgpr_count 0
		.amdhsa_exception_fp_ieee_invalid_op 0
		.amdhsa_exception_fp_denorm_src 0
		.amdhsa_exception_fp_ieee_div_zero 0
		.amdhsa_exception_fp_ieee_overflow 0
		.amdhsa_exception_fp_ieee_underflow 0
		.amdhsa_exception_fp_ieee_inexact 0
		.amdhsa_exception_int_div_zero 0
	.end_amdhsa_kernel
	.section	.text._ZL33flash_attn_stream_k_fixup_generalILi40ELi2ELi1EEvPfPK15HIP_vector_typeIfLj2EEiiiiS1_IjLj3EES5_S5_S5_,"axG",@progbits,_ZL33flash_attn_stream_k_fixup_generalILi40ELi2ELi1EEvPfPK15HIP_vector_typeIfLj2EEiiiiS1_IjLj3EES5_S5_S5_,comdat
.Lfunc_end70:
	.size	_ZL33flash_attn_stream_k_fixup_generalILi40ELi2ELi1EEvPfPK15HIP_vector_typeIfLj2EEiiiiS1_IjLj3EES5_S5_S5_, .Lfunc_end70-_ZL33flash_attn_stream_k_fixup_generalILi40ELi2ELi1EEvPfPK15HIP_vector_typeIfLj2EEiiiiS1_IjLj3EES5_S5_S5_
                                        ; -- End function
	.section	.AMDGPU.csdata,"",@progbits
; Kernel info:
; codeLenInByte = 3216
; NumSgprs: 34
; NumVgprs: 19
; ScratchSize: 0
; MemoryBound: 0
; FloatMode: 240
; IeeeMode: 1
; LDSByteSize: 0 bytes/workgroup (compile time only)
; SGPRBlocks: 4
; VGPRBlocks: 2
; NumSGPRsForWavesPerEU: 34
; NumVGPRsForWavesPerEU: 19
; Occupancy: 16
; WaveLimiterHint : 0
; COMPUTE_PGM_RSRC2:SCRATCH_EN: 0
; COMPUTE_PGM_RSRC2:USER_SGPR: 13
; COMPUTE_PGM_RSRC2:TRAP_HANDLER: 0
; COMPUTE_PGM_RSRC2:TGID_X_EN: 1
; COMPUTE_PGM_RSRC2:TGID_Y_EN: 1
; COMPUTE_PGM_RSRC2:TGID_Z_EN: 1
; COMPUTE_PGM_RSRC2:TIDIG_COMP_CNT: 0
	.text
	.p2align	2                               ; -- Begin function __ockl_printf_append_string_n
	.type	__ockl_printf_append_string_n,@function
__ockl_printf_append_string_n:          ; @__ockl_printf_append_string_n
; %bb.0:
	s_waitcnt vmcnt(0) expcnt(0) lgkmcnt(0)
	v_dual_mov_b32 v7, v3 :: v_dual_mov_b32 v6, v2
	v_mov_b32_e32 v3, v0
	v_mbcnt_lo_u32_b32 v32, -1, 0
	s_mov_b32 s0, exec_lo
	s_delay_alu instid0(VALU_DEP_3)
	v_cmpx_ne_u64_e32 0, v[6:7]
	s_xor_b32 s10, exec_lo, s0
	s_cbranch_execz .LBB71_86
; %bb.1:
	s_load_b64 s[2:3], s[8:9], 0x50
	v_dual_mov_b32 v10, 2 :: v_dual_and_b32 v33, 2, v3
	v_dual_mov_b32 v9, 0 :: v_dual_and_b32 v0, -3, v3
	v_mov_b32_e32 v11, 1
	s_mov_b32 s12, 0
	s_mov_b32 s11, 0
	s_branch .LBB71_3
.LBB71_2:                               ;   in Loop: Header=BB71_3 Depth=1
	s_or_b32 exec_lo, exec_lo, s1
	v_sub_co_u32 v4, vcc_lo, v4, v28
	v_sub_co_ci_u32_e32 v5, vcc_lo, v5, v29, vcc_lo
	v_add_co_u32 v6, s0, v6, v28
	s_delay_alu instid0(VALU_DEP_1) | instskip(NEXT) | instid1(VALU_DEP_3)
	v_add_co_ci_u32_e64 v7, s0, v7, v29, s0
	v_cmp_eq_u64_e32 vcc_lo, 0, v[4:5]
	s_or_b32 s11, vcc_lo, s11
	s_delay_alu instid0(SALU_CYCLE_1)
	s_and_not1_b32 exec_lo, exec_lo, s11
	s_cbranch_execz .LBB71_85
.LBB71_3:                               ; =>This Loop Header: Depth=1
                                        ;     Child Loop BB71_6 Depth 2
                                        ;     Child Loop BB71_14 Depth 2
	;; [unrolled: 1-line block ×11, first 2 shown]
	v_cmp_gt_u64_e32 vcc_lo, 56, v[4:5]
	s_mov_b32 s1, exec_lo
                                        ; implicit-def: $vgpr2_vgpr3
                                        ; implicit-def: $sgpr4
	v_dual_cndmask_b32 v29, 0, v5 :: v_dual_cndmask_b32 v28, 56, v4
	v_cmpx_gt_u64_e32 8, v[4:5]
	s_xor_b32 s1, exec_lo, s1
	s_cbranch_execz .LBB71_9
; %bb.4:                                ;   in Loop: Header=BB71_3 Depth=1
	s_waitcnt vmcnt(0)
	v_mov_b32_e32 v2, 0
	v_mov_b32_e32 v3, 0
	s_mov_b64 s[4:5], 0
	s_mov_b32 s6, exec_lo
	v_cmpx_ne_u64_e32 0, v[4:5]
	s_cbranch_execz .LBB71_8
; %bb.5:                                ;   in Loop: Header=BB71_3 Depth=1
	v_lshlrev_b64 v[12:13], 3, v[28:29]
	v_mov_b32_e32 v2, 0
	v_dual_mov_b32 v3, 0 :: v_dual_mov_b32 v14, v7
	v_mov_b32_e32 v13, v6
	s_mov_b32 s7, 0
	.p2align	6
.LBB71_6:                               ;   Parent Loop BB71_3 Depth=1
                                        ; =>  This Inner Loop Header: Depth=2
	flat_load_u8 v8, v[13:14]
	v_mov_b32_e32 v16, s12
	v_add_co_u32 v13, vcc_lo, v13, 1
	v_add_co_ci_u32_e32 v14, vcc_lo, 0, v14, vcc_lo
	s_waitcnt vmcnt(0) lgkmcnt(0)
	v_and_b32_e32 v15, 0xffff, v8
	s_delay_alu instid0(VALU_DEP_1) | instskip(SKIP_3) | instid1(VALU_DEP_2)
	v_lshlrev_b64 v[15:16], s4, v[15:16]
	s_add_u32 s4, s4, 8
	s_addc_u32 s5, s5, 0
	v_cmp_eq_u32_e64 s0, s4, v12
	v_or_b32_e32 v3, v16, v3
	s_delay_alu instid0(VALU_DEP_3) | instskip(NEXT) | instid1(VALU_DEP_3)
	v_or_b32_e32 v2, v15, v2
	s_or_b32 s7, s0, s7
	s_delay_alu instid0(SALU_CYCLE_1)
	s_and_not1_b32 exec_lo, exec_lo, s7
	s_cbranch_execnz .LBB71_6
; %bb.7:                                ;   in Loop: Header=BB71_3 Depth=1
	s_or_b32 exec_lo, exec_lo, s7
.LBB71_8:                               ;   in Loop: Header=BB71_3 Depth=1
	s_delay_alu instid0(SALU_CYCLE_1)
	s_or_b32 exec_lo, exec_lo, s6
	s_mov_b32 s4, 0
.LBB71_9:                               ;   in Loop: Header=BB71_3 Depth=1
	s_or_saveexec_b32 s0, s1
	v_dual_mov_b32 v8, s4 :: v_dual_mov_b32 v25, v7
	v_mov_b32_e32 v24, v6
	s_xor_b32 exec_lo, exec_lo, s0
	s_cbranch_execz .LBB71_11
; %bb.10:                               ;   in Loop: Header=BB71_3 Depth=1
	s_waitcnt vmcnt(0)
	flat_load_b64 v[2:3], v[6:7]
	v_add_co_u32 v24, vcc_lo, v6, 8
	v_add_co_ci_u32_e32 v25, vcc_lo, 0, v7, vcc_lo
	s_waitcnt vmcnt(0) lgkmcnt(0)
	v_and_b32_e32 v8, 0xff, v3
	v_and_b32_e32 v12, 0xff00, v3
	;; [unrolled: 1-line block ×4, first 2 shown]
	v_or3_b32 v2, v2, 0, 0
	s_delay_alu instid0(VALU_DEP_4) | instskip(SKIP_1) | instid1(VALU_DEP_2)
	v_or_b32_e32 v12, v8, v12
	v_add_nc_u32_e32 v8, -8, v28
	v_or3_b32 v3, v12, v13, v3
.LBB71_11:                              ;   in Loop: Header=BB71_3 Depth=1
	s_or_b32 exec_lo, exec_lo, s0
                                        ; implicit-def: $vgpr12_vgpr13
                                        ; implicit-def: $sgpr1
	s_delay_alu instid0(SALU_CYCLE_1) | instskip(NEXT) | instid1(VALU_DEP_2)
	s_mov_b32 s0, exec_lo
	v_cmpx_gt_u32_e32 8, v8
	s_xor_b32 s6, exec_lo, s0
	s_cbranch_execz .LBB71_17
; %bb.12:                               ;   in Loop: Header=BB71_3 Depth=1
	v_mov_b32_e32 v12, 0
	v_mov_b32_e32 v13, 0
	s_mov_b32 s7, exec_lo
	v_cmpx_ne_u32_e32 0, v8
	s_cbranch_execz .LBB71_16
; %bb.13:                               ;   in Loop: Header=BB71_3 Depth=1
	v_mov_b32_e32 v12, 0
	v_mov_b32_e32 v13, 0
	s_mov_b64 s[0:1], 0
	s_mov_b32 s13, 0
	s_mov_b64 s[4:5], 0
	.p2align	6
.LBB71_14:                              ;   Parent Loop BB71_3 Depth=1
                                        ; =>  This Inner Loop Header: Depth=2
	s_delay_alu instid0(SALU_CYCLE_1)
	v_add_co_u32 v14, vcc_lo, v24, s4
	v_add_co_ci_u32_e32 v15, vcc_lo, s5, v25, vcc_lo
	s_add_u32 s4, s4, 1
	s_addc_u32 s5, s5, 0
	v_cmp_eq_u32_e32 vcc_lo, s4, v8
	flat_load_u8 v14, v[14:15]
	s_waitcnt vmcnt(0) lgkmcnt(0)
	v_dual_mov_b32 v15, s12 :: v_dual_and_b32 v14, 0xffff, v14
	s_delay_alu instid0(VALU_DEP_1) | instskip(SKIP_3) | instid1(VALU_DEP_1)
	v_lshlrev_b64 v[14:15], s0, v[14:15]
	s_add_u32 s0, s0, 8
	s_addc_u32 s1, s1, 0
	s_or_b32 s13, vcc_lo, s13
	v_or_b32_e32 v13, v15, v13
	s_delay_alu instid0(VALU_DEP_2)
	v_or_b32_e32 v12, v14, v12
	s_and_not1_b32 exec_lo, exec_lo, s13
	s_cbranch_execnz .LBB71_14
; %bb.15:                               ;   in Loop: Header=BB71_3 Depth=1
	s_or_b32 exec_lo, exec_lo, s13
.LBB71_16:                              ;   in Loop: Header=BB71_3 Depth=1
	s_delay_alu instid0(SALU_CYCLE_1)
	s_or_b32 exec_lo, exec_lo, s7
	s_mov_b32 s1, 0
                                        ; implicit-def: $vgpr8
.LBB71_17:                              ;   in Loop: Header=BB71_3 Depth=1
	s_or_saveexec_b32 s0, s6
	v_mov_b32_e32 v16, s1
	s_xor_b32 exec_lo, exec_lo, s0
	s_cbranch_execz .LBB71_19
; %bb.18:                               ;   in Loop: Header=BB71_3 Depth=1
	flat_load_b64 v[12:13], v[24:25]
	v_add_co_u32 v24, vcc_lo, v24, 8
	v_add_nc_u32_e32 v16, -8, v8
	v_add_co_ci_u32_e32 v25, vcc_lo, 0, v25, vcc_lo
	s_waitcnt vmcnt(0) lgkmcnt(0)
	v_and_b32_e32 v14, 0xff, v13
	v_and_b32_e32 v15, 0xff00, v13
	;; [unrolled: 1-line block ×4, first 2 shown]
	v_or3_b32 v12, v12, 0, 0
	s_delay_alu instid0(VALU_DEP_4) | instskip(NEXT) | instid1(VALU_DEP_1)
	v_or_b32_e32 v14, v14, v15
	v_or3_b32 v13, v14, v17, v13
.LBB71_19:                              ;   in Loop: Header=BB71_3 Depth=1
	s_or_b32 exec_lo, exec_lo, s0
                                        ; implicit-def: $sgpr1
	s_delay_alu instid0(SALU_CYCLE_1)
	s_mov_b32 s0, exec_lo
	v_cmpx_gt_u32_e32 8, v16
	s_xor_b32 s6, exec_lo, s0
	s_cbranch_execz .LBB71_25
; %bb.20:                               ;   in Loop: Header=BB71_3 Depth=1
	v_mov_b32_e32 v14, 0
	v_mov_b32_e32 v15, 0
	s_mov_b32 s7, exec_lo
	v_cmpx_ne_u32_e32 0, v16
	s_cbranch_execz .LBB71_24
; %bb.21:                               ;   in Loop: Header=BB71_3 Depth=1
	v_mov_b32_e32 v14, 0
	v_mov_b32_e32 v15, 0
	s_mov_b64 s[0:1], 0
	s_mov_b32 s13, 0
	s_mov_b64 s[4:5], 0
	.p2align	6
.LBB71_22:                              ;   Parent Loop BB71_3 Depth=1
                                        ; =>  This Inner Loop Header: Depth=2
	s_delay_alu instid0(SALU_CYCLE_1)
	v_add_co_u32 v17, vcc_lo, v24, s4
	v_add_co_ci_u32_e32 v18, vcc_lo, s5, v25, vcc_lo
	s_add_u32 s4, s4, 1
	s_addc_u32 s5, s5, 0
	v_cmp_eq_u32_e32 vcc_lo, s4, v16
	flat_load_u8 v8, v[17:18]
	s_waitcnt vmcnt(0) lgkmcnt(0)
	v_dual_mov_b32 v18, s12 :: v_dual_and_b32 v17, 0xffff, v8
	s_delay_alu instid0(VALU_DEP_1) | instskip(SKIP_3) | instid1(VALU_DEP_1)
	v_lshlrev_b64 v[17:18], s0, v[17:18]
	s_add_u32 s0, s0, 8
	s_addc_u32 s1, s1, 0
	s_or_b32 s13, vcc_lo, s13
	v_or_b32_e32 v15, v18, v15
	s_delay_alu instid0(VALU_DEP_2)
	v_or_b32_e32 v14, v17, v14
	s_and_not1_b32 exec_lo, exec_lo, s13
	s_cbranch_execnz .LBB71_22
; %bb.23:                               ;   in Loop: Header=BB71_3 Depth=1
	s_or_b32 exec_lo, exec_lo, s13
.LBB71_24:                              ;   in Loop: Header=BB71_3 Depth=1
	s_delay_alu instid0(SALU_CYCLE_1)
	s_or_b32 exec_lo, exec_lo, s7
	s_mov_b32 s1, 0
                                        ; implicit-def: $vgpr16
.LBB71_25:                              ;   in Loop: Header=BB71_3 Depth=1
	s_or_saveexec_b32 s0, s6
	v_mov_b32_e32 v8, s1
	s_xor_b32 exec_lo, exec_lo, s0
	s_cbranch_execz .LBB71_27
; %bb.26:                               ;   in Loop: Header=BB71_3 Depth=1
	flat_load_b64 v[14:15], v[24:25]
	v_add_co_u32 v24, vcc_lo, v24, 8
	v_add_co_ci_u32_e32 v25, vcc_lo, 0, v25, vcc_lo
	s_waitcnt vmcnt(0) lgkmcnt(0)
	v_and_b32_e32 v8, 0xff, v15
	v_and_b32_e32 v17, 0xff00, v15
	;; [unrolled: 1-line block ×4, first 2 shown]
	v_or3_b32 v14, v14, 0, 0
	s_delay_alu instid0(VALU_DEP_4) | instskip(SKIP_1) | instid1(VALU_DEP_2)
	v_or_b32_e32 v17, v8, v17
	v_add_nc_u32_e32 v8, -8, v16
	v_or3_b32 v15, v17, v18, v15
.LBB71_27:                              ;   in Loop: Header=BB71_3 Depth=1
	s_or_b32 exec_lo, exec_lo, s0
                                        ; implicit-def: $vgpr16_vgpr17
                                        ; implicit-def: $sgpr1
	s_delay_alu instid0(SALU_CYCLE_1) | instskip(NEXT) | instid1(VALU_DEP_1)
	s_mov_b32 s0, exec_lo
	v_cmpx_gt_u32_e32 8, v8
	s_xor_b32 s6, exec_lo, s0
	s_cbranch_execz .LBB71_33
; %bb.28:                               ;   in Loop: Header=BB71_3 Depth=1
	v_mov_b32_e32 v16, 0
	v_mov_b32_e32 v17, 0
	s_mov_b32 s7, exec_lo
	v_cmpx_ne_u32_e32 0, v8
	s_cbranch_execz .LBB71_32
; %bb.29:                               ;   in Loop: Header=BB71_3 Depth=1
	v_mov_b32_e32 v16, 0
	v_mov_b32_e32 v17, 0
	s_mov_b64 s[0:1], 0
	s_mov_b32 s13, 0
	s_mov_b64 s[4:5], 0
	.p2align	6
.LBB71_30:                              ;   Parent Loop BB71_3 Depth=1
                                        ; =>  This Inner Loop Header: Depth=2
	s_delay_alu instid0(SALU_CYCLE_1)
	v_add_co_u32 v18, vcc_lo, v24, s4
	v_add_co_ci_u32_e32 v19, vcc_lo, s5, v25, vcc_lo
	s_add_u32 s4, s4, 1
	s_addc_u32 s5, s5, 0
	v_cmp_eq_u32_e32 vcc_lo, s4, v8
	flat_load_u8 v18, v[18:19]
	s_waitcnt vmcnt(0) lgkmcnt(0)
	v_dual_mov_b32 v19, s12 :: v_dual_and_b32 v18, 0xffff, v18
	s_delay_alu instid0(VALU_DEP_1) | instskip(SKIP_3) | instid1(VALU_DEP_1)
	v_lshlrev_b64 v[18:19], s0, v[18:19]
	s_add_u32 s0, s0, 8
	s_addc_u32 s1, s1, 0
	s_or_b32 s13, vcc_lo, s13
	v_or_b32_e32 v17, v19, v17
	s_delay_alu instid0(VALU_DEP_2)
	v_or_b32_e32 v16, v18, v16
	s_and_not1_b32 exec_lo, exec_lo, s13
	s_cbranch_execnz .LBB71_30
; %bb.31:                               ;   in Loop: Header=BB71_3 Depth=1
	s_or_b32 exec_lo, exec_lo, s13
.LBB71_32:                              ;   in Loop: Header=BB71_3 Depth=1
	s_delay_alu instid0(SALU_CYCLE_1)
	s_or_b32 exec_lo, exec_lo, s7
	s_mov_b32 s1, 0
                                        ; implicit-def: $vgpr8
.LBB71_33:                              ;   in Loop: Header=BB71_3 Depth=1
	s_or_saveexec_b32 s0, s6
	v_mov_b32_e32 v20, s1
	s_xor_b32 exec_lo, exec_lo, s0
	s_cbranch_execz .LBB71_35
; %bb.34:                               ;   in Loop: Header=BB71_3 Depth=1
	flat_load_b64 v[16:17], v[24:25]
	v_add_co_u32 v24, vcc_lo, v24, 8
	v_add_nc_u32_e32 v20, -8, v8
	v_add_co_ci_u32_e32 v25, vcc_lo, 0, v25, vcc_lo
	s_waitcnt vmcnt(0) lgkmcnt(0)
	v_and_b32_e32 v18, 0xff, v17
	v_and_b32_e32 v19, 0xff00, v17
	;; [unrolled: 1-line block ×4, first 2 shown]
	v_or3_b32 v16, v16, 0, 0
	s_delay_alu instid0(VALU_DEP_4) | instskip(NEXT) | instid1(VALU_DEP_1)
	v_or_b32_e32 v18, v18, v19
	v_or3_b32 v17, v18, v21, v17
.LBB71_35:                              ;   in Loop: Header=BB71_3 Depth=1
	s_or_b32 exec_lo, exec_lo, s0
                                        ; implicit-def: $sgpr1
	s_delay_alu instid0(SALU_CYCLE_1)
	s_mov_b32 s0, exec_lo
	v_cmpx_gt_u32_e32 8, v20
	s_xor_b32 s6, exec_lo, s0
	s_cbranch_execz .LBB71_41
; %bb.36:                               ;   in Loop: Header=BB71_3 Depth=1
	v_mov_b32_e32 v18, 0
	v_mov_b32_e32 v19, 0
	s_mov_b32 s7, exec_lo
	v_cmpx_ne_u32_e32 0, v20
	s_cbranch_execz .LBB71_40
; %bb.37:                               ;   in Loop: Header=BB71_3 Depth=1
	v_mov_b32_e32 v18, 0
	v_mov_b32_e32 v19, 0
	s_mov_b64 s[0:1], 0
	s_mov_b32 s13, 0
	s_mov_b64 s[4:5], 0
	.p2align	6
.LBB71_38:                              ;   Parent Loop BB71_3 Depth=1
                                        ; =>  This Inner Loop Header: Depth=2
	s_delay_alu instid0(SALU_CYCLE_1)
	v_add_co_u32 v21, vcc_lo, v24, s4
	v_add_co_ci_u32_e32 v22, vcc_lo, s5, v25, vcc_lo
	s_add_u32 s4, s4, 1
	s_addc_u32 s5, s5, 0
	v_cmp_eq_u32_e32 vcc_lo, s4, v20
	flat_load_u8 v8, v[21:22]
	s_waitcnt vmcnt(0) lgkmcnt(0)
	v_dual_mov_b32 v22, s12 :: v_dual_and_b32 v21, 0xffff, v8
	s_delay_alu instid0(VALU_DEP_1) | instskip(SKIP_3) | instid1(VALU_DEP_1)
	v_lshlrev_b64 v[21:22], s0, v[21:22]
	s_add_u32 s0, s0, 8
	s_addc_u32 s1, s1, 0
	s_or_b32 s13, vcc_lo, s13
	v_or_b32_e32 v19, v22, v19
	s_delay_alu instid0(VALU_DEP_2)
	v_or_b32_e32 v18, v21, v18
	s_and_not1_b32 exec_lo, exec_lo, s13
	s_cbranch_execnz .LBB71_38
; %bb.39:                               ;   in Loop: Header=BB71_3 Depth=1
	s_or_b32 exec_lo, exec_lo, s13
.LBB71_40:                              ;   in Loop: Header=BB71_3 Depth=1
	s_delay_alu instid0(SALU_CYCLE_1)
	s_or_b32 exec_lo, exec_lo, s7
	s_mov_b32 s1, 0
                                        ; implicit-def: $vgpr20
.LBB71_41:                              ;   in Loop: Header=BB71_3 Depth=1
	s_or_saveexec_b32 s0, s6
	v_mov_b32_e32 v8, s1
	s_xor_b32 exec_lo, exec_lo, s0
	s_cbranch_execz .LBB71_43
; %bb.42:                               ;   in Loop: Header=BB71_3 Depth=1
	flat_load_b64 v[18:19], v[24:25]
	v_add_co_u32 v24, vcc_lo, v24, 8
	v_add_co_ci_u32_e32 v25, vcc_lo, 0, v25, vcc_lo
	s_waitcnt vmcnt(0) lgkmcnt(0)
	v_and_b32_e32 v8, 0xff, v19
	v_and_b32_e32 v21, 0xff00, v19
	;; [unrolled: 1-line block ×4, first 2 shown]
	v_or3_b32 v18, v18, 0, 0
	s_delay_alu instid0(VALU_DEP_4) | instskip(SKIP_1) | instid1(VALU_DEP_2)
	v_or_b32_e32 v21, v8, v21
	v_add_nc_u32_e32 v8, -8, v20
	v_or3_b32 v19, v21, v22, v19
.LBB71_43:                              ;   in Loop: Header=BB71_3 Depth=1
	s_or_b32 exec_lo, exec_lo, s0
                                        ; implicit-def: $vgpr20_vgpr21
                                        ; implicit-def: $sgpr1
	s_delay_alu instid0(SALU_CYCLE_1) | instskip(NEXT) | instid1(VALU_DEP_1)
	s_mov_b32 s0, exec_lo
	v_cmpx_gt_u32_e32 8, v8
	s_xor_b32 s6, exec_lo, s0
	s_cbranch_execz .LBB71_49
; %bb.44:                               ;   in Loop: Header=BB71_3 Depth=1
	v_mov_b32_e32 v20, 0
	v_mov_b32_e32 v21, 0
	s_mov_b32 s7, exec_lo
	v_cmpx_ne_u32_e32 0, v8
	s_cbranch_execz .LBB71_48
; %bb.45:                               ;   in Loop: Header=BB71_3 Depth=1
	v_mov_b32_e32 v20, 0
	v_mov_b32_e32 v21, 0
	s_mov_b64 s[0:1], 0
	s_mov_b32 s13, 0
	s_mov_b64 s[4:5], 0
	.p2align	6
.LBB71_46:                              ;   Parent Loop BB71_3 Depth=1
                                        ; =>  This Inner Loop Header: Depth=2
	s_delay_alu instid0(SALU_CYCLE_1)
	v_add_co_u32 v22, vcc_lo, v24, s4
	v_add_co_ci_u32_e32 v23, vcc_lo, s5, v25, vcc_lo
	s_add_u32 s4, s4, 1
	s_addc_u32 s5, s5, 0
	v_cmp_eq_u32_e32 vcc_lo, s4, v8
	flat_load_u8 v22, v[22:23]
	s_waitcnt vmcnt(0) lgkmcnt(0)
	v_dual_mov_b32 v23, s12 :: v_dual_and_b32 v22, 0xffff, v22
	s_delay_alu instid0(VALU_DEP_1) | instskip(SKIP_3) | instid1(VALU_DEP_1)
	v_lshlrev_b64 v[22:23], s0, v[22:23]
	s_add_u32 s0, s0, 8
	s_addc_u32 s1, s1, 0
	s_or_b32 s13, vcc_lo, s13
	v_or_b32_e32 v21, v23, v21
	s_delay_alu instid0(VALU_DEP_2)
	v_or_b32_e32 v20, v22, v20
	s_and_not1_b32 exec_lo, exec_lo, s13
	s_cbranch_execnz .LBB71_46
; %bb.47:                               ;   in Loop: Header=BB71_3 Depth=1
	s_or_b32 exec_lo, exec_lo, s13
.LBB71_48:                              ;   in Loop: Header=BB71_3 Depth=1
	s_delay_alu instid0(SALU_CYCLE_1)
	s_or_b32 exec_lo, exec_lo, s7
	s_mov_b32 s1, 0
                                        ; implicit-def: $vgpr8
.LBB71_49:                              ;   in Loop: Header=BB71_3 Depth=1
	s_or_saveexec_b32 s0, s6
	v_mov_b32_e32 v26, s1
	s_xor_b32 exec_lo, exec_lo, s0
	s_cbranch_execz .LBB71_51
; %bb.50:                               ;   in Loop: Header=BB71_3 Depth=1
	flat_load_b64 v[20:21], v[24:25]
	v_add_co_u32 v24, vcc_lo, v24, 8
	v_add_nc_u32_e32 v26, -8, v8
	v_add_co_ci_u32_e32 v25, vcc_lo, 0, v25, vcc_lo
	s_waitcnt vmcnt(0) lgkmcnt(0)
	v_and_b32_e32 v22, 0xff, v21
	v_and_b32_e32 v23, 0xff00, v21
	;; [unrolled: 1-line block ×4, first 2 shown]
	v_or3_b32 v20, v20, 0, 0
	s_delay_alu instid0(VALU_DEP_4) | instskip(NEXT) | instid1(VALU_DEP_1)
	v_or_b32_e32 v22, v22, v23
	v_or3_b32 v21, v22, v27, v21
.LBB71_51:                              ;   in Loop: Header=BB71_3 Depth=1
	s_or_b32 exec_lo, exec_lo, s0
	s_delay_alu instid0(SALU_CYCLE_1)
	s_mov_b32 s0, exec_lo
	v_cmpx_gt_u32_e32 8, v26
	s_xor_b32 s4, exec_lo, s0
	s_cbranch_execz .LBB71_57
; %bb.52:                               ;   in Loop: Header=BB71_3 Depth=1
	v_mov_b32_e32 v22, 0
	v_mov_b32_e32 v23, 0
	s_mov_b32 s5, exec_lo
	v_cmpx_ne_u32_e32 0, v26
	s_cbranch_execz .LBB71_56
; %bb.53:                               ;   in Loop: Header=BB71_3 Depth=1
	v_mov_b32_e32 v22, 0
	v_mov_b32_e32 v23, 0
	s_mov_b64 s[0:1], 0
	s_mov_b32 s6, 0
	.p2align	6
.LBB71_54:                              ;   Parent Loop BB71_3 Depth=1
                                        ; =>  This Inner Loop Header: Depth=2
	flat_load_u8 v8, v[24:25]
	v_dual_mov_b32 v31, s12 :: v_dual_add_nc_u32 v26, -1, v26
	v_add_co_u32 v24, vcc_lo, v24, 1
	v_add_co_ci_u32_e32 v25, vcc_lo, 0, v25, vcc_lo
	s_delay_alu instid0(VALU_DEP_3) | instskip(SKIP_2) | instid1(VALU_DEP_1)
	v_cmp_eq_u32_e32 vcc_lo, 0, v26
	s_waitcnt vmcnt(0) lgkmcnt(0)
	v_and_b32_e32 v30, 0xffff, v8
	v_lshlrev_b64 v[30:31], s0, v[30:31]
	s_add_u32 s0, s0, 8
	s_addc_u32 s1, s1, 0
	s_or_b32 s6, vcc_lo, s6
	s_delay_alu instid0(VALU_DEP_1) | instskip(NEXT) | instid1(VALU_DEP_2)
	v_or_b32_e32 v23, v31, v23
	v_or_b32_e32 v22, v30, v22
	s_and_not1_b32 exec_lo, exec_lo, s6
	s_cbranch_execnz .LBB71_54
; %bb.55:                               ;   in Loop: Header=BB71_3 Depth=1
	s_or_b32 exec_lo, exec_lo, s6
.LBB71_56:                              ;   in Loop: Header=BB71_3 Depth=1
	s_delay_alu instid0(SALU_CYCLE_1)
	s_or_b32 exec_lo, exec_lo, s5
                                        ; implicit-def: $vgpr24_vgpr25
.LBB71_57:                              ;   in Loop: Header=BB71_3 Depth=1
	s_and_not1_saveexec_b32 s0, s4
	s_cbranch_execz .LBB71_59
; %bb.58:                               ;   in Loop: Header=BB71_3 Depth=1
	flat_load_b64 v[22:23], v[24:25]
	s_waitcnt vmcnt(0) lgkmcnt(0)
	v_and_b32_e32 v8, 0xff, v23
	v_and_b32_e32 v24, 0xff00, v23
	;; [unrolled: 1-line block ×4, first 2 shown]
	v_or3_b32 v22, v22, 0, 0
	s_delay_alu instid0(VALU_DEP_4) | instskip(NEXT) | instid1(VALU_DEP_1)
	v_or_b32_e32 v8, v8, v24
	v_or3_b32 v23, v8, v25, v23
.LBB71_59:                              ;   in Loop: Header=BB71_3 Depth=1
	s_or_b32 exec_lo, exec_lo, s0
	v_readfirstlane_b32 s0, v32
	v_mov_b32_e32 v30, 0
	v_mov_b32_e32 v31, 0
	s_delay_alu instid0(VALU_DEP_3) | instskip(NEXT) | instid1(VALU_DEP_1)
	v_cmp_eq_u32_e64 s0, s0, v32
	s_and_saveexec_b32 s1, s0
	s_cbranch_execz .LBB71_65
; %bb.60:                               ;   in Loop: Header=BB71_3 Depth=1
	s_waitcnt lgkmcnt(0)
	global_load_b64 v[26:27], v9, s[2:3] offset:24 glc
	s_waitcnt vmcnt(0)
	buffer_gl1_inv
	buffer_gl0_inv
	s_clause 0x1
	global_load_b64 v[24:25], v9, s[2:3] offset:40
	global_load_b64 v[30:31], v9, s[2:3]
	s_mov_b32 s4, exec_lo
	s_waitcnt vmcnt(1)
	v_and_b32_e32 v8, v25, v27
	v_and_b32_e32 v24, v24, v26
	s_delay_alu instid0(VALU_DEP_2) | instskip(NEXT) | instid1(VALU_DEP_2)
	v_mul_lo_u32 v8, v8, 24
	v_mul_hi_u32 v25, v24, 24
	v_mul_lo_u32 v24, v24, 24
	s_delay_alu instid0(VALU_DEP_2) | instskip(SKIP_1) | instid1(VALU_DEP_2)
	v_add_nc_u32_e32 v8, v25, v8
	s_waitcnt vmcnt(0)
	v_add_co_u32 v24, vcc_lo, v30, v24
	s_delay_alu instid0(VALU_DEP_2)
	v_add_co_ci_u32_e32 v25, vcc_lo, v31, v8, vcc_lo
	global_load_b64 v[24:25], v[24:25], off glc
	s_waitcnt vmcnt(0)
	global_atomic_cmpswap_b64 v[30:31], v9, v[24:27], s[2:3] offset:24 glc
	s_waitcnt vmcnt(0)
	buffer_gl1_inv
	buffer_gl0_inv
	v_cmpx_ne_u64_e64 v[30:31], v[26:27]
	s_cbranch_execz .LBB71_64
; %bb.61:                               ;   in Loop: Header=BB71_3 Depth=1
	s_mov_b32 s5, 0
	.p2align	6
.LBB71_62:                              ;   Parent Loop BB71_3 Depth=1
                                        ; =>  This Inner Loop Header: Depth=2
	s_sleep 1
	s_clause 0x1
	global_load_b64 v[24:25], v9, s[2:3] offset:40
	global_load_b64 v[34:35], v9, s[2:3]
	v_dual_mov_b32 v26, v30 :: v_dual_mov_b32 v27, v31
	s_waitcnt vmcnt(1)
	s_delay_alu instid0(VALU_DEP_1) | instskip(SKIP_1) | instid1(VALU_DEP_1)
	v_and_b32_e32 v8, v24, v26
	s_waitcnt vmcnt(0)
	v_mad_u64_u32 v[30:31], null, v8, 24, v[34:35]
	v_and_b32_e32 v34, v25, v27
	s_delay_alu instid0(VALU_DEP_2) | instskip(NEXT) | instid1(VALU_DEP_1)
	v_mov_b32_e32 v8, v31
	v_mad_u64_u32 v[24:25], null, v34, 24, v[8:9]
	s_delay_alu instid0(VALU_DEP_1)
	v_mov_b32_e32 v31, v24
	global_load_b64 v[24:25], v[30:31], off glc
	s_waitcnt vmcnt(0)
	global_atomic_cmpswap_b64 v[30:31], v9, v[24:27], s[2:3] offset:24 glc
	s_waitcnt vmcnt(0)
	buffer_gl1_inv
	buffer_gl0_inv
	v_cmp_eq_u64_e32 vcc_lo, v[30:31], v[26:27]
	s_or_b32 s5, vcc_lo, s5
	s_delay_alu instid0(SALU_CYCLE_1)
	s_and_not1_b32 exec_lo, exec_lo, s5
	s_cbranch_execnz .LBB71_62
; %bb.63:                               ;   in Loop: Header=BB71_3 Depth=1
	s_or_b32 exec_lo, exec_lo, s5
.LBB71_64:                              ;   in Loop: Header=BB71_3 Depth=1
	s_delay_alu instid0(SALU_CYCLE_1)
	s_or_b32 exec_lo, exec_lo, s4
.LBB71_65:                              ;   in Loop: Header=BB71_3 Depth=1
	s_delay_alu instid0(SALU_CYCLE_1)
	s_or_b32 exec_lo, exec_lo, s1
	s_waitcnt lgkmcnt(0)
	s_clause 0x1
	global_load_b64 v[34:35], v9, s[2:3] offset:40
	global_load_b128 v[24:27], v9, s[2:3]
	v_readfirstlane_b32 s4, v30
	v_readfirstlane_b32 s5, v31
	s_mov_b32 s1, exec_lo
	s_waitcnt vmcnt(1)
	v_readfirstlane_b32 s6, v34
	v_readfirstlane_b32 s7, v35
	s_delay_alu instid0(VALU_DEP_1) | instskip(NEXT) | instid1(SALU_CYCLE_1)
	s_and_b64 s[6:7], s[4:5], s[6:7]
	s_mul_i32 s13, s7, 24
	s_mul_hi_u32 s14, s6, 24
	s_mul_i32 s15, s6, 24
	s_add_i32 s14, s14, s13
	s_waitcnt vmcnt(0)
	v_add_co_u32 v30, vcc_lo, v24, s15
	v_add_co_ci_u32_e32 v31, vcc_lo, s14, v25, vcc_lo
	s_and_saveexec_b32 s13, s0
	s_cbranch_execz .LBB71_67
; %bb.66:                               ;   in Loop: Header=BB71_3 Depth=1
	v_mov_b32_e32 v8, s1
	global_store_b128 v[30:31], v[8:11], off offset:8
.LBB71_67:                              ;   in Loop: Header=BB71_3 Depth=1
	s_or_b32 exec_lo, exec_lo, s13
	v_cmp_lt_u64_e32 vcc_lo, 56, v[4:5]
	v_or_b32_e32 v8, 0, v1
	v_or_b32_e32 v34, v0, v33
	v_lshl_add_u32 v35, v28, 2, 28
	s_lshl_b64 s[6:7], s[6:7], 12
	s_delay_alu instid0(SALU_CYCLE_1) | instskip(NEXT) | instid1(VALU_DEP_1)
	v_add_co_u32 v26, s1, v26, s6
	v_add_co_ci_u32_e64 v27, s1, s7, v27, s1
	v_dual_cndmask_b32 v1, v8, v1 :: v_dual_cndmask_b32 v0, v34, v0
	v_and_b32_e32 v8, 0x1e0, v35
	v_lshlrev_b32_e32 v34, 6, v32
	v_readfirstlane_b32 s6, v26
	v_readfirstlane_b32 s7, v27
	s_delay_alu instid0(VALU_DEP_4)
	v_and_or_b32 v0, 0xffffff1f, v0, v8
	s_clause 0x3
	global_store_b128 v34, v[0:3], s[6:7]
	global_store_b128 v34, v[12:15], s[6:7] offset:16
	global_store_b128 v34, v[16:19], s[6:7] offset:32
	;; [unrolled: 1-line block ×3, first 2 shown]
	s_and_saveexec_b32 s1, s0
	s_cbranch_execz .LBB71_75
; %bb.68:                               ;   in Loop: Header=BB71_3 Depth=1
	s_clause 0x1
	global_load_b64 v[16:17], v9, s[2:3] offset:32 glc
	global_load_b64 v[0:1], v9, s[2:3] offset:40
	v_dual_mov_b32 v14, s4 :: v_dual_mov_b32 v15, s5
	s_waitcnt vmcnt(0)
	v_readfirstlane_b32 s6, v0
	v_readfirstlane_b32 s7, v1
	s_delay_alu instid0(VALU_DEP_1) | instskip(NEXT) | instid1(SALU_CYCLE_1)
	s_and_b64 s[6:7], s[6:7], s[4:5]
	s_mul_i32 s7, s7, 24
	s_mul_hi_u32 s13, s6, 24
	s_mul_i32 s6, s6, 24
	s_add_i32 s13, s13, s7
	v_add_co_u32 v12, vcc_lo, v24, s6
	v_add_co_ci_u32_e32 v13, vcc_lo, s13, v25, vcc_lo
	s_mov_b32 s6, exec_lo
	global_store_b64 v[12:13], v[16:17], off
	s_waitcnt_vscnt null, 0x0
	global_atomic_cmpswap_b64 v[2:3], v9, v[14:17], s[2:3] offset:32 glc
	s_waitcnt vmcnt(0)
	v_cmpx_ne_u64_e64 v[2:3], v[16:17]
	s_cbranch_execz .LBB71_71
; %bb.69:                               ;   in Loop: Header=BB71_3 Depth=1
	s_mov_b32 s7, 0
.LBB71_70:                              ;   Parent Loop BB71_3 Depth=1
                                        ; =>  This Inner Loop Header: Depth=2
	v_dual_mov_b32 v0, s4 :: v_dual_mov_b32 v1, s5
	s_sleep 1
	global_store_b64 v[12:13], v[2:3], off
	s_waitcnt_vscnt null, 0x0
	global_atomic_cmpswap_b64 v[0:1], v9, v[0:3], s[2:3] offset:32 glc
	s_waitcnt vmcnt(0)
	v_cmp_eq_u64_e32 vcc_lo, v[0:1], v[2:3]
	v_dual_mov_b32 v3, v1 :: v_dual_mov_b32 v2, v0
	s_or_b32 s7, vcc_lo, s7
	s_delay_alu instid0(SALU_CYCLE_1)
	s_and_not1_b32 exec_lo, exec_lo, s7
	s_cbranch_execnz .LBB71_70
.LBB71_71:                              ;   in Loop: Header=BB71_3 Depth=1
	s_or_b32 exec_lo, exec_lo, s6
	global_load_b64 v[0:1], v9, s[2:3] offset:16
	s_mov_b32 s7, exec_lo
	s_mov_b32 s6, exec_lo
	v_mbcnt_lo_u32_b32 v2, s7, 0
	s_delay_alu instid0(VALU_DEP_1)
	v_cmpx_eq_u32_e32 0, v2
	s_cbranch_execz .LBB71_73
; %bb.72:                               ;   in Loop: Header=BB71_3 Depth=1
	s_bcnt1_i32_b32 s7, s7
	s_delay_alu instid0(SALU_CYCLE_1)
	v_mov_b32_e32 v8, s7
	s_waitcnt vmcnt(0)
	global_atomic_add_u64 v[0:1], v[8:9], off offset:8
.LBB71_73:                              ;   in Loop: Header=BB71_3 Depth=1
	s_or_b32 exec_lo, exec_lo, s6
	s_waitcnt vmcnt(0)
	global_load_b64 v[2:3], v[0:1], off offset:16
	s_waitcnt vmcnt(0)
	v_cmp_eq_u64_e32 vcc_lo, 0, v[2:3]
	s_cbranch_vccnz .LBB71_75
; %bb.74:                               ;   in Loop: Header=BB71_3 Depth=1
	global_load_b32 v8, v[0:1], off offset:24
	s_waitcnt vmcnt(0)
	v_and_b32_e32 v0, 0xffffff, v8
	s_waitcnt_vscnt null, 0x0
	global_store_b64 v[2:3], v[8:9], off
	v_readfirstlane_b32 m0, v0
	s_sendmsg sendmsg(MSG_INTERRUPT)
.LBB71_75:                              ;   in Loop: Header=BB71_3 Depth=1
	s_or_b32 exec_lo, exec_lo, s1
	v_add_co_u32 v0, vcc_lo, v26, v34
	v_add_co_ci_u32_e32 v1, vcc_lo, 0, v27, vcc_lo
	s_branch .LBB71_79
	.p2align	6
.LBB71_76:                              ;   in Loop: Header=BB71_79 Depth=2
	s_or_b32 exec_lo, exec_lo, s1
	s_delay_alu instid0(VALU_DEP_1) | instskip(NEXT) | instid1(VALU_DEP_1)
	v_readfirstlane_b32 s1, v2
	s_cmp_eq_u32 s1, 0
	s_cbranch_scc1 .LBB71_78
; %bb.77:                               ;   in Loop: Header=BB71_79 Depth=2
	s_sleep 1
	s_cbranch_execnz .LBB71_79
	s_branch .LBB71_81
	.p2align	6
.LBB71_78:                              ;   in Loop: Header=BB71_3 Depth=1
	s_branch .LBB71_81
.LBB71_79:                              ;   Parent Loop BB71_3 Depth=1
                                        ; =>  This Inner Loop Header: Depth=2
	v_mov_b32_e32 v2, 1
	s_and_saveexec_b32 s1, s0
	s_cbranch_execz .LBB71_76
; %bb.80:                               ;   in Loop: Header=BB71_79 Depth=2
	global_load_b32 v2, v[30:31], off offset:20 glc
	s_waitcnt vmcnt(0)
	buffer_gl1_inv
	buffer_gl0_inv
	v_and_b32_e32 v2, 1, v2
	s_branch .LBB71_76
.LBB71_81:                              ;   in Loop: Header=BB71_3 Depth=1
	global_load_b128 v[0:3], v[0:1], off
	s_and_saveexec_b32 s1, s0
	s_cbranch_execz .LBB71_2
; %bb.82:                               ;   in Loop: Header=BB71_3 Depth=1
	s_clause 0x2
	global_load_b64 v[2:3], v9, s[2:3] offset:40
	global_load_b64 v[16:17], v9, s[2:3] offset:24 glc
	global_load_b64 v[14:15], v9, s[2:3]
	s_waitcnt vmcnt(2)
	v_add_co_u32 v8, vcc_lo, v2, 1
	v_add_co_ci_u32_e32 v18, vcc_lo, 0, v3, vcc_lo
	s_delay_alu instid0(VALU_DEP_2) | instskip(NEXT) | instid1(VALU_DEP_2)
	v_add_co_u32 v12, vcc_lo, v8, s4
	v_add_co_ci_u32_e32 v13, vcc_lo, s5, v18, vcc_lo
	s_delay_alu instid0(VALU_DEP_1) | instskip(SKIP_1) | instid1(VALU_DEP_1)
	v_cmp_eq_u64_e32 vcc_lo, 0, v[12:13]
	v_dual_cndmask_b32 v13, v13, v18 :: v_dual_cndmask_b32 v12, v12, v8
	v_and_b32_e32 v3, v13, v3
	s_delay_alu instid0(VALU_DEP_2) | instskip(NEXT) | instid1(VALU_DEP_1)
	v_and_b32_e32 v2, v12, v2
	v_mul_hi_u32 v8, v2, 24
	v_mul_lo_u32 v2, v2, 24
	s_waitcnt vmcnt(0)
	s_delay_alu instid0(VALU_DEP_1) | instskip(SKIP_2) | instid1(VALU_DEP_1)
	v_add_co_u32 v2, vcc_lo, v14, v2
	v_mov_b32_e32 v14, v16
	v_mul_lo_u32 v3, v3, 24
	v_add_nc_u32_e32 v3, v8, v3
	s_delay_alu instid0(VALU_DEP_1)
	v_add_co_ci_u32_e32 v3, vcc_lo, v15, v3, vcc_lo
	v_mov_b32_e32 v15, v17
	global_store_b64 v[2:3], v[16:17], off
	s_waitcnt_vscnt null, 0x0
	global_atomic_cmpswap_b64 v[14:15], v9, v[12:15], s[2:3] offset:24 glc
	s_waitcnt vmcnt(0)
	v_cmp_ne_u64_e32 vcc_lo, v[14:15], v[16:17]
	s_and_b32 exec_lo, exec_lo, vcc_lo
	s_cbranch_execz .LBB71_2
; %bb.83:                               ;   in Loop: Header=BB71_3 Depth=1
	s_mov_b32 s0, 0
.LBB71_84:                              ;   Parent Loop BB71_3 Depth=1
                                        ; =>  This Inner Loop Header: Depth=2
	s_sleep 1
	global_store_b64 v[2:3], v[14:15], off
	s_waitcnt_vscnt null, 0x0
	global_atomic_cmpswap_b64 v[16:17], v9, v[12:15], s[2:3] offset:24 glc
	s_waitcnt vmcnt(0)
	v_cmp_eq_u64_e32 vcc_lo, v[16:17], v[14:15]
	v_dual_mov_b32 v14, v16 :: v_dual_mov_b32 v15, v17
	s_or_b32 s0, vcc_lo, s0
	s_delay_alu instid0(SALU_CYCLE_1)
	s_and_not1_b32 exec_lo, exec_lo, s0
	s_cbranch_execnz .LBB71_84
	s_branch .LBB71_2
.LBB71_85:
	s_or_b32 exec_lo, exec_lo, s11
                                        ; implicit-def: $vgpr3
                                        ; implicit-def: $vgpr32
.LBB71_86:
	s_and_not1_saveexec_b32 s1, s10
	s_cbranch_execz .LBB71_108
; %bb.87:
	s_load_b64 s[2:3], s[8:9], 0x50
	v_readfirstlane_b32 s0, v32
	v_mov_b32_e32 v8, 0
	v_mov_b32_e32 v9, 0
	s_delay_alu instid0(VALU_DEP_3) | instskip(NEXT) | instid1(VALU_DEP_1)
	v_cmp_eq_u32_e64 s0, s0, v32
	s_and_saveexec_b32 s4, s0
	s_cbranch_execz .LBB71_93
; %bb.88:
	s_waitcnt vmcnt(0)
	v_mov_b32_e32 v0, 0
	s_mov_b32 s5, exec_lo
	s_waitcnt lgkmcnt(0)
	global_load_b64 v[6:7], v0, s[2:3] offset:24 glc
	s_waitcnt vmcnt(0)
	buffer_gl1_inv
	buffer_gl0_inv
	s_clause 0x1
	global_load_b64 v[4:5], v0, s[2:3] offset:40
	global_load_b64 v[8:9], v0, s[2:3]
	s_waitcnt vmcnt(1)
	v_and_b32_e32 v2, v5, v7
	v_and_b32_e32 v4, v4, v6
	s_delay_alu instid0(VALU_DEP_2) | instskip(NEXT) | instid1(VALU_DEP_2)
	v_mul_lo_u32 v2, v2, 24
	v_mul_hi_u32 v5, v4, 24
	v_mul_lo_u32 v4, v4, 24
	s_delay_alu instid0(VALU_DEP_2) | instskip(SKIP_1) | instid1(VALU_DEP_2)
	v_add_nc_u32_e32 v2, v5, v2
	s_waitcnt vmcnt(0)
	v_add_co_u32 v4, vcc_lo, v8, v4
	s_delay_alu instid0(VALU_DEP_2)
	v_add_co_ci_u32_e32 v5, vcc_lo, v9, v2, vcc_lo
	global_load_b64 v[4:5], v[4:5], off glc
	s_waitcnt vmcnt(0)
	global_atomic_cmpswap_b64 v[8:9], v0, v[4:7], s[2:3] offset:24 glc
	s_waitcnt vmcnt(0)
	buffer_gl1_inv
	buffer_gl0_inv
	v_cmpx_ne_u64_e64 v[8:9], v[6:7]
	s_cbranch_execz .LBB71_92
; %bb.89:
	s_mov_b32 s6, 0
	.p2align	6
.LBB71_90:                              ; =>This Inner Loop Header: Depth=1
	s_sleep 1
	s_clause 0x1
	global_load_b64 v[4:5], v0, s[2:3] offset:40
	global_load_b64 v[10:11], v0, s[2:3]
	v_dual_mov_b32 v6, v8 :: v_dual_mov_b32 v7, v9
	s_waitcnt vmcnt(1)
	s_delay_alu instid0(VALU_DEP_1) | instskip(SKIP_1) | instid1(VALU_DEP_1)
	v_and_b32_e32 v2, v4, v6
	s_waitcnt vmcnt(0)
	v_mad_u64_u32 v[8:9], null, v2, 24, v[10:11]
	v_and_b32_e32 v10, v5, v7
	s_delay_alu instid0(VALU_DEP_2) | instskip(NEXT) | instid1(VALU_DEP_1)
	v_mov_b32_e32 v2, v9
	v_mad_u64_u32 v[4:5], null, v10, 24, v[2:3]
	s_delay_alu instid0(VALU_DEP_1)
	v_mov_b32_e32 v9, v4
	global_load_b64 v[4:5], v[8:9], off glc
	s_waitcnt vmcnt(0)
	global_atomic_cmpswap_b64 v[8:9], v0, v[4:7], s[2:3] offset:24 glc
	s_waitcnt vmcnt(0)
	buffer_gl1_inv
	buffer_gl0_inv
	v_cmp_eq_u64_e32 vcc_lo, v[8:9], v[6:7]
	s_or_b32 s6, vcc_lo, s6
	s_delay_alu instid0(SALU_CYCLE_1)
	s_and_not1_b32 exec_lo, exec_lo, s6
	s_cbranch_execnz .LBB71_90
; %bb.91:
	s_or_b32 exec_lo, exec_lo, s6
.LBB71_92:
	s_delay_alu instid0(SALU_CYCLE_1)
	s_or_b32 exec_lo, exec_lo, s5
.LBB71_93:
	s_delay_alu instid0(SALU_CYCLE_1)
	s_or_b32 exec_lo, exec_lo, s4
	s_waitcnt vmcnt(0)
	v_mov_b32_e32 v2, 0
	v_readfirstlane_b32 s4, v8
	v_readfirstlane_b32 s5, v9
	s_mov_b32 s8, exec_lo
	s_waitcnt lgkmcnt(0)
	s_clause 0x1
	global_load_b64 v[10:11], v2, s[2:3] offset:40
	global_load_b128 v[4:7], v2, s[2:3]
	s_waitcnt vmcnt(1)
	v_readfirstlane_b32 s6, v10
	v_readfirstlane_b32 s7, v11
	s_delay_alu instid0(VALU_DEP_1) | instskip(NEXT) | instid1(SALU_CYCLE_1)
	s_and_b64 s[6:7], s[4:5], s[6:7]
	s_mul_i32 s9, s7, 24
	s_mul_hi_u32 s10, s6, 24
	s_mul_i32 s11, s6, 24
	s_add_i32 s10, s10, s9
	s_waitcnt vmcnt(0)
	v_add_co_u32 v8, vcc_lo, v4, s11
	v_add_co_ci_u32_e32 v9, vcc_lo, s10, v5, vcc_lo
	s_and_saveexec_b32 s9, s0
	s_cbranch_execz .LBB71_95
; %bb.94:
	v_dual_mov_b32 v10, s8 :: v_dual_mov_b32 v11, v2
	v_dual_mov_b32 v12, 2 :: v_dual_mov_b32 v13, 1
	global_store_b128 v[8:9], v[10:13], off offset:8
.LBB71_95:
	s_or_b32 exec_lo, exec_lo, s9
	s_lshl_b64 s[6:7], s[6:7], 12
	v_lshlrev_b32_e32 v14, 6, v32
	v_add_co_u32 v6, vcc_lo, v6, s6
	v_add_co_ci_u32_e32 v7, vcc_lo, s7, v7, vcc_lo
	s_mov_b32 s8, 0
	v_and_or_b32 v0, 0xffffff1f, v3, 32
	v_mov_b32_e32 v3, v2
	v_readfirstlane_b32 s6, v6
	s_mov_b32 s11, s8
	v_add_co_u32 v6, vcc_lo, v6, v14
	s_mov_b32 s9, s8
	s_mov_b32 s10, s8
	v_readfirstlane_b32 s7, v7
	v_dual_mov_b32 v13, s11 :: v_dual_mov_b32 v12, s10
	v_add_co_ci_u32_e32 v7, vcc_lo, 0, v7, vcc_lo
	v_dual_mov_b32 v11, s9 :: v_dual_mov_b32 v10, s8
	s_clause 0x3
	global_store_b128 v14, v[0:3], s[6:7]
	global_store_b128 v14, v[10:13], s[6:7] offset:16
	global_store_b128 v14, v[10:13], s[6:7] offset:32
	global_store_b128 v14, v[10:13], s[6:7] offset:48
	s_and_saveexec_b32 s6, s0
	s_cbranch_execz .LBB71_102
; %bb.96:
	v_mov_b32_e32 v10, 0
	s_mov_b32 s7, exec_lo
	s_clause 0x1
	global_load_b64 v[13:14], v10, s[2:3] offset:32 glc
	global_load_b64 v[0:1], v10, s[2:3] offset:40
	v_dual_mov_b32 v11, s4 :: v_dual_mov_b32 v12, s5
	s_waitcnt vmcnt(0)
	v_and_b32_e32 v1, s5, v1
	v_and_b32_e32 v0, s4, v0
	s_delay_alu instid0(VALU_DEP_2) | instskip(NEXT) | instid1(VALU_DEP_2)
	v_mul_lo_u32 v1, v1, 24
	v_mul_hi_u32 v2, v0, 24
	v_mul_lo_u32 v0, v0, 24
	s_delay_alu instid0(VALU_DEP_2) | instskip(NEXT) | instid1(VALU_DEP_2)
	v_add_nc_u32_e32 v1, v2, v1
	v_add_co_u32 v4, vcc_lo, v4, v0
	s_delay_alu instid0(VALU_DEP_2)
	v_add_co_ci_u32_e32 v5, vcc_lo, v5, v1, vcc_lo
	global_store_b64 v[4:5], v[13:14], off
	s_waitcnt_vscnt null, 0x0
	global_atomic_cmpswap_b64 v[2:3], v10, v[11:14], s[2:3] offset:32 glc
	s_waitcnt vmcnt(0)
	v_cmpx_ne_u64_e64 v[2:3], v[13:14]
	s_cbranch_execz .LBB71_98
.LBB71_97:                              ; =>This Inner Loop Header: Depth=1
	v_dual_mov_b32 v0, s4 :: v_dual_mov_b32 v1, s5
	s_sleep 1
	global_store_b64 v[4:5], v[2:3], off
	s_waitcnt_vscnt null, 0x0
	global_atomic_cmpswap_b64 v[0:1], v10, v[0:3], s[2:3] offset:32 glc
	s_waitcnt vmcnt(0)
	v_cmp_eq_u64_e32 vcc_lo, v[0:1], v[2:3]
	v_dual_mov_b32 v3, v1 :: v_dual_mov_b32 v2, v0
	s_or_b32 s8, vcc_lo, s8
	s_delay_alu instid0(SALU_CYCLE_1)
	s_and_not1_b32 exec_lo, exec_lo, s8
	s_cbranch_execnz .LBB71_97
.LBB71_98:
	s_or_b32 exec_lo, exec_lo, s7
	v_mov_b32_e32 v3, 0
	s_mov_b32 s8, exec_lo
	s_mov_b32 s7, exec_lo
	v_mbcnt_lo_u32_b32 v2, s8, 0
	global_load_b64 v[0:1], v3, s[2:3] offset:16
	v_cmpx_eq_u32_e32 0, v2
	s_cbranch_execz .LBB71_100
; %bb.99:
	s_bcnt1_i32_b32 s8, s8
	s_delay_alu instid0(SALU_CYCLE_1)
	v_mov_b32_e32 v2, s8
	s_waitcnt vmcnt(0)
	global_atomic_add_u64 v[0:1], v[2:3], off offset:8
.LBB71_100:
	s_or_b32 exec_lo, exec_lo, s7
	s_waitcnt vmcnt(0)
	global_load_b64 v[2:3], v[0:1], off offset:16
	s_waitcnt vmcnt(0)
	v_cmp_eq_u64_e32 vcc_lo, 0, v[2:3]
	s_cbranch_vccnz .LBB71_102
; %bb.101:
	global_load_b32 v0, v[0:1], off offset:24
	s_waitcnt vmcnt(0)
	v_dual_mov_b32 v1, 0 :: v_dual_and_b32 v4, 0xffffff, v0
	s_waitcnt_vscnt null, 0x0
	global_store_b64 v[2:3], v[0:1], off
	v_readfirstlane_b32 m0, v4
	s_sendmsg sendmsg(MSG_INTERRUPT)
.LBB71_102:
	s_or_b32 exec_lo, exec_lo, s6
	s_branch .LBB71_106
	.p2align	6
.LBB71_103:                             ;   in Loop: Header=BB71_106 Depth=1
	s_or_b32 exec_lo, exec_lo, s6
	s_delay_alu instid0(VALU_DEP_1) | instskip(NEXT) | instid1(VALU_DEP_1)
	v_readfirstlane_b32 s6, v0
	s_cmp_eq_u32 s6, 0
	s_cbranch_scc1 .LBB71_105
; %bb.104:                              ;   in Loop: Header=BB71_106 Depth=1
	s_sleep 1
	s_cbranch_execnz .LBB71_106
	s_branch .LBB71_109
	.p2align	6
.LBB71_105:
	s_branch .LBB71_109
.LBB71_106:                             ; =>This Inner Loop Header: Depth=1
	v_mov_b32_e32 v0, 1
	s_and_saveexec_b32 s6, s0
	s_cbranch_execz .LBB71_103
; %bb.107:                              ;   in Loop: Header=BB71_106 Depth=1
	global_load_b32 v0, v[8:9], off offset:20 glc
	s_waitcnt vmcnt(0)
	buffer_gl1_inv
	buffer_gl0_inv
	v_and_b32_e32 v0, 1, v0
	s_branch .LBB71_103
.LBB71_108:
	s_or_b32 exec_lo, exec_lo, s1
	s_waitcnt vmcnt(0) lgkmcnt(0)
	s_setpc_b64 s[30:31]
.LBB71_109:
	global_load_b64 v[0:1], v[6:7], off
	s_and_saveexec_b32 s6, s0
	s_cbranch_execz .LBB71_113
; %bb.110:
	v_mov_b32_e32 v8, 0
	s_clause 0x2
	global_load_b64 v[4:5], v8, s[2:3] offset:40
	global_load_b64 v[9:10], v8, s[2:3] offset:24 glc
	global_load_b64 v[6:7], v8, s[2:3]
	s_waitcnt vmcnt(2)
	v_add_co_u32 v11, vcc_lo, v4, 1
	v_add_co_ci_u32_e32 v12, vcc_lo, 0, v5, vcc_lo
	s_delay_alu instid0(VALU_DEP_2) | instskip(NEXT) | instid1(VALU_DEP_2)
	v_add_co_u32 v2, vcc_lo, v11, s4
	v_add_co_ci_u32_e32 v3, vcc_lo, s5, v12, vcc_lo
	s_delay_alu instid0(VALU_DEP_1) | instskip(SKIP_1) | instid1(VALU_DEP_1)
	v_cmp_eq_u64_e32 vcc_lo, 0, v[2:3]
	v_dual_cndmask_b32 v3, v3, v12 :: v_dual_cndmask_b32 v2, v2, v11
	v_and_b32_e32 v5, v3, v5
	s_delay_alu instid0(VALU_DEP_2) | instskip(NEXT) | instid1(VALU_DEP_2)
	v_and_b32_e32 v4, v2, v4
	v_mul_lo_u32 v5, v5, 24
	s_delay_alu instid0(VALU_DEP_2) | instskip(SKIP_1) | instid1(VALU_DEP_2)
	v_mul_hi_u32 v11, v4, 24
	v_mul_lo_u32 v4, v4, 24
	v_add_nc_u32_e32 v5, v11, v5
	s_waitcnt vmcnt(0)
	s_delay_alu instid0(VALU_DEP_2) | instskip(SKIP_1) | instid1(VALU_DEP_3)
	v_add_co_u32 v6, vcc_lo, v6, v4
	v_mov_b32_e32 v4, v9
	v_add_co_ci_u32_e32 v7, vcc_lo, v7, v5, vcc_lo
	v_mov_b32_e32 v5, v10
	global_store_b64 v[6:7], v[9:10], off
	s_waitcnt_vscnt null, 0x0
	global_atomic_cmpswap_b64 v[4:5], v8, v[2:5], s[2:3] offset:24 glc
	s_waitcnt vmcnt(0)
	v_cmp_ne_u64_e32 vcc_lo, v[4:5], v[9:10]
	s_and_b32 exec_lo, exec_lo, vcc_lo
	s_cbranch_execz .LBB71_113
; %bb.111:
	s_mov_b32 s0, 0
.LBB71_112:                             ; =>This Inner Loop Header: Depth=1
	s_sleep 1
	global_store_b64 v[6:7], v[4:5], off
	s_waitcnt_vscnt null, 0x0
	global_atomic_cmpswap_b64 v[9:10], v8, v[2:5], s[2:3] offset:24 glc
	s_waitcnt vmcnt(0)
	v_cmp_eq_u64_e32 vcc_lo, v[9:10], v[4:5]
	v_dual_mov_b32 v4, v9 :: v_dual_mov_b32 v5, v10
	s_or_b32 s0, vcc_lo, s0
	s_delay_alu instid0(SALU_CYCLE_1)
	s_and_not1_b32 exec_lo, exec_lo, s0
	s_cbranch_execnz .LBB71_112
.LBB71_113:
	s_or_b32 exec_lo, exec_lo, s6
	s_delay_alu instid0(SALU_CYCLE_1)
	s_or_b32 exec_lo, exec_lo, s1
	s_waitcnt vmcnt(0) lgkmcnt(0)
	s_setpc_b64 s[30:31]
.Lfunc_end71:
	.size	__ockl_printf_append_string_n, .Lfunc_end71-__ockl_printf_append_string_n
                                        ; -- End function
	.section	.AMDGPU.csdata,"",@progbits
; Function info:
; codeLenInByte = 4760
; NumSgprs: 34
; NumVgprs: 36
; ScratchSize: 0
; MemoryBound: 0
	.text
	.p2align	2                               ; -- Begin function __ockl_printf_append_args
	.type	__ockl_printf_append_args,@function
__ockl_printf_append_args:              ; @__ockl_printf_append_args
; %bb.0:
	s_waitcnt vmcnt(0) expcnt(0) lgkmcnt(0)
	s_load_b64 s[2:3], s[8:9], 0x50
	v_mbcnt_lo_u32_b32 v15, -1, 0
	v_mov_b32_e32 v11, 0
	v_mov_b32_e32 v12, 0
	s_delay_alu instid0(VALU_DEP_3) | instskip(NEXT) | instid1(VALU_DEP_1)
	v_readfirstlane_b32 s0, v15
	v_cmp_eq_u32_e64 s0, s0, v15
	s_delay_alu instid0(VALU_DEP_1)
	s_and_saveexec_b32 s1, s0
	s_cbranch_execz .LBB72_6
; %bb.1:
	v_mov_b32_e32 v5, 0
	s_mov_b32 s4, exec_lo
	s_waitcnt lgkmcnt(0)
	global_load_b64 v[8:9], v5, s[2:3] offset:24 glc
	s_waitcnt vmcnt(0)
	buffer_gl1_inv
	buffer_gl0_inv
	s_clause 0x1
	global_load_b64 v[6:7], v5, s[2:3] offset:40
	global_load_b64 v[10:11], v5, s[2:3]
	s_waitcnt vmcnt(1)
	v_and_b32_e32 v6, v6, v8
	v_and_b32_e32 v7, v7, v9
	s_delay_alu instid0(VALU_DEP_2) | instskip(NEXT) | instid1(VALU_DEP_2)
	v_mul_hi_u32 v12, v6, 24
	v_mul_lo_u32 v7, v7, 24
	v_mul_lo_u32 v6, v6, 24
	s_delay_alu instid0(VALU_DEP_2) | instskip(SKIP_1) | instid1(VALU_DEP_2)
	v_add_nc_u32_e32 v7, v12, v7
	s_waitcnt vmcnt(0)
	v_add_co_u32 v6, vcc_lo, v10, v6
	s_delay_alu instid0(VALU_DEP_2)
	v_add_co_ci_u32_e32 v7, vcc_lo, v11, v7, vcc_lo
	global_load_b64 v[6:7], v[6:7], off glc
	s_waitcnt vmcnt(0)
	global_atomic_cmpswap_b64 v[11:12], v5, v[6:9], s[2:3] offset:24 glc
	s_waitcnt vmcnt(0)
	buffer_gl1_inv
	buffer_gl0_inv
	v_cmpx_ne_u64_e64 v[11:12], v[8:9]
	s_cbranch_execz .LBB72_5
; %bb.2:
	s_mov_b32 s5, 0
	.p2align	6
.LBB72_3:                               ; =>This Inner Loop Header: Depth=1
	s_sleep 1
	s_clause 0x1
	global_load_b64 v[6:7], v5, s[2:3] offset:40
	global_load_b64 v[13:14], v5, s[2:3]
	v_dual_mov_b32 v8, v11 :: v_dual_mov_b32 v9, v12
	s_waitcnt vmcnt(1)
	s_delay_alu instid0(VALU_DEP_1) | instskip(NEXT) | instid1(VALU_DEP_2)
	v_and_b32_e32 v6, v6, v8
	v_and_b32_e32 v7, v7, v9
	s_waitcnt vmcnt(0)
	s_delay_alu instid0(VALU_DEP_2) | instskip(NEXT) | instid1(VALU_DEP_1)
	v_mad_u64_u32 v[10:11], null, v6, 24, v[13:14]
	v_mov_b32_e32 v6, v11
	s_delay_alu instid0(VALU_DEP_1)
	v_mad_u64_u32 v[11:12], null, v7, 24, v[6:7]
	global_load_b64 v[6:7], v[10:11], off glc
	s_waitcnt vmcnt(0)
	global_atomic_cmpswap_b64 v[11:12], v5, v[6:9], s[2:3] offset:24 glc
	s_waitcnt vmcnt(0)
	buffer_gl1_inv
	buffer_gl0_inv
	v_cmp_eq_u64_e32 vcc_lo, v[11:12], v[8:9]
	s_or_b32 s5, vcc_lo, s5
	s_delay_alu instid0(SALU_CYCLE_1)
	s_and_not1_b32 exec_lo, exec_lo, s5
	s_cbranch_execnz .LBB72_3
; %bb.4:
	s_or_b32 exec_lo, exec_lo, s5
.LBB72_5:
	s_delay_alu instid0(SALU_CYCLE_1)
	s_or_b32 exec_lo, exec_lo, s4
.LBB72_6:
	s_delay_alu instid0(SALU_CYCLE_1)
	s_or_b32 exec_lo, exec_lo, s1
	v_mov_b32_e32 v10, 0
	v_readfirstlane_b32 s4, v11
	v_readfirstlane_b32 s5, v12
	s_mov_b32 s1, exec_lo
	s_waitcnt lgkmcnt(0)
	s_clause 0x1
	global_load_b64 v[13:14], v10, s[2:3] offset:40
	global_load_b128 v[5:8], v10, s[2:3]
	s_waitcnt vmcnt(1)
	v_readfirstlane_b32 s6, v13
	v_readfirstlane_b32 s7, v14
	s_delay_alu instid0(VALU_DEP_1) | instskip(NEXT) | instid1(SALU_CYCLE_1)
	s_and_b64 s[6:7], s[4:5], s[6:7]
	s_mul_i32 s8, s7, 24
	s_mul_hi_u32 s9, s6, 24
	s_mul_i32 s10, s6, 24
	s_add_i32 s9, s9, s8
	s_waitcnt vmcnt(0)
	v_add_co_u32 v13, vcc_lo, v5, s10
	v_add_co_ci_u32_e32 v14, vcc_lo, s9, v6, vcc_lo
	s_and_saveexec_b32 s8, s0
	s_cbranch_execz .LBB72_8
; %bb.7:
	v_dual_mov_b32 v9, s1 :: v_dual_mov_b32 v12, 1
	v_mov_b32_e32 v11, 2
	global_store_b128 v[13:14], v[9:12], off offset:8
.LBB72_8:
	s_or_b32 exec_lo, exec_lo, s8
	v_or_b32_e32 v9, 2, v0
	v_cmp_eq_u32_e32 vcc_lo, 0, v4
	s_lshl_b64 s[6:7], s[6:7], 12
	s_mov_b32 s8, 0
	v_lshlrev_b32_e32 v11, 6, v15
	s_mov_b32 s9, s8
	v_cndmask_b32_e32 v0, v9, v0, vcc_lo
	v_add_co_u32 v4, vcc_lo, v7, s6
	v_add_co_ci_u32_e32 v7, vcc_lo, s7, v8, vcc_lo
	s_mov_b32 s10, s8
	s_mov_b32 s11, s8
	v_and_or_b32 v0, 0xffffff1f, v0, 32
	v_readfirstlane_b32 s6, v4
	v_readfirstlane_b32 s7, v7
	v_dual_mov_b32 v7, s8 :: v_dual_mov_b32 v8, s9
	v_dual_mov_b32 v9, s10 :: v_dual_mov_b32 v10, s11
	s_clause 0x3
	global_store_b128 v11, v[0:3], s[6:7]
	global_store_b128 v11, v[7:10], s[6:7] offset:16
	global_store_b128 v11, v[7:10], s[6:7] offset:32
	;; [unrolled: 1-line block ×3, first 2 shown]
	s_and_saveexec_b32 s1, s0
	s_cbranch_execz .LBB72_16
; %bb.9:
	v_mov_b32_e32 v7, 0
	v_mov_b32_e32 v9, s5
	s_mov_b32 s6, exec_lo
	s_clause 0x1
	global_load_b64 v[10:11], v7, s[2:3] offset:32 glc
	global_load_b64 v[0:1], v7, s[2:3] offset:40
	v_mov_b32_e32 v8, s4
	s_waitcnt vmcnt(0)
	v_and_b32_e32 v0, s4, v0
	v_and_b32_e32 v1, s5, v1
	s_delay_alu instid0(VALU_DEP_2) | instskip(NEXT) | instid1(VALU_DEP_2)
	v_mul_hi_u32 v2, v0, 24
	v_mul_lo_u32 v1, v1, 24
	v_mul_lo_u32 v0, v0, 24
	s_delay_alu instid0(VALU_DEP_2) | instskip(NEXT) | instid1(VALU_DEP_2)
	v_add_nc_u32_e32 v1, v2, v1
	v_add_co_u32 v4, vcc_lo, v5, v0
	s_delay_alu instid0(VALU_DEP_2)
	v_add_co_ci_u32_e32 v5, vcc_lo, v6, v1, vcc_lo
	global_store_b64 v[4:5], v[10:11], off
	s_waitcnt_vscnt null, 0x0
	global_atomic_cmpswap_b64 v[2:3], v7, v[8:11], s[2:3] offset:32 glc
	s_waitcnt vmcnt(0)
	v_cmpx_ne_u64_e64 v[2:3], v[10:11]
	s_cbranch_execz .LBB72_12
; %bb.10:
	s_mov_b32 s7, 0
.LBB72_11:                              ; =>This Inner Loop Header: Depth=1
	v_dual_mov_b32 v0, s4 :: v_dual_mov_b32 v1, s5
	s_sleep 1
	global_store_b64 v[4:5], v[2:3], off
	s_waitcnt_vscnt null, 0x0
	global_atomic_cmpswap_b64 v[0:1], v7, v[0:3], s[2:3] offset:32 glc
	s_waitcnt vmcnt(0)
	v_cmp_eq_u64_e32 vcc_lo, v[0:1], v[2:3]
	v_dual_mov_b32 v3, v1 :: v_dual_mov_b32 v2, v0
	s_or_b32 s7, vcc_lo, s7
	s_delay_alu instid0(SALU_CYCLE_1)
	s_and_not1_b32 exec_lo, exec_lo, s7
	s_cbranch_execnz .LBB72_11
.LBB72_12:
	s_or_b32 exec_lo, exec_lo, s6
	v_mov_b32_e32 v3, 0
	s_mov_b32 s7, exec_lo
	s_mov_b32 s6, exec_lo
	v_mbcnt_lo_u32_b32 v2, s7, 0
	global_load_b64 v[0:1], v3, s[2:3] offset:16
	v_cmpx_eq_u32_e32 0, v2
	s_cbranch_execz .LBB72_14
; %bb.13:
	s_bcnt1_i32_b32 s7, s7
	s_delay_alu instid0(SALU_CYCLE_1)
	v_mov_b32_e32 v2, s7
	s_waitcnt vmcnt(0)
	global_atomic_add_u64 v[0:1], v[2:3], off offset:8
.LBB72_14:
	s_or_b32 exec_lo, exec_lo, s6
	s_waitcnt vmcnt(0)
	global_load_b64 v[2:3], v[0:1], off offset:16
	s_waitcnt vmcnt(0)
	v_cmp_eq_u64_e32 vcc_lo, 0, v[2:3]
	s_cbranch_vccnz .LBB72_16
; %bb.15:
	global_load_b32 v0, v[0:1], off offset:24
	s_waitcnt vmcnt(0)
	v_dual_mov_b32 v1, 0 :: v_dual_and_b32 v4, 0xffffff, v0
	s_waitcnt_vscnt null, 0x0
	global_store_b64 v[2:3], v[0:1], off
	v_readfirstlane_b32 m0, v4
	s_sendmsg sendmsg(MSG_INTERRUPT)
.LBB72_16:
	s_or_b32 exec_lo, exec_lo, s1
	s_branch .LBB72_20
	.p2align	6
.LBB72_17:                              ;   in Loop: Header=BB72_20 Depth=1
	s_or_b32 exec_lo, exec_lo, s1
	s_delay_alu instid0(VALU_DEP_1) | instskip(NEXT) | instid1(VALU_DEP_1)
	v_readfirstlane_b32 s1, v0
	s_cmp_eq_u32 s1, 0
	s_cbranch_scc1 .LBB72_19
; %bb.18:                               ;   in Loop: Header=BB72_20 Depth=1
	s_sleep 1
	s_cbranch_execnz .LBB72_20
	s_branch .LBB72_22
	.p2align	6
.LBB72_19:
	s_branch .LBB72_22
.LBB72_20:                              ; =>This Inner Loop Header: Depth=1
	v_mov_b32_e32 v0, 1
	s_and_saveexec_b32 s1, s0
	s_cbranch_execz .LBB72_17
; %bb.21:                               ;   in Loop: Header=BB72_20 Depth=1
	global_load_b32 v0, v[13:14], off offset:20 glc
	s_waitcnt vmcnt(0)
	buffer_gl1_inv
	buffer_gl0_inv
	v_and_b32_e32 v0, 1, v0
	s_branch .LBB72_17
.LBB72_22:
	s_and_saveexec_b32 s1, s0
	s_cbranch_execz .LBB72_26
; %bb.23:
	v_mov_b32_e32 v6, 0
	s_clause 0x2
	global_load_b64 v[2:3], v6, s[2:3] offset:40
	global_load_b64 v[7:8], v6, s[2:3] offset:24 glc
	global_load_b64 v[4:5], v6, s[2:3]
	s_waitcnt vmcnt(2)
	v_add_co_u32 v9, vcc_lo, v2, 1
	v_add_co_ci_u32_e32 v10, vcc_lo, 0, v3, vcc_lo
	s_delay_alu instid0(VALU_DEP_2) | instskip(NEXT) | instid1(VALU_DEP_2)
	v_add_co_u32 v0, vcc_lo, v9, s4
	v_add_co_ci_u32_e32 v1, vcc_lo, s5, v10, vcc_lo
	s_delay_alu instid0(VALU_DEP_1) | instskip(SKIP_1) | instid1(VALU_DEP_1)
	v_cmp_eq_u64_e32 vcc_lo, 0, v[0:1]
	v_dual_cndmask_b32 v1, v1, v10 :: v_dual_cndmask_b32 v0, v0, v9
	v_and_b32_e32 v3, v1, v3
	s_delay_alu instid0(VALU_DEP_2) | instskip(NEXT) | instid1(VALU_DEP_2)
	v_and_b32_e32 v2, v0, v2
	v_mul_lo_u32 v3, v3, 24
	s_delay_alu instid0(VALU_DEP_2) | instskip(SKIP_1) | instid1(VALU_DEP_2)
	v_mul_hi_u32 v9, v2, 24
	v_mul_lo_u32 v2, v2, 24
	v_add_nc_u32_e32 v3, v9, v3
	s_waitcnt vmcnt(0)
	s_delay_alu instid0(VALU_DEP_2) | instskip(SKIP_1) | instid1(VALU_DEP_3)
	v_add_co_u32 v4, vcc_lo, v4, v2
	v_mov_b32_e32 v2, v7
	v_add_co_ci_u32_e32 v5, vcc_lo, v5, v3, vcc_lo
	v_mov_b32_e32 v3, v8
	global_store_b64 v[4:5], v[7:8], off
	s_waitcnt_vscnt null, 0x0
	global_atomic_cmpswap_b64 v[2:3], v6, v[0:3], s[2:3] offset:24 glc
	s_waitcnt vmcnt(0)
	v_cmp_ne_u64_e32 vcc_lo, v[2:3], v[7:8]
	s_and_b32 exec_lo, exec_lo, vcc_lo
	s_cbranch_execz .LBB72_26
; %bb.24:
	s_mov_b32 s0, 0
.LBB72_25:                              ; =>This Inner Loop Header: Depth=1
	s_sleep 1
	global_store_b64 v[4:5], v[2:3], off
	s_waitcnt_vscnt null, 0x0
	global_atomic_cmpswap_b64 v[7:8], v6, v[0:3], s[2:3] offset:24 glc
	s_waitcnt vmcnt(0)
	v_cmp_eq_u64_e32 vcc_lo, v[7:8], v[2:3]
	v_dual_mov_b32 v2, v7 :: v_dual_mov_b32 v3, v8
	s_or_b32 s0, vcc_lo, s0
	s_delay_alu instid0(SALU_CYCLE_1)
	s_and_not1_b32 exec_lo, exec_lo, s0
	s_cbranch_execnz .LBB72_25
.LBB72_26:
	s_or_b32 exec_lo, exec_lo, s1
	s_waitcnt lgkmcnt(0)
	s_setpc_b64 s[30:31]
.Lfunc_end72:
	.size	__ockl_printf_append_args, .Lfunc_end72-__ockl_printf_append_args
                                        ; -- End function
	.section	.AMDGPU.csdata,"",@progbits
; Function info:
; codeLenInByte = 1352
; NumSgprs: 34
; NumVgprs: 16
; ScratchSize: 0
; MemoryBound: 0
	.text
	.p2align	2                               ; -- Begin function _ZL14no_device_codePKciS0_iS0_
	.type	_ZL14no_device_codePKciS0_iS0_,@function
_ZL14no_device_codePKciS0_iS0_:         ; @_ZL14no_device_codePKciS0_iS0_
; %bb.0:
	s_waitcnt vmcnt(0) expcnt(0) lgkmcnt(0)
	s_mov_b32 s20, s33
	s_mov_b32 s33, s32
	s_xor_saveexec_b32 s0, -1
	scratch_store_b32 off, v36, s33         ; 4-byte Folded Spill
	s_mov_b32 exec_lo, s0
	v_writelane_b32 v36, s30, 0
	s_add_i32 s32, s32, 16
	v_writelane_b32 v36, s31, 1
	s_load_b64 s[2:3], s[8:9], 0x50
	v_mbcnt_lo_u32_b32 v32, -1, 0
	v_mov_b32_e32 v6, 0
	v_mov_b32_e32 v7, 0
	s_delay_alu instid0(VALU_DEP_3) | instskip(NEXT) | instid1(VALU_DEP_1)
	v_readfirstlane_b32 s0, v32
	v_cmp_eq_u32_e64 s0, s0, v32
	s_delay_alu instid0(VALU_DEP_1)
	s_and_saveexec_b32 s1, s0
	s_cbranch_execz .LBB73_6
; %bb.1:
	v_mov_b32_e32 v0, 0
	s_mov_b32 s4, exec_lo
	s_waitcnt lgkmcnt(0)
	global_load_b64 v[3:4], v0, s[2:3] offset:24 glc
	s_waitcnt vmcnt(0)
	buffer_gl1_inv
	buffer_gl0_inv
	s_clause 0x1
	global_load_b64 v[1:2], v0, s[2:3] offset:40
	global_load_b64 v[5:6], v0, s[2:3]
	s_waitcnt vmcnt(1)
	v_and_b32_e32 v1, v1, v3
	v_and_b32_e32 v2, v2, v4
	s_delay_alu instid0(VALU_DEP_2) | instskip(NEXT) | instid1(VALU_DEP_2)
	v_mul_hi_u32 v7, v1, 24
	v_mul_lo_u32 v2, v2, 24
	v_mul_lo_u32 v1, v1, 24
	s_delay_alu instid0(VALU_DEP_2) | instskip(SKIP_1) | instid1(VALU_DEP_2)
	v_add_nc_u32_e32 v2, v7, v2
	s_waitcnt vmcnt(0)
	v_add_co_u32 v1, vcc_lo, v5, v1
	s_delay_alu instid0(VALU_DEP_2)
	v_add_co_ci_u32_e32 v2, vcc_lo, v6, v2, vcc_lo
	global_load_b64 v[1:2], v[1:2], off glc
	s_waitcnt vmcnt(0)
	global_atomic_cmpswap_b64 v[6:7], v0, v[1:4], s[2:3] offset:24 glc
	s_waitcnt vmcnt(0)
	buffer_gl1_inv
	buffer_gl0_inv
	v_cmpx_ne_u64_e64 v[6:7], v[3:4]
	s_cbranch_execz .LBB73_5
; %bb.2:
	s_mov_b32 s5, 0
	.p2align	6
.LBB73_3:                               ; =>This Inner Loop Header: Depth=1
	s_sleep 1
	s_clause 0x1
	global_load_b64 v[1:2], v0, s[2:3] offset:40
	global_load_b64 v[8:9], v0, s[2:3]
	v_dual_mov_b32 v3, v6 :: v_dual_mov_b32 v4, v7
	s_waitcnt vmcnt(1)
	s_delay_alu instid0(VALU_DEP_1) | instskip(NEXT) | instid1(VALU_DEP_2)
	v_and_b32_e32 v1, v1, v3
	v_and_b32_e32 v2, v2, v4
	s_waitcnt vmcnt(0)
	s_delay_alu instid0(VALU_DEP_2) | instskip(NEXT) | instid1(VALU_DEP_1)
	v_mad_u64_u32 v[5:6], null, v1, 24, v[8:9]
	v_mov_b32_e32 v1, v6
	s_delay_alu instid0(VALU_DEP_1)
	v_mad_u64_u32 v[6:7], null, v2, 24, v[1:2]
	global_load_b64 v[1:2], v[5:6], off glc
	s_waitcnt vmcnt(0)
	global_atomic_cmpswap_b64 v[6:7], v0, v[1:4], s[2:3] offset:24 glc
	s_waitcnt vmcnt(0)
	buffer_gl1_inv
	buffer_gl0_inv
	v_cmp_eq_u64_e32 vcc_lo, v[6:7], v[3:4]
	s_or_b32 s5, vcc_lo, s5
	s_delay_alu instid0(SALU_CYCLE_1)
	s_and_not1_b32 exec_lo, exec_lo, s5
	s_cbranch_execnz .LBB73_3
; %bb.4:
	s_or_b32 exec_lo, exec_lo, s5
.LBB73_5:
	s_delay_alu instid0(SALU_CYCLE_1)
	s_or_b32 exec_lo, exec_lo, s4
.LBB73_6:
	s_delay_alu instid0(SALU_CYCLE_1)
	s_or_b32 exec_lo, exec_lo, s1
	v_mov_b32_e32 v5, 0
	v_readfirstlane_b32 s4, v6
	v_readfirstlane_b32 s5, v7
	s_mov_b32 s1, exec_lo
	s_waitcnt lgkmcnt(0)
	s_clause 0x1
	global_load_b64 v[8:9], v5, s[2:3] offset:40
	global_load_b128 v[0:3], v5, s[2:3]
	s_waitcnt vmcnt(1)
	v_readfirstlane_b32 s6, v8
	v_readfirstlane_b32 s7, v9
	s_delay_alu instid0(VALU_DEP_1) | instskip(NEXT) | instid1(SALU_CYCLE_1)
	s_and_b64 s[6:7], s[4:5], s[6:7]
	s_mul_i32 s10, s7, 24
	s_mul_hi_u32 s11, s6, 24
	s_mul_i32 s12, s6, 24
	s_add_i32 s11, s11, s10
	s_waitcnt vmcnt(0)
	v_add_co_u32 v8, vcc_lo, v0, s12
	v_add_co_ci_u32_e32 v9, vcc_lo, s11, v1, vcc_lo
	s_and_saveexec_b32 s10, s0
	s_cbranch_execz .LBB73_8
; %bb.7:
	v_dual_mov_b32 v4, s1 :: v_dual_mov_b32 v7, 1
	v_mov_b32_e32 v6, 2
	global_store_b128 v[8:9], v[4:7], off offset:8
.LBB73_8:
	s_or_b32 exec_lo, exec_lo, s10
	s_lshl_b64 s[6:7], s[6:7], 12
	v_dual_mov_b32 v4, 33 :: v_dual_lshlrev_b32 v31, 6, v32
	v_add_co_u32 v2, vcc_lo, v2, s6
	v_add_co_ci_u32_e32 v3, vcc_lo, s7, v3, vcc_lo
	s_mov_b32 s12, 0
	s_delay_alu instid0(VALU_DEP_2)
	v_add_co_u32 v10, vcc_lo, v2, v31
	s_mov_b32 s13, s12
	s_mov_b32 s14, s12
	;; [unrolled: 1-line block ×3, first 2 shown]
	v_mov_b32_e32 v6, v5
	v_dual_mov_b32 v7, v5 :: v_dual_mov_b32 v12, s12
	v_readfirstlane_b32 s6, v2
	v_readfirstlane_b32 s7, v3
	v_add_co_ci_u32_e32 v11, vcc_lo, 0, v3, vcc_lo
	v_dual_mov_b32 v13, s13 :: v_dual_mov_b32 v14, s14
	v_mov_b32_e32 v15, s15
	s_clause 0x3
	global_store_b128 v31, v[4:7], s[6:7]
	global_store_b128 v31, v[12:15], s[6:7] offset:16
	global_store_b128 v31, v[12:15], s[6:7] offset:32
	global_store_b128 v31, v[12:15], s[6:7] offset:48
	s_and_saveexec_b32 s1, s0
	s_cbranch_execz .LBB73_16
; %bb.9:
	v_mov_b32_e32 v6, 0
	s_mov_b32 s6, exec_lo
	s_clause 0x1
	global_load_b64 v[14:15], v6, s[2:3] offset:32 glc
	global_load_b64 v[2:3], v6, s[2:3] offset:40
	v_dual_mov_b32 v13, s5 :: v_dual_mov_b32 v12, s4
	s_waitcnt vmcnt(0)
	v_and_b32_e32 v3, s5, v3
	v_and_b32_e32 v2, s4, v2
	s_delay_alu instid0(VALU_DEP_2) | instskip(NEXT) | instid1(VALU_DEP_2)
	v_mul_lo_u32 v3, v3, 24
	v_mul_hi_u32 v4, v2, 24
	v_mul_lo_u32 v2, v2, 24
	s_delay_alu instid0(VALU_DEP_2) | instskip(NEXT) | instid1(VALU_DEP_2)
	v_add_nc_u32_e32 v3, v4, v3
	v_add_co_u32 v4, vcc_lo, v0, v2
	s_delay_alu instid0(VALU_DEP_2)
	v_add_co_ci_u32_e32 v5, vcc_lo, v1, v3, vcc_lo
	global_store_b64 v[4:5], v[14:15], off
	s_waitcnt_vscnt null, 0x0
	global_atomic_cmpswap_b64 v[2:3], v6, v[12:15], s[2:3] offset:32 glc
	s_waitcnt vmcnt(0)
	v_cmpx_ne_u64_e64 v[2:3], v[14:15]
	s_cbranch_execz .LBB73_12
; %bb.10:
	s_mov_b32 s7, 0
.LBB73_11:                              ; =>This Inner Loop Header: Depth=1
	v_dual_mov_b32 v0, s4 :: v_dual_mov_b32 v1, s5
	s_sleep 1
	global_store_b64 v[4:5], v[2:3], off
	s_waitcnt_vscnt null, 0x0
	global_atomic_cmpswap_b64 v[0:1], v6, v[0:3], s[2:3] offset:32 glc
	s_waitcnt vmcnt(0)
	v_cmp_eq_u64_e32 vcc_lo, v[0:1], v[2:3]
	v_dual_mov_b32 v3, v1 :: v_dual_mov_b32 v2, v0
	s_or_b32 s7, vcc_lo, s7
	s_delay_alu instid0(SALU_CYCLE_1)
	s_and_not1_b32 exec_lo, exec_lo, s7
	s_cbranch_execnz .LBB73_11
.LBB73_12:
	s_or_b32 exec_lo, exec_lo, s6
	v_mov_b32_e32 v3, 0
	s_mov_b32 s7, exec_lo
	s_mov_b32 s6, exec_lo
	v_mbcnt_lo_u32_b32 v2, s7, 0
	global_load_b64 v[0:1], v3, s[2:3] offset:16
	v_cmpx_eq_u32_e32 0, v2
	s_cbranch_execz .LBB73_14
; %bb.13:
	s_bcnt1_i32_b32 s7, s7
	s_delay_alu instid0(SALU_CYCLE_1)
	v_mov_b32_e32 v2, s7
	s_waitcnt vmcnt(0)
	global_atomic_add_u64 v[0:1], v[2:3], off offset:8
.LBB73_14:
	s_or_b32 exec_lo, exec_lo, s6
	s_waitcnt vmcnt(0)
	global_load_b64 v[2:3], v[0:1], off offset:16
	s_waitcnt vmcnt(0)
	v_cmp_eq_u64_e32 vcc_lo, 0, v[2:3]
	s_cbranch_vccnz .LBB73_16
; %bb.15:
	global_load_b32 v0, v[0:1], off offset:24
	s_waitcnt vmcnt(0)
	v_dual_mov_b32 v1, 0 :: v_dual_and_b32 v4, 0xffffff, v0
	s_waitcnt_vscnt null, 0x0
	global_store_b64 v[2:3], v[0:1], off
	v_readfirstlane_b32 m0, v4
	s_sendmsg sendmsg(MSG_INTERRUPT)
.LBB73_16:
	s_or_b32 exec_lo, exec_lo, s1
	s_branch .LBB73_20
	.p2align	6
.LBB73_17:                              ;   in Loop: Header=BB73_20 Depth=1
	s_or_b32 exec_lo, exec_lo, s1
	s_delay_alu instid0(VALU_DEP_1) | instskip(NEXT) | instid1(VALU_DEP_1)
	v_readfirstlane_b32 s1, v0
	s_cmp_eq_u32 s1, 0
	s_cbranch_scc1 .LBB73_19
; %bb.18:                               ;   in Loop: Header=BB73_20 Depth=1
	s_sleep 1
	s_cbranch_execnz .LBB73_20
	s_branch .LBB73_22
	.p2align	6
.LBB73_19:
	s_branch .LBB73_22
.LBB73_20:                              ; =>This Inner Loop Header: Depth=1
	v_mov_b32_e32 v0, 1
	s_and_saveexec_b32 s1, s0
	s_cbranch_execz .LBB73_17
; %bb.21:                               ;   in Loop: Header=BB73_20 Depth=1
	global_load_b32 v0, v[8:9], off offset:20 glc
	s_waitcnt vmcnt(0)
	buffer_gl1_inv
	buffer_gl0_inv
	v_and_b32_e32 v0, 1, v0
	s_branch .LBB73_17
.LBB73_22:
	global_load_b64 v[4:5], v[10:11], off
	s_and_saveexec_b32 s1, s0
	s_cbranch_execz .LBB73_26
; %bb.23:
	v_mov_b32_e32 v8, 0
	s_clause 0x2
	global_load_b64 v[2:3], v8, s[2:3] offset:40
	global_load_b64 v[9:10], v8, s[2:3] offset:24 glc
	global_load_b64 v[6:7], v8, s[2:3]
	s_waitcnt vmcnt(2)
	v_add_co_u32 v11, vcc_lo, v2, 1
	v_add_co_ci_u32_e32 v12, vcc_lo, 0, v3, vcc_lo
	s_delay_alu instid0(VALU_DEP_2) | instskip(NEXT) | instid1(VALU_DEP_2)
	v_add_co_u32 v0, vcc_lo, v11, s4
	v_add_co_ci_u32_e32 v1, vcc_lo, s5, v12, vcc_lo
	s_delay_alu instid0(VALU_DEP_1) | instskip(SKIP_1) | instid1(VALU_DEP_1)
	v_cmp_eq_u64_e32 vcc_lo, 0, v[0:1]
	v_dual_cndmask_b32 v1, v1, v12 :: v_dual_cndmask_b32 v0, v0, v11
	v_and_b32_e32 v3, v1, v3
	s_delay_alu instid0(VALU_DEP_2) | instskip(NEXT) | instid1(VALU_DEP_2)
	v_and_b32_e32 v2, v0, v2
	v_mul_lo_u32 v3, v3, 24
	s_delay_alu instid0(VALU_DEP_2) | instskip(SKIP_1) | instid1(VALU_DEP_2)
	v_mul_hi_u32 v11, v2, 24
	v_mul_lo_u32 v2, v2, 24
	v_add_nc_u32_e32 v3, v11, v3
	s_waitcnt vmcnt(0)
	s_delay_alu instid0(VALU_DEP_2) | instskip(SKIP_1) | instid1(VALU_DEP_3)
	v_add_co_u32 v6, vcc_lo, v6, v2
	v_mov_b32_e32 v2, v9
	v_add_co_ci_u32_e32 v7, vcc_lo, v7, v3, vcc_lo
	v_mov_b32_e32 v3, v10
	global_store_b64 v[6:7], v[9:10], off
	s_waitcnt_vscnt null, 0x0
	global_atomic_cmpswap_b64 v[2:3], v8, v[0:3], s[2:3] offset:24 glc
	s_waitcnt vmcnt(0)
	v_cmp_ne_u64_e32 vcc_lo, v[2:3], v[9:10]
	s_and_b32 exec_lo, exec_lo, vcc_lo
	s_cbranch_execz .LBB73_26
; %bb.24:
	s_mov_b32 s0, 0
.LBB73_25:                              ; =>This Inner Loop Header: Depth=1
	s_sleep 1
	global_store_b64 v[6:7], v[2:3], off
	s_waitcnt_vscnt null, 0x0
	global_atomic_cmpswap_b64 v[9:10], v8, v[0:3], s[2:3] offset:24 glc
	s_waitcnt vmcnt(0)
	v_cmp_eq_u64_e32 vcc_lo, v[9:10], v[2:3]
	v_dual_mov_b32 v2, v9 :: v_dual_mov_b32 v3, v10
	s_or_b32 s0, vcc_lo, s0
	s_delay_alu instid0(SALU_CYCLE_1)
	s_and_not1_b32 exec_lo, exec_lo, s0
	s_cbranch_execnz .LBB73_25
.LBB73_26:
	s_or_b32 exec_lo, exec_lo, s1
	s_getpc_b64 s[4:5]
	s_add_u32 s4, s4, .str.3@rel32@lo+4
	s_addc_u32 s5, s5, .str.3@rel32@hi+12
	s_delay_alu instid0(SALU_CYCLE_1)
	s_cmp_lg_u64 s[4:5], 0
	s_cbranch_scc0 .LBB73_104
; %bb.27:
	s_waitcnt vmcnt(0)
	v_dual_mov_b32 v7, 0 :: v_dual_and_b32 v28, 2, v4
	v_dual_mov_b32 v1, v5 :: v_dual_and_b32 v0, -3, v4
	v_dual_mov_b32 v8, 2 :: v_dual_mov_b32 v9, 1
	s_mov_b64 s[6:7], 0x4d
	s_branch .LBB73_29
.LBB73_28:                              ;   in Loop: Header=BB73_29 Depth=1
	s_or_b32 exec_lo, exec_lo, s1
	s_sub_u32 s6, s6, s10
	s_subb_u32 s7, s7, s11
	s_add_u32 s4, s4, s10
	s_addc_u32 s5, s5, s11
	s_cmp_lg_u64 s[6:7], 0
	s_cbranch_scc0 .LBB73_105
.LBB73_29:                              ; =>This Loop Header: Depth=1
                                        ;     Child Loop BB73_38 Depth 2
                                        ;     Child Loop BB73_34 Depth 2
	;; [unrolled: 1-line block ×11, first 2 shown]
	v_cmp_lt_u64_e64 s0, s[6:7], 56
	v_cmp_gt_u64_e64 s1, s[6:7], 7
                                        ; implicit-def: $vgpr2_vgpr3
                                        ; implicit-def: $sgpr16
	s_delay_alu instid0(VALU_DEP_2) | instskip(SKIP_2) | instid1(VALU_DEP_1)
	s_and_b32 s0, s0, exec_lo
	s_cselect_b32 s11, s7, 0
	s_cselect_b32 s10, s6, 56
	s_and_b32 vcc_lo, exec_lo, s1
	s_mov_b32 s0, -1
	s_cbranch_vccz .LBB73_36
; %bb.30:                               ;   in Loop: Header=BB73_29 Depth=1
	s_and_not1_b32 vcc_lo, exec_lo, s0
	s_mov_b64 s[0:1], s[4:5]
	s_cbranch_vccz .LBB73_40
.LBB73_31:                              ;   in Loop: Header=BB73_29 Depth=1
	s_cmp_gt_u32 s16, 7
	s_cbranch_scc1 .LBB73_41
.LBB73_32:                              ;   in Loop: Header=BB73_29 Depth=1
	v_mov_b32_e32 v10, 0
	v_mov_b32_e32 v11, 0
	s_cmp_eq_u32 s16, 0
	s_cbranch_scc1 .LBB73_35
; %bb.33:                               ;   in Loop: Header=BB73_29 Depth=1
	s_mov_b64 s[12:13], 0
	s_mov_b64 s[14:15], 0
.LBB73_34:                              ;   Parent Loop BB73_29 Depth=1
                                        ; =>  This Inner Loop Header: Depth=2
	s_delay_alu instid0(SALU_CYCLE_1)
	s_add_u32 s18, s0, s14
	s_addc_u32 s19, s1, s15
	s_add_u32 s14, s14, 1
	global_load_u8 v6, v7, s[18:19]
	s_addc_u32 s15, s15, 0
	s_waitcnt vmcnt(0)
	v_and_b32_e32 v6, 0xffff, v6
	s_delay_alu instid0(VALU_DEP_1) | instskip(SKIP_3) | instid1(VALU_DEP_1)
	v_lshlrev_b64 v[12:13], s12, v[6:7]
	s_add_u32 s12, s12, 8
	s_addc_u32 s13, s13, 0
	s_cmp_lg_u32 s16, s14
	v_or_b32_e32 v10, v12, v10
	s_delay_alu instid0(VALU_DEP_2)
	v_or_b32_e32 v11, v13, v11
	s_cbranch_scc1 .LBB73_34
.LBB73_35:                              ;   in Loop: Header=BB73_29 Depth=1
	s_mov_b32 s17, 0
	s_cbranch_execz .LBB73_42
	s_branch .LBB73_43
.LBB73_36:                              ;   in Loop: Header=BB73_29 Depth=1
	s_waitcnt vmcnt(0)
	v_mov_b32_e32 v2, 0
	v_mov_b32_e32 v3, 0
	s_cmp_eq_u64 s[6:7], 0
	s_mov_b64 s[0:1], 0
	s_cbranch_scc1 .LBB73_39
; %bb.37:                               ;   in Loop: Header=BB73_29 Depth=1
	v_mov_b32_e32 v2, 0
	v_mov_b32_e32 v3, 0
	s_lshl_b64 s[12:13], s[10:11], 3
	s_mov_b64 s[14:15], s[4:5]
.LBB73_38:                              ;   Parent Loop BB73_29 Depth=1
                                        ; =>  This Inner Loop Header: Depth=2
	global_load_u8 v6, v7, s[14:15]
	s_waitcnt vmcnt(0)
	v_and_b32_e32 v6, 0xffff, v6
	s_delay_alu instid0(VALU_DEP_1)
	v_lshlrev_b64 v[10:11], s0, v[6:7]
	s_add_u32 s0, s0, 8
	s_addc_u32 s1, s1, 0
	s_add_u32 s14, s14, 1
	s_addc_u32 s15, s15, 0
	s_cmp_lg_u32 s12, s0
	v_or_b32_e32 v2, v10, v2
	v_or_b32_e32 v3, v11, v3
	s_cbranch_scc1 .LBB73_38
.LBB73_39:                              ;   in Loop: Header=BB73_29 Depth=1
	s_mov_b32 s16, 0
	s_mov_b64 s[0:1], s[4:5]
	s_cbranch_execnz .LBB73_31
.LBB73_40:                              ;   in Loop: Header=BB73_29 Depth=1
	global_load_b64 v[2:3], v7, s[4:5]
	s_add_i32 s16, s10, -8
	s_add_u32 s0, s4, 8
	s_addc_u32 s1, s5, 0
	s_cmp_gt_u32 s16, 7
	s_cbranch_scc0 .LBB73_32
.LBB73_41:                              ;   in Loop: Header=BB73_29 Depth=1
                                        ; implicit-def: $vgpr10_vgpr11
                                        ; implicit-def: $sgpr17
.LBB73_42:                              ;   in Loop: Header=BB73_29 Depth=1
	global_load_b64 v[10:11], v7, s[0:1]
	s_add_i32 s17, s16, -8
	s_add_u32 s0, s0, 8
	s_addc_u32 s1, s1, 0
.LBB73_43:                              ;   in Loop: Header=BB73_29 Depth=1
	s_cmp_gt_u32 s17, 7
	s_cbranch_scc1 .LBB73_48
; %bb.44:                               ;   in Loop: Header=BB73_29 Depth=1
	v_mov_b32_e32 v12, 0
	v_mov_b32_e32 v13, 0
	s_cmp_eq_u32 s17, 0
	s_cbranch_scc1 .LBB73_47
; %bb.45:                               ;   in Loop: Header=BB73_29 Depth=1
	s_mov_b64 s[12:13], 0
	s_mov_b64 s[14:15], 0
.LBB73_46:                              ;   Parent Loop BB73_29 Depth=1
                                        ; =>  This Inner Loop Header: Depth=2
	s_delay_alu instid0(SALU_CYCLE_1)
	s_add_u32 s18, s0, s14
	s_addc_u32 s19, s1, s15
	s_add_u32 s14, s14, 1
	global_load_u8 v6, v7, s[18:19]
	s_addc_u32 s15, s15, 0
	s_waitcnt vmcnt(0)
	v_and_b32_e32 v6, 0xffff, v6
	s_delay_alu instid0(VALU_DEP_1) | instskip(SKIP_3) | instid1(VALU_DEP_1)
	v_lshlrev_b64 v[14:15], s12, v[6:7]
	s_add_u32 s12, s12, 8
	s_addc_u32 s13, s13, 0
	s_cmp_lg_u32 s17, s14
	v_or_b32_e32 v12, v14, v12
	s_delay_alu instid0(VALU_DEP_2)
	v_or_b32_e32 v13, v15, v13
	s_cbranch_scc1 .LBB73_46
.LBB73_47:                              ;   in Loop: Header=BB73_29 Depth=1
	s_mov_b32 s16, 0
	s_cbranch_execz .LBB73_49
	s_branch .LBB73_50
.LBB73_48:                              ;   in Loop: Header=BB73_29 Depth=1
                                        ; implicit-def: $sgpr16
.LBB73_49:                              ;   in Loop: Header=BB73_29 Depth=1
	global_load_b64 v[12:13], v7, s[0:1]
	s_add_i32 s16, s17, -8
	s_add_u32 s0, s0, 8
	s_addc_u32 s1, s1, 0
.LBB73_50:                              ;   in Loop: Header=BB73_29 Depth=1
	s_cmp_gt_u32 s16, 7
	s_cbranch_scc1 .LBB73_55
; %bb.51:                               ;   in Loop: Header=BB73_29 Depth=1
	v_mov_b32_e32 v14, 0
	v_mov_b32_e32 v15, 0
	s_cmp_eq_u32 s16, 0
	s_cbranch_scc1 .LBB73_54
; %bb.52:                               ;   in Loop: Header=BB73_29 Depth=1
	s_mov_b64 s[12:13], 0
	s_mov_b64 s[14:15], 0
.LBB73_53:                              ;   Parent Loop BB73_29 Depth=1
                                        ; =>  This Inner Loop Header: Depth=2
	s_delay_alu instid0(SALU_CYCLE_1)
	s_add_u32 s18, s0, s14
	s_addc_u32 s19, s1, s15
	s_add_u32 s14, s14, 1
	global_load_u8 v6, v7, s[18:19]
	s_addc_u32 s15, s15, 0
	s_waitcnt vmcnt(0)
	v_and_b32_e32 v6, 0xffff, v6
	s_delay_alu instid0(VALU_DEP_1) | instskip(SKIP_3) | instid1(VALU_DEP_1)
	v_lshlrev_b64 v[16:17], s12, v[6:7]
	s_add_u32 s12, s12, 8
	s_addc_u32 s13, s13, 0
	s_cmp_lg_u32 s16, s14
	v_or_b32_e32 v14, v16, v14
	s_delay_alu instid0(VALU_DEP_2)
	v_or_b32_e32 v15, v17, v15
	s_cbranch_scc1 .LBB73_53
.LBB73_54:                              ;   in Loop: Header=BB73_29 Depth=1
	s_mov_b32 s17, 0
	s_cbranch_execz .LBB73_56
	s_branch .LBB73_57
.LBB73_55:                              ;   in Loop: Header=BB73_29 Depth=1
                                        ; implicit-def: $vgpr14_vgpr15
                                        ; implicit-def: $sgpr17
.LBB73_56:                              ;   in Loop: Header=BB73_29 Depth=1
	global_load_b64 v[14:15], v7, s[0:1]
	s_add_i32 s17, s16, -8
	s_add_u32 s0, s0, 8
	s_addc_u32 s1, s1, 0
.LBB73_57:                              ;   in Loop: Header=BB73_29 Depth=1
	s_cmp_gt_u32 s17, 7
	s_cbranch_scc1 .LBB73_62
; %bb.58:                               ;   in Loop: Header=BB73_29 Depth=1
	v_mov_b32_e32 v16, 0
	v_mov_b32_e32 v17, 0
	s_cmp_eq_u32 s17, 0
	s_cbranch_scc1 .LBB73_61
; %bb.59:                               ;   in Loop: Header=BB73_29 Depth=1
	s_mov_b64 s[12:13], 0
	s_mov_b64 s[14:15], 0
.LBB73_60:                              ;   Parent Loop BB73_29 Depth=1
                                        ; =>  This Inner Loop Header: Depth=2
	s_delay_alu instid0(SALU_CYCLE_1)
	s_add_u32 s18, s0, s14
	s_addc_u32 s19, s1, s15
	s_add_u32 s14, s14, 1
	global_load_u8 v6, v7, s[18:19]
	s_addc_u32 s15, s15, 0
	s_waitcnt vmcnt(0)
	v_and_b32_e32 v6, 0xffff, v6
	s_delay_alu instid0(VALU_DEP_1) | instskip(SKIP_3) | instid1(VALU_DEP_1)
	v_lshlrev_b64 v[18:19], s12, v[6:7]
	s_add_u32 s12, s12, 8
	s_addc_u32 s13, s13, 0
	s_cmp_lg_u32 s17, s14
	v_or_b32_e32 v16, v18, v16
	s_delay_alu instid0(VALU_DEP_2)
	v_or_b32_e32 v17, v19, v17
	s_cbranch_scc1 .LBB73_60
.LBB73_61:                              ;   in Loop: Header=BB73_29 Depth=1
	s_mov_b32 s16, 0
	s_cbranch_execz .LBB73_63
	s_branch .LBB73_64
.LBB73_62:                              ;   in Loop: Header=BB73_29 Depth=1
                                        ; implicit-def: $sgpr16
.LBB73_63:                              ;   in Loop: Header=BB73_29 Depth=1
	global_load_b64 v[16:17], v7, s[0:1]
	s_add_i32 s16, s17, -8
	s_add_u32 s0, s0, 8
	s_addc_u32 s1, s1, 0
.LBB73_64:                              ;   in Loop: Header=BB73_29 Depth=1
	s_cmp_gt_u32 s16, 7
	s_cbranch_scc1 .LBB73_69
; %bb.65:                               ;   in Loop: Header=BB73_29 Depth=1
	v_mov_b32_e32 v18, 0
	v_mov_b32_e32 v19, 0
	s_cmp_eq_u32 s16, 0
	s_cbranch_scc1 .LBB73_68
; %bb.66:                               ;   in Loop: Header=BB73_29 Depth=1
	s_mov_b64 s[12:13], 0
	s_mov_b64 s[14:15], 0
.LBB73_67:                              ;   Parent Loop BB73_29 Depth=1
                                        ; =>  This Inner Loop Header: Depth=2
	s_delay_alu instid0(SALU_CYCLE_1)
	s_add_u32 s18, s0, s14
	s_addc_u32 s19, s1, s15
	s_add_u32 s14, s14, 1
	global_load_u8 v6, v7, s[18:19]
	s_addc_u32 s15, s15, 0
	s_waitcnt vmcnt(0)
	v_and_b32_e32 v6, 0xffff, v6
	s_delay_alu instid0(VALU_DEP_1) | instskip(SKIP_3) | instid1(VALU_DEP_1)
	v_lshlrev_b64 v[20:21], s12, v[6:7]
	s_add_u32 s12, s12, 8
	s_addc_u32 s13, s13, 0
	s_cmp_lg_u32 s16, s14
	v_or_b32_e32 v18, v20, v18
	s_delay_alu instid0(VALU_DEP_2)
	v_or_b32_e32 v19, v21, v19
	s_cbranch_scc1 .LBB73_67
.LBB73_68:                              ;   in Loop: Header=BB73_29 Depth=1
	s_mov_b32 s17, 0
	s_cbranch_execz .LBB73_70
	s_branch .LBB73_71
.LBB73_69:                              ;   in Loop: Header=BB73_29 Depth=1
                                        ; implicit-def: $vgpr18_vgpr19
                                        ; implicit-def: $sgpr17
.LBB73_70:                              ;   in Loop: Header=BB73_29 Depth=1
	global_load_b64 v[18:19], v7, s[0:1]
	s_add_i32 s17, s16, -8
	s_add_u32 s0, s0, 8
	s_addc_u32 s1, s1, 0
.LBB73_71:                              ;   in Loop: Header=BB73_29 Depth=1
	s_cmp_gt_u32 s17, 7
	s_cbranch_scc1 .LBB73_76
; %bb.72:                               ;   in Loop: Header=BB73_29 Depth=1
	v_mov_b32_e32 v20, 0
	v_mov_b32_e32 v21, 0
	s_cmp_eq_u32 s17, 0
	s_cbranch_scc1 .LBB73_75
; %bb.73:                               ;   in Loop: Header=BB73_29 Depth=1
	s_mov_b64 s[12:13], 0
	s_mov_b64 s[14:15], s[0:1]
.LBB73_74:                              ;   Parent Loop BB73_29 Depth=1
                                        ; =>  This Inner Loop Header: Depth=2
	global_load_u8 v6, v7, s[14:15]
	s_add_i32 s17, s17, -1
	s_waitcnt vmcnt(0)
	v_and_b32_e32 v6, 0xffff, v6
	s_delay_alu instid0(VALU_DEP_1)
	v_lshlrev_b64 v[22:23], s12, v[6:7]
	s_add_u32 s12, s12, 8
	s_addc_u32 s13, s13, 0
	s_add_u32 s14, s14, 1
	s_addc_u32 s15, s15, 0
	s_cmp_lg_u32 s17, 0
	v_or_b32_e32 v20, v22, v20
	v_or_b32_e32 v21, v23, v21
	s_cbranch_scc1 .LBB73_74
.LBB73_75:                              ;   in Loop: Header=BB73_29 Depth=1
	s_cbranch_execz .LBB73_77
	s_branch .LBB73_78
.LBB73_76:                              ;   in Loop: Header=BB73_29 Depth=1
.LBB73_77:                              ;   in Loop: Header=BB73_29 Depth=1
	global_load_b64 v[20:21], v7, s[0:1]
.LBB73_78:                              ;   in Loop: Header=BB73_29 Depth=1
	v_readfirstlane_b32 s0, v32
	v_mov_b32_e32 v26, 0
	v_mov_b32_e32 v27, 0
	s_delay_alu instid0(VALU_DEP_3) | instskip(NEXT) | instid1(VALU_DEP_1)
	v_cmp_eq_u32_e64 s0, s0, v32
	s_and_saveexec_b32 s1, s0
	s_cbranch_execz .LBB73_84
; %bb.79:                               ;   in Loop: Header=BB73_29 Depth=1
	global_load_b64 v[24:25], v7, s[2:3] offset:24 glc
	s_waitcnt vmcnt(0)
	buffer_gl1_inv
	buffer_gl0_inv
	s_clause 0x1
	global_load_b64 v[22:23], v7, s[2:3] offset:40
	global_load_b64 v[26:27], v7, s[2:3]
	s_mov_b32 s12, exec_lo
	s_waitcnt vmcnt(1)
	v_and_b32_e32 v6, v23, v25
	v_and_b32_e32 v22, v22, v24
	s_delay_alu instid0(VALU_DEP_2) | instskip(NEXT) | instid1(VALU_DEP_2)
	v_mul_lo_u32 v6, v6, 24
	v_mul_hi_u32 v23, v22, 24
	v_mul_lo_u32 v22, v22, 24
	s_delay_alu instid0(VALU_DEP_2) | instskip(SKIP_1) | instid1(VALU_DEP_2)
	v_add_nc_u32_e32 v6, v23, v6
	s_waitcnt vmcnt(0)
	v_add_co_u32 v22, vcc_lo, v26, v22
	s_delay_alu instid0(VALU_DEP_2)
	v_add_co_ci_u32_e32 v23, vcc_lo, v27, v6, vcc_lo
	global_load_b64 v[22:23], v[22:23], off glc
	s_waitcnt vmcnt(0)
	global_atomic_cmpswap_b64 v[26:27], v7, v[22:25], s[2:3] offset:24 glc
	s_waitcnt vmcnt(0)
	buffer_gl1_inv
	buffer_gl0_inv
	v_cmpx_ne_u64_e64 v[26:27], v[24:25]
	s_cbranch_execz .LBB73_83
; %bb.80:                               ;   in Loop: Header=BB73_29 Depth=1
	s_mov_b32 s13, 0
	.p2align	6
.LBB73_81:                              ;   Parent Loop BB73_29 Depth=1
                                        ; =>  This Inner Loop Header: Depth=2
	s_sleep 1
	s_clause 0x1
	global_load_b64 v[22:23], v7, s[2:3] offset:40
	global_load_b64 v[29:30], v7, s[2:3]
	v_dual_mov_b32 v24, v26 :: v_dual_mov_b32 v25, v27
	s_waitcnt vmcnt(1)
	s_delay_alu instid0(VALU_DEP_1) | instskip(SKIP_1) | instid1(VALU_DEP_1)
	v_and_b32_e32 v6, v22, v24
	s_waitcnt vmcnt(0)
	v_mad_u64_u32 v[26:27], null, v6, 24, v[29:30]
	v_and_b32_e32 v29, v23, v25
	s_delay_alu instid0(VALU_DEP_2) | instskip(NEXT) | instid1(VALU_DEP_1)
	v_mov_b32_e32 v6, v27
	v_mad_u64_u32 v[22:23], null, v29, 24, v[6:7]
	s_delay_alu instid0(VALU_DEP_1)
	v_mov_b32_e32 v27, v22
	global_load_b64 v[22:23], v[26:27], off glc
	s_waitcnt vmcnt(0)
	global_atomic_cmpswap_b64 v[26:27], v7, v[22:25], s[2:3] offset:24 glc
	s_waitcnt vmcnt(0)
	buffer_gl1_inv
	buffer_gl0_inv
	v_cmp_eq_u64_e32 vcc_lo, v[26:27], v[24:25]
	s_or_b32 s13, vcc_lo, s13
	s_delay_alu instid0(SALU_CYCLE_1)
	s_and_not1_b32 exec_lo, exec_lo, s13
	s_cbranch_execnz .LBB73_81
; %bb.82:                               ;   in Loop: Header=BB73_29 Depth=1
	s_or_b32 exec_lo, exec_lo, s13
.LBB73_83:                              ;   in Loop: Header=BB73_29 Depth=1
	s_delay_alu instid0(SALU_CYCLE_1)
	s_or_b32 exec_lo, exec_lo, s12
.LBB73_84:                              ;   in Loop: Header=BB73_29 Depth=1
	s_delay_alu instid0(SALU_CYCLE_1)
	s_or_b32 exec_lo, exec_lo, s1
	s_clause 0x1
	global_load_b64 v[29:30], v7, s[2:3] offset:40
	global_load_b128 v[22:25], v7, s[2:3]
	v_readfirstlane_b32 s12, v26
	v_readfirstlane_b32 s13, v27
	s_mov_b32 s1, exec_lo
	s_waitcnt vmcnt(1)
	v_readfirstlane_b32 s14, v29
	v_readfirstlane_b32 s15, v30
	s_delay_alu instid0(VALU_DEP_1) | instskip(NEXT) | instid1(SALU_CYCLE_1)
	s_and_b64 s[14:15], s[12:13], s[14:15]
	s_mul_i32 s16, s15, 24
	s_mul_hi_u32 s17, s14, 24
	s_mul_i32 s18, s14, 24
	s_add_i32 s17, s17, s16
	s_waitcnt vmcnt(0)
	v_add_co_u32 v26, vcc_lo, v22, s18
	v_add_co_ci_u32_e32 v27, vcc_lo, s17, v23, vcc_lo
	s_and_saveexec_b32 s16, s0
	s_cbranch_execz .LBB73_86
; %bb.85:                               ;   in Loop: Header=BB73_29 Depth=1
	v_mov_b32_e32 v6, s1
	global_store_b128 v[26:27], v[6:9], off offset:8
.LBB73_86:                              ;   in Loop: Header=BB73_29 Depth=1
	s_or_b32 exec_lo, exec_lo, s16
	s_lshl_b64 s[14:15], s[14:15], 12
	v_cmp_gt_u64_e64 vcc_lo, s[6:7], 56
	v_or_b32_e32 v6, 0, v1
	v_or_b32_e32 v29, v0, v28
	v_add_co_u32 v24, s1, v24, s14
	s_delay_alu instid0(VALU_DEP_1) | instskip(SKIP_1) | instid1(VALU_DEP_3)
	v_add_co_ci_u32_e64 v25, s1, s15, v25, s1
	s_lshl_b32 s1, s10, 2
	v_dual_cndmask_b32 v1, v6, v1 :: v_dual_cndmask_b32 v0, v29, v0
	s_add_i32 s1, s1, 28
	v_readfirstlane_b32 s14, v24
	s_and_b32 s1, s1, 0x1e0
	v_readfirstlane_b32 s15, v25
	v_and_or_b32 v0, 0xffffff1f, v0, s1
	s_clause 0x3
	global_store_b128 v31, v[0:3], s[14:15]
	global_store_b128 v31, v[10:13], s[14:15] offset:16
	global_store_b128 v31, v[14:17], s[14:15] offset:32
	;; [unrolled: 1-line block ×3, first 2 shown]
	s_and_saveexec_b32 s1, s0
	s_cbranch_execz .LBB73_94
; %bb.87:                               ;   in Loop: Header=BB73_29 Depth=1
	s_clause 0x1
	global_load_b64 v[14:15], v7, s[2:3] offset:32 glc
	global_load_b64 v[0:1], v7, s[2:3] offset:40
	v_dual_mov_b32 v12, s12 :: v_dual_mov_b32 v13, s13
	s_waitcnt vmcnt(0)
	v_readfirstlane_b32 s14, v0
	v_readfirstlane_b32 s15, v1
	s_delay_alu instid0(VALU_DEP_1) | instskip(NEXT) | instid1(SALU_CYCLE_1)
	s_and_b64 s[14:15], s[14:15], s[12:13]
	s_mul_i32 s15, s15, 24
	s_mul_hi_u32 s16, s14, 24
	s_mul_i32 s14, s14, 24
	s_add_i32 s16, s16, s15
	v_add_co_u32 v10, vcc_lo, v22, s14
	v_add_co_ci_u32_e32 v11, vcc_lo, s16, v23, vcc_lo
	s_mov_b32 s14, exec_lo
	global_store_b64 v[10:11], v[14:15], off
	s_waitcnt_vscnt null, 0x0
	global_atomic_cmpswap_b64 v[2:3], v7, v[12:15], s[2:3] offset:32 glc
	s_waitcnt vmcnt(0)
	v_cmpx_ne_u64_e64 v[2:3], v[14:15]
	s_cbranch_execz .LBB73_90
; %bb.88:                               ;   in Loop: Header=BB73_29 Depth=1
	s_mov_b32 s15, 0
.LBB73_89:                              ;   Parent Loop BB73_29 Depth=1
                                        ; =>  This Inner Loop Header: Depth=2
	v_dual_mov_b32 v0, s12 :: v_dual_mov_b32 v1, s13
	s_sleep 1
	global_store_b64 v[10:11], v[2:3], off
	s_waitcnt_vscnt null, 0x0
	global_atomic_cmpswap_b64 v[0:1], v7, v[0:3], s[2:3] offset:32 glc
	s_waitcnt vmcnt(0)
	v_cmp_eq_u64_e32 vcc_lo, v[0:1], v[2:3]
	v_dual_mov_b32 v3, v1 :: v_dual_mov_b32 v2, v0
	s_or_b32 s15, vcc_lo, s15
	s_delay_alu instid0(SALU_CYCLE_1)
	s_and_not1_b32 exec_lo, exec_lo, s15
	s_cbranch_execnz .LBB73_89
.LBB73_90:                              ;   in Loop: Header=BB73_29 Depth=1
	s_or_b32 exec_lo, exec_lo, s14
	global_load_b64 v[0:1], v7, s[2:3] offset:16
	s_mov_b32 s15, exec_lo
	s_mov_b32 s14, exec_lo
	v_mbcnt_lo_u32_b32 v2, s15, 0
	s_delay_alu instid0(VALU_DEP_1)
	v_cmpx_eq_u32_e32 0, v2
	s_cbranch_execz .LBB73_92
; %bb.91:                               ;   in Loop: Header=BB73_29 Depth=1
	s_bcnt1_i32_b32 s15, s15
	s_delay_alu instid0(SALU_CYCLE_1)
	v_mov_b32_e32 v6, s15
	s_waitcnt vmcnt(0)
	global_atomic_add_u64 v[0:1], v[6:7], off offset:8
.LBB73_92:                              ;   in Loop: Header=BB73_29 Depth=1
	s_or_b32 exec_lo, exec_lo, s14
	s_waitcnt vmcnt(0)
	global_load_b64 v[2:3], v[0:1], off offset:16
	s_waitcnt vmcnt(0)
	v_cmp_eq_u64_e32 vcc_lo, 0, v[2:3]
	s_cbranch_vccnz .LBB73_94
; %bb.93:                               ;   in Loop: Header=BB73_29 Depth=1
	global_load_b32 v6, v[0:1], off offset:24
	s_waitcnt vmcnt(0)
	v_and_b32_e32 v0, 0xffffff, v6
	s_waitcnt_vscnt null, 0x0
	global_store_b64 v[2:3], v[6:7], off
	v_readfirstlane_b32 m0, v0
	s_sendmsg sendmsg(MSG_INTERRUPT)
.LBB73_94:                              ;   in Loop: Header=BB73_29 Depth=1
	s_or_b32 exec_lo, exec_lo, s1
	v_add_co_u32 v0, vcc_lo, v24, v31
	v_add_co_ci_u32_e32 v1, vcc_lo, 0, v25, vcc_lo
	s_branch .LBB73_98
	.p2align	6
.LBB73_95:                              ;   in Loop: Header=BB73_98 Depth=2
	s_or_b32 exec_lo, exec_lo, s1
	s_delay_alu instid0(VALU_DEP_1) | instskip(NEXT) | instid1(VALU_DEP_1)
	v_readfirstlane_b32 s1, v2
	s_cmp_eq_u32 s1, 0
	s_cbranch_scc1 .LBB73_97
; %bb.96:                               ;   in Loop: Header=BB73_98 Depth=2
	s_sleep 1
	s_cbranch_execnz .LBB73_98
	s_branch .LBB73_100
	.p2align	6
.LBB73_97:                              ;   in Loop: Header=BB73_29 Depth=1
	s_branch .LBB73_100
.LBB73_98:                              ;   Parent Loop BB73_29 Depth=1
                                        ; =>  This Inner Loop Header: Depth=2
	v_mov_b32_e32 v2, 1
	s_and_saveexec_b32 s1, s0
	s_cbranch_execz .LBB73_95
; %bb.99:                               ;   in Loop: Header=BB73_98 Depth=2
	global_load_b32 v2, v[26:27], off offset:20 glc
	s_waitcnt vmcnt(0)
	buffer_gl1_inv
	buffer_gl0_inv
	v_and_b32_e32 v2, 1, v2
	s_branch .LBB73_95
.LBB73_100:                             ;   in Loop: Header=BB73_29 Depth=1
	global_load_b128 v[0:3], v[0:1], off
	s_and_saveexec_b32 s1, s0
	s_cbranch_execz .LBB73_28
; %bb.101:                              ;   in Loop: Header=BB73_29 Depth=1
	s_clause 0x2
	global_load_b64 v[2:3], v7, s[2:3] offset:40
	global_load_b64 v[14:15], v7, s[2:3] offset:24 glc
	global_load_b64 v[12:13], v7, s[2:3]
	s_waitcnt vmcnt(2)
	v_add_co_u32 v6, vcc_lo, v2, 1
	v_add_co_ci_u32_e32 v16, vcc_lo, 0, v3, vcc_lo
	s_delay_alu instid0(VALU_DEP_2) | instskip(NEXT) | instid1(VALU_DEP_2)
	v_add_co_u32 v10, vcc_lo, v6, s12
	v_add_co_ci_u32_e32 v11, vcc_lo, s13, v16, vcc_lo
	s_delay_alu instid0(VALU_DEP_1) | instskip(SKIP_1) | instid1(VALU_DEP_1)
	v_cmp_eq_u64_e32 vcc_lo, 0, v[10:11]
	v_dual_cndmask_b32 v11, v11, v16 :: v_dual_cndmask_b32 v10, v10, v6
	v_and_b32_e32 v3, v11, v3
	s_delay_alu instid0(VALU_DEP_2) | instskip(NEXT) | instid1(VALU_DEP_1)
	v_and_b32_e32 v2, v10, v2
	v_mul_hi_u32 v6, v2, 24
	v_mul_lo_u32 v2, v2, 24
	s_waitcnt vmcnt(0)
	s_delay_alu instid0(VALU_DEP_1) | instskip(SKIP_2) | instid1(VALU_DEP_1)
	v_add_co_u32 v2, vcc_lo, v12, v2
	v_mov_b32_e32 v12, v14
	v_mul_lo_u32 v3, v3, 24
	v_add_nc_u32_e32 v3, v6, v3
	s_delay_alu instid0(VALU_DEP_1)
	v_add_co_ci_u32_e32 v3, vcc_lo, v13, v3, vcc_lo
	v_mov_b32_e32 v13, v15
	global_store_b64 v[2:3], v[14:15], off
	s_waitcnt_vscnt null, 0x0
	global_atomic_cmpswap_b64 v[12:13], v7, v[10:13], s[2:3] offset:24 glc
	s_waitcnt vmcnt(0)
	v_cmp_ne_u64_e32 vcc_lo, v[12:13], v[14:15]
	s_and_b32 exec_lo, exec_lo, vcc_lo
	s_cbranch_execz .LBB73_28
; %bb.102:                              ;   in Loop: Header=BB73_29 Depth=1
	s_mov_b32 s0, 0
.LBB73_103:                             ;   Parent Loop BB73_29 Depth=1
                                        ; =>  This Inner Loop Header: Depth=2
	s_sleep 1
	global_store_b64 v[2:3], v[12:13], off
	s_waitcnt_vscnt null, 0x0
	global_atomic_cmpswap_b64 v[14:15], v7, v[10:13], s[2:3] offset:24 glc
	s_waitcnt vmcnt(0)
	v_cmp_eq_u64_e32 vcc_lo, v[14:15], v[12:13]
	v_dual_mov_b32 v12, v14 :: v_dual_mov_b32 v13, v15
	s_or_b32 s0, vcc_lo, s0
	s_delay_alu instid0(SALU_CYCLE_1)
	s_and_not1_b32 exec_lo, exec_lo, s0
	s_cbranch_execnz .LBB73_103
	s_branch .LBB73_28
.LBB73_104:
                                        ; implicit-def: $vgpr0_vgpr1
	s_cbranch_execnz .LBB73_106
	s_branch .LBB73_133
.LBB73_105:
	s_branch .LBB73_133
.LBB73_106:
	v_readfirstlane_b32 s0, v32
	v_mov_b32_e32 v7, 0
	v_mov_b32_e32 v8, 0
	s_delay_alu instid0(VALU_DEP_3) | instskip(NEXT) | instid1(VALU_DEP_1)
	v_cmp_eq_u32_e64 s0, s0, v32
	s_and_saveexec_b32 s1, s0
	s_cbranch_execz .LBB73_112
; %bb.107:
	s_waitcnt vmcnt(0)
	v_mov_b32_e32 v0, 0
	s_mov_b32 s4, exec_lo
	global_load_b64 v[9:10], v0, s[2:3] offset:24 glc
	s_waitcnt vmcnt(0)
	buffer_gl1_inv
	buffer_gl0_inv
	s_clause 0x1
	global_load_b64 v[1:2], v0, s[2:3] offset:40
	global_load_b64 v[6:7], v0, s[2:3]
	s_waitcnt vmcnt(1)
	v_and_b32_e32 v1, v1, v9
	v_and_b32_e32 v2, v2, v10
	s_delay_alu instid0(VALU_DEP_2) | instskip(NEXT) | instid1(VALU_DEP_2)
	v_mul_hi_u32 v3, v1, 24
	v_mul_lo_u32 v2, v2, 24
	v_mul_lo_u32 v1, v1, 24
	s_delay_alu instid0(VALU_DEP_2) | instskip(SKIP_1) | instid1(VALU_DEP_2)
	v_add_nc_u32_e32 v2, v3, v2
	s_waitcnt vmcnt(0)
	v_add_co_u32 v1, vcc_lo, v6, v1
	s_delay_alu instid0(VALU_DEP_2)
	v_add_co_ci_u32_e32 v2, vcc_lo, v7, v2, vcc_lo
	global_load_b64 v[7:8], v[1:2], off glc
	s_waitcnt vmcnt(0)
	global_atomic_cmpswap_b64 v[7:8], v0, v[7:10], s[2:3] offset:24 glc
	s_waitcnt vmcnt(0)
	buffer_gl1_inv
	buffer_gl0_inv
	v_cmpx_ne_u64_e64 v[7:8], v[9:10]
	s_cbranch_execz .LBB73_111
; %bb.108:
	s_mov_b32 s5, 0
	.p2align	6
.LBB73_109:                             ; =>This Inner Loop Header: Depth=1
	s_sleep 1
	s_clause 0x1
	global_load_b64 v[1:2], v0, s[2:3] offset:40
	global_load_b64 v[11:12], v0, s[2:3]
	v_dual_mov_b32 v10, v8 :: v_dual_mov_b32 v9, v7
	s_waitcnt vmcnt(1)
	s_delay_alu instid0(VALU_DEP_1) | instskip(SKIP_1) | instid1(VALU_DEP_1)
	v_and_b32_e32 v1, v1, v9
	s_waitcnt vmcnt(0)
	v_mad_u64_u32 v[6:7], null, v1, 24, v[11:12]
	s_delay_alu instid0(VALU_DEP_1) | instskip(NEXT) | instid1(VALU_DEP_1)
	v_dual_mov_b32 v1, v7 :: v_dual_and_b32 v8, v2, v10
	v_mad_u64_u32 v[2:3], null, v8, 24, v[1:2]
	s_delay_alu instid0(VALU_DEP_1)
	v_mov_b32_e32 v7, v2
	global_load_b64 v[7:8], v[6:7], off glc
	s_waitcnt vmcnt(0)
	global_atomic_cmpswap_b64 v[7:8], v0, v[7:10], s[2:3] offset:24 glc
	s_waitcnt vmcnt(0)
	buffer_gl1_inv
	buffer_gl0_inv
	v_cmp_eq_u64_e32 vcc_lo, v[7:8], v[9:10]
	s_or_b32 s5, vcc_lo, s5
	s_delay_alu instid0(SALU_CYCLE_1)
	s_and_not1_b32 exec_lo, exec_lo, s5
	s_cbranch_execnz .LBB73_109
; %bb.110:
	s_or_b32 exec_lo, exec_lo, s5
.LBB73_111:
	s_delay_alu instid0(SALU_CYCLE_1)
	s_or_b32 exec_lo, exec_lo, s4
.LBB73_112:
	s_delay_alu instid0(SALU_CYCLE_1)
	s_or_b32 exec_lo, exec_lo, s1
	v_mov_b32_e32 v6, 0
	v_readfirstlane_b32 s4, v7
	v_readfirstlane_b32 s5, v8
	s_mov_b32 s1, exec_lo
	s_clause 0x1
	global_load_b64 v[9:10], v6, s[2:3] offset:40
	global_load_b128 v[0:3], v6, s[2:3]
	s_waitcnt vmcnt(1)
	v_readfirstlane_b32 s6, v9
	v_readfirstlane_b32 s7, v10
	s_delay_alu instid0(VALU_DEP_1) | instskip(NEXT) | instid1(SALU_CYCLE_1)
	s_and_b64 s[6:7], s[4:5], s[6:7]
	s_mul_i32 s10, s7, 24
	s_mul_hi_u32 s11, s6, 24
	s_mul_i32 s12, s6, 24
	s_add_i32 s11, s11, s10
	s_waitcnt vmcnt(0)
	v_add_co_u32 v8, vcc_lo, v0, s12
	v_add_co_ci_u32_e32 v9, vcc_lo, s11, v1, vcc_lo
	s_and_saveexec_b32 s10, s0
	s_cbranch_execz .LBB73_114
; %bb.113:
	v_dual_mov_b32 v10, s1 :: v_dual_mov_b32 v11, v6
	v_dual_mov_b32 v12, 2 :: v_dual_mov_b32 v13, 1
	global_store_b128 v[8:9], v[10:13], off offset:8
.LBB73_114:
	s_or_b32 exec_lo, exec_lo, s10
	s_lshl_b64 s[6:7], s[6:7], 12
	s_mov_b32 s12, 0
	v_add_co_u32 v2, vcc_lo, v2, s6
	v_add_co_ci_u32_e32 v3, vcc_lo, s7, v3, vcc_lo
	s_mov_b32 s13, s12
	s_delay_alu instid0(VALU_DEP_2)
	v_add_co_u32 v10, vcc_lo, v2, v31
	s_mov_b32 s14, s12
	s_mov_b32 s15, s12
	v_and_or_b32 v4, 0xffffff1f, v4, 32
	v_dual_mov_b32 v7, v6 :: v_dual_mov_b32 v12, s12
	v_readfirstlane_b32 s6, v2
	v_readfirstlane_b32 s7, v3
	v_add_co_ci_u32_e32 v11, vcc_lo, 0, v3, vcc_lo
	v_dual_mov_b32 v13, s13 :: v_dual_mov_b32 v14, s14
	v_mov_b32_e32 v15, s15
	s_clause 0x3
	global_store_b128 v31, v[4:7], s[6:7]
	global_store_b128 v31, v[12:15], s[6:7] offset:16
	global_store_b128 v31, v[12:15], s[6:7] offset:32
	;; [unrolled: 1-line block ×3, first 2 shown]
	s_and_saveexec_b32 s1, s0
	s_cbranch_execz .LBB73_122
; %bb.115:
	v_dual_mov_b32 v6, 0 :: v_dual_mov_b32 v13, s5
	v_mov_b32_e32 v12, s4
	s_clause 0x1
	global_load_b64 v[14:15], v6, s[2:3] offset:32 glc
	global_load_b64 v[2:3], v6, s[2:3] offset:40
	s_waitcnt vmcnt(0)
	v_readfirstlane_b32 s6, v2
	v_readfirstlane_b32 s7, v3
	s_delay_alu instid0(VALU_DEP_1) | instskip(NEXT) | instid1(SALU_CYCLE_1)
	s_and_b64 s[6:7], s[6:7], s[4:5]
	s_mul_i32 s7, s7, 24
	s_mul_hi_u32 s10, s6, 24
	s_mul_i32 s6, s6, 24
	s_add_i32 s10, s10, s7
	v_add_co_u32 v4, vcc_lo, v0, s6
	v_add_co_ci_u32_e32 v5, vcc_lo, s10, v1, vcc_lo
	s_mov_b32 s6, exec_lo
	global_store_b64 v[4:5], v[14:15], off
	s_waitcnt_vscnt null, 0x0
	global_atomic_cmpswap_b64 v[2:3], v6, v[12:15], s[2:3] offset:32 glc
	s_waitcnt vmcnt(0)
	v_cmpx_ne_u64_e64 v[2:3], v[14:15]
	s_cbranch_execz .LBB73_118
; %bb.116:
	s_mov_b32 s7, 0
.LBB73_117:                             ; =>This Inner Loop Header: Depth=1
	v_dual_mov_b32 v0, s4 :: v_dual_mov_b32 v1, s5
	s_sleep 1
	global_store_b64 v[4:5], v[2:3], off
	s_waitcnt_vscnt null, 0x0
	global_atomic_cmpswap_b64 v[0:1], v6, v[0:3], s[2:3] offset:32 glc
	s_waitcnt vmcnt(0)
	v_cmp_eq_u64_e32 vcc_lo, v[0:1], v[2:3]
	v_dual_mov_b32 v3, v1 :: v_dual_mov_b32 v2, v0
	s_or_b32 s7, vcc_lo, s7
	s_delay_alu instid0(SALU_CYCLE_1)
	s_and_not1_b32 exec_lo, exec_lo, s7
	s_cbranch_execnz .LBB73_117
.LBB73_118:
	s_or_b32 exec_lo, exec_lo, s6
	v_mov_b32_e32 v3, 0
	s_mov_b32 s7, exec_lo
	s_mov_b32 s6, exec_lo
	v_mbcnt_lo_u32_b32 v2, s7, 0
	global_load_b64 v[0:1], v3, s[2:3] offset:16
	v_cmpx_eq_u32_e32 0, v2
	s_cbranch_execz .LBB73_120
; %bb.119:
	s_bcnt1_i32_b32 s7, s7
	s_delay_alu instid0(SALU_CYCLE_1)
	v_mov_b32_e32 v2, s7
	s_waitcnt vmcnt(0)
	global_atomic_add_u64 v[0:1], v[2:3], off offset:8
.LBB73_120:
	s_or_b32 exec_lo, exec_lo, s6
	s_waitcnt vmcnt(0)
	global_load_b64 v[2:3], v[0:1], off offset:16
	s_waitcnt vmcnt(0)
	v_cmp_eq_u64_e32 vcc_lo, 0, v[2:3]
	s_cbranch_vccnz .LBB73_122
; %bb.121:
	global_load_b32 v0, v[0:1], off offset:24
	s_waitcnt vmcnt(0)
	v_dual_mov_b32 v1, 0 :: v_dual_and_b32 v4, 0xffffff, v0
	s_waitcnt_vscnt null, 0x0
	global_store_b64 v[2:3], v[0:1], off
	v_readfirstlane_b32 m0, v4
	s_sendmsg sendmsg(MSG_INTERRUPT)
.LBB73_122:
	s_or_b32 exec_lo, exec_lo, s1
	s_branch .LBB73_126
	.p2align	6
.LBB73_123:                             ;   in Loop: Header=BB73_126 Depth=1
	s_or_b32 exec_lo, exec_lo, s1
	s_delay_alu instid0(VALU_DEP_1) | instskip(NEXT) | instid1(VALU_DEP_1)
	v_readfirstlane_b32 s1, v0
	s_cmp_eq_u32 s1, 0
	s_cbranch_scc1 .LBB73_125
; %bb.124:                              ;   in Loop: Header=BB73_126 Depth=1
	s_sleep 1
	s_cbranch_execnz .LBB73_126
	s_branch .LBB73_128
	.p2align	6
.LBB73_125:
	s_branch .LBB73_128
.LBB73_126:                             ; =>This Inner Loop Header: Depth=1
	v_mov_b32_e32 v0, 1
	s_and_saveexec_b32 s1, s0
	s_cbranch_execz .LBB73_123
; %bb.127:                              ;   in Loop: Header=BB73_126 Depth=1
	global_load_b32 v0, v[8:9], off offset:20 glc
	s_waitcnt vmcnt(0)
	buffer_gl1_inv
	buffer_gl0_inv
	v_and_b32_e32 v0, 1, v0
	s_branch .LBB73_123
.LBB73_128:
	global_load_b64 v[0:1], v[10:11], off
	s_and_saveexec_b32 s1, s0
	s_cbranch_execz .LBB73_132
; %bb.129:
	v_mov_b32_e32 v8, 0
	s_clause 0x2
	global_load_b64 v[4:5], v8, s[2:3] offset:40
	global_load_b64 v[9:10], v8, s[2:3] offset:24 glc
	global_load_b64 v[6:7], v8, s[2:3]
	s_waitcnt vmcnt(2)
	v_add_co_u32 v11, vcc_lo, v4, 1
	v_add_co_ci_u32_e32 v12, vcc_lo, 0, v5, vcc_lo
	s_delay_alu instid0(VALU_DEP_2) | instskip(NEXT) | instid1(VALU_DEP_2)
	v_add_co_u32 v2, vcc_lo, v11, s4
	v_add_co_ci_u32_e32 v3, vcc_lo, s5, v12, vcc_lo
	s_delay_alu instid0(VALU_DEP_1) | instskip(SKIP_1) | instid1(VALU_DEP_1)
	v_cmp_eq_u64_e32 vcc_lo, 0, v[2:3]
	v_dual_cndmask_b32 v3, v3, v12 :: v_dual_cndmask_b32 v2, v2, v11
	v_and_b32_e32 v5, v3, v5
	s_delay_alu instid0(VALU_DEP_2) | instskip(NEXT) | instid1(VALU_DEP_2)
	v_and_b32_e32 v4, v2, v4
	v_mul_lo_u32 v5, v5, 24
	s_delay_alu instid0(VALU_DEP_2) | instskip(SKIP_1) | instid1(VALU_DEP_2)
	v_mul_hi_u32 v11, v4, 24
	v_mul_lo_u32 v4, v4, 24
	v_add_nc_u32_e32 v5, v11, v5
	s_waitcnt vmcnt(0)
	s_delay_alu instid0(VALU_DEP_2) | instskip(SKIP_1) | instid1(VALU_DEP_3)
	v_add_co_u32 v6, vcc_lo, v6, v4
	v_mov_b32_e32 v4, v9
	v_add_co_ci_u32_e32 v7, vcc_lo, v7, v5, vcc_lo
	v_mov_b32_e32 v5, v10
	global_store_b64 v[6:7], v[9:10], off
	s_waitcnt_vscnt null, 0x0
	global_atomic_cmpswap_b64 v[4:5], v8, v[2:5], s[2:3] offset:24 glc
	s_waitcnt vmcnt(0)
	v_cmp_ne_u64_e32 vcc_lo, v[4:5], v[9:10]
	s_and_b32 exec_lo, exec_lo, vcc_lo
	s_cbranch_execz .LBB73_132
; %bb.130:
	s_mov_b32 s0, 0
.LBB73_131:                             ; =>This Inner Loop Header: Depth=1
	s_sleep 1
	global_store_b64 v[6:7], v[4:5], off
	s_waitcnt_vscnt null, 0x0
	global_atomic_cmpswap_b64 v[9:10], v8, v[2:5], s[2:3] offset:24 glc
	s_waitcnt vmcnt(0)
	v_cmp_eq_u64_e32 vcc_lo, v[9:10], v[4:5]
	v_dual_mov_b32 v4, v9 :: v_dual_mov_b32 v5, v10
	s_or_b32 s0, vcc_lo, s0
	s_delay_alu instid0(SALU_CYCLE_1)
	s_and_not1_b32 exec_lo, exec_lo, s0
	s_cbranch_execnz .LBB73_131
.LBB73_132:
	s_or_b32 exec_lo, exec_lo, s1
.LBB73_133:
	s_getpc_b64 s[0:1]
	s_add_u32 s0, s0, .str.1@rel32@lo+4
	s_addc_u32 s1, s1, .str.1@rel32@hi+12
	s_mov_b64 s[4:5], 0
	s_cmp_lg_u64 s[0:1], 0
	s_cselect_b32 s6, -1, 0
	s_cmp_eq_u64 s[0:1], 0
	s_cbranch_scc1 .LBB73_137
; %bb.134:
	s_waitcnt vmcnt(0)
	v_mov_b32_e32 v2, 0
	s_getpc_b64 s[0:1]
	s_add_u32 s0, s0, .str.1@rel32@lo+3
	s_addc_u32 s1, s1, .str.1@rel32@hi+11
.LBB73_135:                             ; =>This Inner Loop Header: Depth=1
	global_load_u8 v3, v2, s[0:1] offset:1
	s_add_u32 s4, s0, 1
	s_addc_u32 s5, s1, 0
	s_delay_alu instid0(SALU_CYCLE_1)
	s_mov_b64 s[0:1], s[4:5]
	s_waitcnt vmcnt(0)
	v_cmp_ne_u16_e32 vcc_lo, 0, v3
	s_cbranch_vccnz .LBB73_135
; %bb.136:
	s_getpc_b64 s[0:1]
	s_add_u32 s0, s0, .str.1@rel32@lo+4
	s_addc_u32 s1, s1, .str.1@rel32@hi+12
	s_sub_u32 s0, s4, s0
	s_subb_u32 s1, s5, s1
	s_add_u32 s4, s0, 1
	s_addc_u32 s5, s1, 0
.LBB73_137:
	s_and_b32 vcc_lo, exec_lo, s6
	s_cbranch_vccz .LBB73_215
; %bb.138:
	s_waitcnt vmcnt(0)
	v_dual_mov_b32 v6, 0 :: v_dual_and_b32 v33, 2, v0
	v_dual_mov_b32 v3, v1 :: v_dual_and_b32 v2, -3, v0
	v_dual_mov_b32 v7, 2 :: v_dual_mov_b32 v8, 1
	s_getpc_b64 s[6:7]
	s_add_u32 s6, s6, .str.1@rel32@lo+4
	s_addc_u32 s7, s7, .str.1@rel32@hi+12
	s_branch .LBB73_140
.LBB73_139:                             ;   in Loop: Header=BB73_140 Depth=1
	s_or_b32 exec_lo, exec_lo, s1
	s_sub_u32 s4, s4, s10
	s_subb_u32 s5, s5, s11
	s_add_u32 s6, s6, s10
	s_addc_u32 s7, s7, s11
	s_cmp_lg_u64 s[4:5], 0
	s_cbranch_scc0 .LBB73_216
.LBB73_140:                             ; =>This Loop Header: Depth=1
                                        ;     Child Loop BB73_149 Depth 2
                                        ;     Child Loop BB73_145 Depth 2
	;; [unrolled: 1-line block ×11, first 2 shown]
	v_cmp_lt_u64_e64 s0, s[4:5], 56
	v_cmp_gt_u64_e64 s1, s[4:5], 7
                                        ; implicit-def: $vgpr11_vgpr12
                                        ; implicit-def: $sgpr16
	s_delay_alu instid0(VALU_DEP_2) | instskip(SKIP_2) | instid1(VALU_DEP_1)
	s_and_b32 s0, s0, exec_lo
	s_cselect_b32 s11, s5, 0
	s_cselect_b32 s10, s4, 56
	s_and_b32 vcc_lo, exec_lo, s1
	s_mov_b32 s0, -1
	s_cbranch_vccz .LBB73_147
; %bb.141:                              ;   in Loop: Header=BB73_140 Depth=1
	s_and_not1_b32 vcc_lo, exec_lo, s0
	s_mov_b64 s[0:1], s[6:7]
	s_cbranch_vccz .LBB73_151
.LBB73_142:                             ;   in Loop: Header=BB73_140 Depth=1
	s_cmp_gt_u32 s16, 7
	s_cbranch_scc1 .LBB73_152
.LBB73_143:                             ;   in Loop: Header=BB73_140 Depth=1
	v_mov_b32_e32 v13, 0
	v_mov_b32_e32 v14, 0
	s_cmp_eq_u32 s16, 0
	s_cbranch_scc1 .LBB73_146
; %bb.144:                              ;   in Loop: Header=BB73_140 Depth=1
	s_mov_b64 s[12:13], 0
	s_mov_b64 s[14:15], 0
.LBB73_145:                             ;   Parent Loop BB73_140 Depth=1
                                        ; =>  This Inner Loop Header: Depth=2
	s_delay_alu instid0(SALU_CYCLE_1)
	s_add_u32 s18, s0, s14
	s_addc_u32 s19, s1, s15
	s_add_u32 s14, s14, 1
	global_load_u8 v4, v6, s[18:19]
	s_addc_u32 s15, s15, 0
	s_waitcnt vmcnt(0)
	v_and_b32_e32 v5, 0xffff, v4
	s_delay_alu instid0(VALU_DEP_1) | instskip(SKIP_3) | instid1(VALU_DEP_1)
	v_lshlrev_b64 v[4:5], s12, v[5:6]
	s_add_u32 s12, s12, 8
	s_addc_u32 s13, s13, 0
	s_cmp_lg_u32 s16, s14
	v_or_b32_e32 v13, v4, v13
	s_delay_alu instid0(VALU_DEP_2)
	v_or_b32_e32 v14, v5, v14
	s_cbranch_scc1 .LBB73_145
.LBB73_146:                             ;   in Loop: Header=BB73_140 Depth=1
	s_mov_b32 s17, 0
	s_cbranch_execz .LBB73_153
	s_branch .LBB73_154
.LBB73_147:                             ;   in Loop: Header=BB73_140 Depth=1
	v_mov_b32_e32 v11, 0
	v_mov_b32_e32 v12, 0
	s_cmp_eq_u64 s[4:5], 0
	s_mov_b64 s[0:1], 0
	s_cbranch_scc1 .LBB73_150
; %bb.148:                              ;   in Loop: Header=BB73_140 Depth=1
	v_mov_b32_e32 v11, 0
	v_mov_b32_e32 v12, 0
	s_lshl_b64 s[12:13], s[10:11], 3
	s_mov_b64 s[14:15], s[6:7]
.LBB73_149:                             ;   Parent Loop BB73_140 Depth=1
                                        ; =>  This Inner Loop Header: Depth=2
	global_load_u8 v4, v6, s[14:15]
	s_waitcnt vmcnt(0)
	v_and_b32_e32 v5, 0xffff, v4
	s_delay_alu instid0(VALU_DEP_1)
	v_lshlrev_b64 v[4:5], s0, v[5:6]
	s_add_u32 s0, s0, 8
	s_addc_u32 s1, s1, 0
	s_add_u32 s14, s14, 1
	s_addc_u32 s15, s15, 0
	s_cmp_lg_u32 s12, s0
	v_or_b32_e32 v11, v4, v11
	v_or_b32_e32 v12, v5, v12
	s_cbranch_scc1 .LBB73_149
.LBB73_150:                             ;   in Loop: Header=BB73_140 Depth=1
	s_mov_b32 s16, 0
	s_mov_b64 s[0:1], s[6:7]
	s_cbranch_execnz .LBB73_142
.LBB73_151:                             ;   in Loop: Header=BB73_140 Depth=1
	global_load_b64 v[11:12], v6, s[6:7]
	s_add_i32 s16, s10, -8
	s_add_u32 s0, s6, 8
	s_addc_u32 s1, s7, 0
	s_cmp_gt_u32 s16, 7
	s_cbranch_scc0 .LBB73_143
.LBB73_152:                             ;   in Loop: Header=BB73_140 Depth=1
                                        ; implicit-def: $vgpr13_vgpr14
                                        ; implicit-def: $sgpr17
.LBB73_153:                             ;   in Loop: Header=BB73_140 Depth=1
	global_load_b64 v[13:14], v6, s[0:1]
	s_add_i32 s17, s16, -8
	s_add_u32 s0, s0, 8
	s_addc_u32 s1, s1, 0
.LBB73_154:                             ;   in Loop: Header=BB73_140 Depth=1
	s_cmp_gt_u32 s17, 7
	s_cbranch_scc1 .LBB73_159
; %bb.155:                              ;   in Loop: Header=BB73_140 Depth=1
	v_mov_b32_e32 v15, 0
	v_mov_b32_e32 v16, 0
	s_cmp_eq_u32 s17, 0
	s_cbranch_scc1 .LBB73_158
; %bb.156:                              ;   in Loop: Header=BB73_140 Depth=1
	s_mov_b64 s[12:13], 0
	s_mov_b64 s[14:15], 0
.LBB73_157:                             ;   Parent Loop BB73_140 Depth=1
                                        ; =>  This Inner Loop Header: Depth=2
	s_delay_alu instid0(SALU_CYCLE_1)
	s_add_u32 s18, s0, s14
	s_addc_u32 s19, s1, s15
	s_add_u32 s14, s14, 1
	global_load_u8 v4, v6, s[18:19]
	s_addc_u32 s15, s15, 0
	s_waitcnt vmcnt(0)
	v_and_b32_e32 v5, 0xffff, v4
	s_delay_alu instid0(VALU_DEP_1) | instskip(SKIP_3) | instid1(VALU_DEP_1)
	v_lshlrev_b64 v[4:5], s12, v[5:6]
	s_add_u32 s12, s12, 8
	s_addc_u32 s13, s13, 0
	s_cmp_lg_u32 s17, s14
	v_or_b32_e32 v15, v4, v15
	s_delay_alu instid0(VALU_DEP_2)
	v_or_b32_e32 v16, v5, v16
	s_cbranch_scc1 .LBB73_157
.LBB73_158:                             ;   in Loop: Header=BB73_140 Depth=1
	s_mov_b32 s16, 0
	s_cbranch_execz .LBB73_160
	s_branch .LBB73_161
.LBB73_159:                             ;   in Loop: Header=BB73_140 Depth=1
                                        ; implicit-def: $sgpr16
.LBB73_160:                             ;   in Loop: Header=BB73_140 Depth=1
	global_load_b64 v[15:16], v6, s[0:1]
	s_add_i32 s16, s17, -8
	s_add_u32 s0, s0, 8
	s_addc_u32 s1, s1, 0
.LBB73_161:                             ;   in Loop: Header=BB73_140 Depth=1
	s_cmp_gt_u32 s16, 7
	s_cbranch_scc1 .LBB73_166
; %bb.162:                              ;   in Loop: Header=BB73_140 Depth=1
	v_mov_b32_e32 v17, 0
	v_mov_b32_e32 v18, 0
	s_cmp_eq_u32 s16, 0
	s_cbranch_scc1 .LBB73_165
; %bb.163:                              ;   in Loop: Header=BB73_140 Depth=1
	s_mov_b64 s[12:13], 0
	s_mov_b64 s[14:15], 0
.LBB73_164:                             ;   Parent Loop BB73_140 Depth=1
                                        ; =>  This Inner Loop Header: Depth=2
	s_delay_alu instid0(SALU_CYCLE_1)
	s_add_u32 s18, s0, s14
	s_addc_u32 s19, s1, s15
	s_add_u32 s14, s14, 1
	global_load_u8 v4, v6, s[18:19]
	s_addc_u32 s15, s15, 0
	s_waitcnt vmcnt(0)
	v_and_b32_e32 v5, 0xffff, v4
	s_delay_alu instid0(VALU_DEP_1) | instskip(SKIP_3) | instid1(VALU_DEP_1)
	v_lshlrev_b64 v[4:5], s12, v[5:6]
	s_add_u32 s12, s12, 8
	s_addc_u32 s13, s13, 0
	s_cmp_lg_u32 s16, s14
	v_or_b32_e32 v17, v4, v17
	s_delay_alu instid0(VALU_DEP_2)
	v_or_b32_e32 v18, v5, v18
	s_cbranch_scc1 .LBB73_164
.LBB73_165:                             ;   in Loop: Header=BB73_140 Depth=1
	s_mov_b32 s17, 0
	s_cbranch_execz .LBB73_167
	s_branch .LBB73_168
.LBB73_166:                             ;   in Loop: Header=BB73_140 Depth=1
                                        ; implicit-def: $vgpr17_vgpr18
                                        ; implicit-def: $sgpr17
.LBB73_167:                             ;   in Loop: Header=BB73_140 Depth=1
	global_load_b64 v[17:18], v6, s[0:1]
	s_add_i32 s17, s16, -8
	s_add_u32 s0, s0, 8
	s_addc_u32 s1, s1, 0
.LBB73_168:                             ;   in Loop: Header=BB73_140 Depth=1
	s_cmp_gt_u32 s17, 7
	s_cbranch_scc1 .LBB73_173
; %bb.169:                              ;   in Loop: Header=BB73_140 Depth=1
	v_mov_b32_e32 v19, 0
	v_mov_b32_e32 v20, 0
	s_cmp_eq_u32 s17, 0
	s_cbranch_scc1 .LBB73_172
; %bb.170:                              ;   in Loop: Header=BB73_140 Depth=1
	s_mov_b64 s[12:13], 0
	s_mov_b64 s[14:15], 0
.LBB73_171:                             ;   Parent Loop BB73_140 Depth=1
                                        ; =>  This Inner Loop Header: Depth=2
	s_delay_alu instid0(SALU_CYCLE_1)
	s_add_u32 s18, s0, s14
	s_addc_u32 s19, s1, s15
	s_add_u32 s14, s14, 1
	global_load_u8 v4, v6, s[18:19]
	s_addc_u32 s15, s15, 0
	s_waitcnt vmcnt(0)
	v_and_b32_e32 v5, 0xffff, v4
	s_delay_alu instid0(VALU_DEP_1) | instskip(SKIP_3) | instid1(VALU_DEP_1)
	v_lshlrev_b64 v[4:5], s12, v[5:6]
	s_add_u32 s12, s12, 8
	s_addc_u32 s13, s13, 0
	s_cmp_lg_u32 s17, s14
	v_or_b32_e32 v19, v4, v19
	s_delay_alu instid0(VALU_DEP_2)
	v_or_b32_e32 v20, v5, v20
	s_cbranch_scc1 .LBB73_171
.LBB73_172:                             ;   in Loop: Header=BB73_140 Depth=1
	s_mov_b32 s16, 0
	s_cbranch_execz .LBB73_174
	s_branch .LBB73_175
.LBB73_173:                             ;   in Loop: Header=BB73_140 Depth=1
                                        ; implicit-def: $sgpr16
.LBB73_174:                             ;   in Loop: Header=BB73_140 Depth=1
	global_load_b64 v[19:20], v6, s[0:1]
	s_add_i32 s16, s17, -8
	s_add_u32 s0, s0, 8
	s_addc_u32 s1, s1, 0
.LBB73_175:                             ;   in Loop: Header=BB73_140 Depth=1
	s_cmp_gt_u32 s16, 7
	s_cbranch_scc1 .LBB73_180
; %bb.176:                              ;   in Loop: Header=BB73_140 Depth=1
	v_mov_b32_e32 v21, 0
	v_mov_b32_e32 v22, 0
	s_cmp_eq_u32 s16, 0
	s_cbranch_scc1 .LBB73_179
; %bb.177:                              ;   in Loop: Header=BB73_140 Depth=1
	s_mov_b64 s[12:13], 0
	s_mov_b64 s[14:15], 0
.LBB73_178:                             ;   Parent Loop BB73_140 Depth=1
                                        ; =>  This Inner Loop Header: Depth=2
	s_delay_alu instid0(SALU_CYCLE_1)
	s_add_u32 s18, s0, s14
	s_addc_u32 s19, s1, s15
	s_add_u32 s14, s14, 1
	global_load_u8 v4, v6, s[18:19]
	s_addc_u32 s15, s15, 0
	s_waitcnt vmcnt(0)
	v_and_b32_e32 v5, 0xffff, v4
	s_delay_alu instid0(VALU_DEP_1) | instskip(SKIP_3) | instid1(VALU_DEP_1)
	v_lshlrev_b64 v[4:5], s12, v[5:6]
	s_add_u32 s12, s12, 8
	s_addc_u32 s13, s13, 0
	s_cmp_lg_u32 s16, s14
	v_or_b32_e32 v21, v4, v21
	s_delay_alu instid0(VALU_DEP_2)
	v_or_b32_e32 v22, v5, v22
	s_cbranch_scc1 .LBB73_178
.LBB73_179:                             ;   in Loop: Header=BB73_140 Depth=1
	s_mov_b32 s17, 0
	s_cbranch_execz .LBB73_181
	s_branch .LBB73_182
.LBB73_180:                             ;   in Loop: Header=BB73_140 Depth=1
                                        ; implicit-def: $vgpr21_vgpr22
                                        ; implicit-def: $sgpr17
.LBB73_181:                             ;   in Loop: Header=BB73_140 Depth=1
	global_load_b64 v[21:22], v6, s[0:1]
	s_add_i32 s17, s16, -8
	s_add_u32 s0, s0, 8
	s_addc_u32 s1, s1, 0
.LBB73_182:                             ;   in Loop: Header=BB73_140 Depth=1
	s_cmp_gt_u32 s17, 7
	s_cbranch_scc1 .LBB73_187
; %bb.183:                              ;   in Loop: Header=BB73_140 Depth=1
	v_mov_b32_e32 v23, 0
	v_mov_b32_e32 v24, 0
	s_cmp_eq_u32 s17, 0
	s_cbranch_scc1 .LBB73_186
; %bb.184:                              ;   in Loop: Header=BB73_140 Depth=1
	s_mov_b64 s[12:13], 0
	s_mov_b64 s[14:15], s[0:1]
.LBB73_185:                             ;   Parent Loop BB73_140 Depth=1
                                        ; =>  This Inner Loop Header: Depth=2
	global_load_u8 v4, v6, s[14:15]
	s_add_i32 s17, s17, -1
	s_waitcnt vmcnt(0)
	v_and_b32_e32 v5, 0xffff, v4
	s_delay_alu instid0(VALU_DEP_1)
	v_lshlrev_b64 v[4:5], s12, v[5:6]
	s_add_u32 s12, s12, 8
	s_addc_u32 s13, s13, 0
	s_add_u32 s14, s14, 1
	s_addc_u32 s15, s15, 0
	s_cmp_lg_u32 s17, 0
	v_or_b32_e32 v23, v4, v23
	v_or_b32_e32 v24, v5, v24
	s_cbranch_scc1 .LBB73_185
.LBB73_186:                             ;   in Loop: Header=BB73_140 Depth=1
	s_cbranch_execz .LBB73_188
	s_branch .LBB73_189
.LBB73_187:                             ;   in Loop: Header=BB73_140 Depth=1
.LBB73_188:                             ;   in Loop: Header=BB73_140 Depth=1
	global_load_b64 v[23:24], v6, s[0:1]
.LBB73_189:                             ;   in Loop: Header=BB73_140 Depth=1
	v_readfirstlane_b32 s0, v32
	s_waitcnt vmcnt(0)
	v_mov_b32_e32 v4, 0
	v_mov_b32_e32 v5, 0
	s_delay_alu instid0(VALU_DEP_3) | instskip(NEXT) | instid1(VALU_DEP_1)
	v_cmp_eq_u32_e64 s0, s0, v32
	s_and_saveexec_b32 s1, s0
	s_cbranch_execz .LBB73_195
; %bb.190:                              ;   in Loop: Header=BB73_140 Depth=1
	global_load_b64 v[27:28], v6, s[2:3] offset:24 glc
	s_waitcnt vmcnt(0)
	buffer_gl1_inv
	buffer_gl0_inv
	s_clause 0x1
	global_load_b64 v[4:5], v6, s[2:3] offset:40
	global_load_b64 v[9:10], v6, s[2:3]
	s_mov_b32 s12, exec_lo
	s_waitcnt vmcnt(1)
	v_and_b32_e32 v5, v5, v28
	v_and_b32_e32 v4, v4, v27
	s_delay_alu instid0(VALU_DEP_2) | instskip(NEXT) | instid1(VALU_DEP_2)
	v_mul_lo_u32 v5, v5, 24
	v_mul_hi_u32 v25, v4, 24
	v_mul_lo_u32 v4, v4, 24
	s_delay_alu instid0(VALU_DEP_2) | instskip(SKIP_1) | instid1(VALU_DEP_2)
	v_add_nc_u32_e32 v5, v25, v5
	s_waitcnt vmcnt(0)
	v_add_co_u32 v4, vcc_lo, v9, v4
	s_delay_alu instid0(VALU_DEP_2)
	v_add_co_ci_u32_e32 v5, vcc_lo, v10, v5, vcc_lo
	global_load_b64 v[25:26], v[4:5], off glc
	s_waitcnt vmcnt(0)
	global_atomic_cmpswap_b64 v[4:5], v6, v[25:28], s[2:3] offset:24 glc
	s_waitcnt vmcnt(0)
	buffer_gl1_inv
	buffer_gl0_inv
	v_cmpx_ne_u64_e64 v[4:5], v[27:28]
	s_cbranch_execz .LBB73_194
; %bb.191:                              ;   in Loop: Header=BB73_140 Depth=1
	s_mov_b32 s13, 0
	.p2align	6
.LBB73_192:                             ;   Parent Loop BB73_140 Depth=1
                                        ; =>  This Inner Loop Header: Depth=2
	s_sleep 1
	s_clause 0x1
	global_load_b64 v[9:10], v6, s[2:3] offset:40
	global_load_b64 v[25:26], v6, s[2:3]
	v_dual_mov_b32 v28, v5 :: v_dual_mov_b32 v27, v4
	s_waitcnt vmcnt(1)
	s_delay_alu instid0(VALU_DEP_1) | instskip(SKIP_1) | instid1(VALU_DEP_1)
	v_and_b32_e32 v9, v9, v27
	s_waitcnt vmcnt(0)
	v_mad_u64_u32 v[4:5], null, v9, 24, v[25:26]
	v_and_b32_e32 v25, v10, v28
	s_delay_alu instid0(VALU_DEP_1) | instskip(NEXT) | instid1(VALU_DEP_1)
	v_mad_u64_u32 v[9:10], null, v25, 24, v[5:6]
	v_mov_b32_e32 v5, v9
	global_load_b64 v[25:26], v[4:5], off glc
	s_waitcnt vmcnt(0)
	global_atomic_cmpswap_b64 v[4:5], v6, v[25:28], s[2:3] offset:24 glc
	s_waitcnt vmcnt(0)
	buffer_gl1_inv
	buffer_gl0_inv
	v_cmp_eq_u64_e32 vcc_lo, v[4:5], v[27:28]
	s_or_b32 s13, vcc_lo, s13
	s_delay_alu instid0(SALU_CYCLE_1)
	s_and_not1_b32 exec_lo, exec_lo, s13
	s_cbranch_execnz .LBB73_192
; %bb.193:                              ;   in Loop: Header=BB73_140 Depth=1
	s_or_b32 exec_lo, exec_lo, s13
.LBB73_194:                             ;   in Loop: Header=BB73_140 Depth=1
	s_delay_alu instid0(SALU_CYCLE_1)
	s_or_b32 exec_lo, exec_lo, s12
.LBB73_195:                             ;   in Loop: Header=BB73_140 Depth=1
	s_delay_alu instid0(SALU_CYCLE_1)
	s_or_b32 exec_lo, exec_lo, s1
	s_clause 0x1
	global_load_b64 v[9:10], v6, s[2:3] offset:40
	global_load_b128 v[25:28], v6, s[2:3]
	v_readfirstlane_b32 s12, v4
	v_readfirstlane_b32 s13, v5
	s_mov_b32 s1, exec_lo
	s_waitcnt vmcnt(1)
	v_readfirstlane_b32 s14, v9
	v_readfirstlane_b32 s15, v10
	s_delay_alu instid0(VALU_DEP_1) | instskip(NEXT) | instid1(SALU_CYCLE_1)
	s_and_b64 s[14:15], s[12:13], s[14:15]
	s_mul_i32 s16, s15, 24
	s_mul_hi_u32 s17, s14, 24
	s_mul_i32 s18, s14, 24
	s_add_i32 s17, s17, s16
	s_waitcnt vmcnt(0)
	v_add_co_u32 v29, vcc_lo, v25, s18
	v_add_co_ci_u32_e32 v30, vcc_lo, s17, v26, vcc_lo
	s_and_saveexec_b32 s16, s0
	s_cbranch_execz .LBB73_197
; %bb.196:                              ;   in Loop: Header=BB73_140 Depth=1
	v_mov_b32_e32 v5, s1
	global_store_b128 v[29:30], v[5:8], off offset:8
.LBB73_197:                             ;   in Loop: Header=BB73_140 Depth=1
	s_or_b32 exec_lo, exec_lo, s16
	s_lshl_b64 s[14:15], s[14:15], 12
	v_cmp_gt_u64_e64 vcc_lo, s[4:5], 56
	v_or_b32_e32 v5, v2, v33
	v_add_co_u32 v27, s1, v27, s14
	s_delay_alu instid0(VALU_DEP_1)
	v_add_co_ci_u32_e64 v28, s1, s15, v28, s1
	s_lshl_b32 s1, s10, 2
	v_or_b32_e32 v4, 0, v3
	v_cndmask_b32_e32 v2, v5, v2, vcc_lo
	s_add_i32 s1, s1, 28
	v_readfirstlane_b32 s14, v27
	s_and_b32 s1, s1, 0x1e0
	v_cndmask_b32_e32 v10, v4, v3, vcc_lo
	v_readfirstlane_b32 s15, v28
	v_and_or_b32 v9, 0xffffff1f, v2, s1
	s_clause 0x3
	global_store_b128 v31, v[9:12], s[14:15]
	global_store_b128 v31, v[13:16], s[14:15] offset:16
	global_store_b128 v31, v[17:20], s[14:15] offset:32
	;; [unrolled: 1-line block ×3, first 2 shown]
	s_and_saveexec_b32 s1, s0
	s_cbranch_execz .LBB73_205
; %bb.198:                              ;   in Loop: Header=BB73_140 Depth=1
	s_clause 0x1
	global_load_b64 v[13:14], v6, s[2:3] offset:32 glc
	global_load_b64 v[2:3], v6, s[2:3] offset:40
	v_dual_mov_b32 v11, s12 :: v_dual_mov_b32 v12, s13
	s_waitcnt vmcnt(0)
	v_readfirstlane_b32 s14, v2
	v_readfirstlane_b32 s15, v3
	s_delay_alu instid0(VALU_DEP_1) | instskip(NEXT) | instid1(SALU_CYCLE_1)
	s_and_b64 s[14:15], s[14:15], s[12:13]
	s_mul_i32 s15, s15, 24
	s_mul_hi_u32 s16, s14, 24
	s_mul_i32 s14, s14, 24
	s_add_i32 s16, s16, s15
	v_add_co_u32 v9, vcc_lo, v25, s14
	v_add_co_ci_u32_e32 v10, vcc_lo, s16, v26, vcc_lo
	s_mov_b32 s14, exec_lo
	global_store_b64 v[9:10], v[13:14], off
	s_waitcnt_vscnt null, 0x0
	global_atomic_cmpswap_b64 v[4:5], v6, v[11:14], s[2:3] offset:32 glc
	s_waitcnt vmcnt(0)
	v_cmpx_ne_u64_e64 v[4:5], v[13:14]
	s_cbranch_execz .LBB73_201
; %bb.199:                              ;   in Loop: Header=BB73_140 Depth=1
	s_mov_b32 s15, 0
.LBB73_200:                             ;   Parent Loop BB73_140 Depth=1
                                        ; =>  This Inner Loop Header: Depth=2
	v_dual_mov_b32 v2, s12 :: v_dual_mov_b32 v3, s13
	s_sleep 1
	global_store_b64 v[9:10], v[4:5], off
	s_waitcnt_vscnt null, 0x0
	global_atomic_cmpswap_b64 v[2:3], v6, v[2:5], s[2:3] offset:32 glc
	s_waitcnt vmcnt(0)
	v_cmp_eq_u64_e32 vcc_lo, v[2:3], v[4:5]
	v_dual_mov_b32 v5, v3 :: v_dual_mov_b32 v4, v2
	s_or_b32 s15, vcc_lo, s15
	s_delay_alu instid0(SALU_CYCLE_1)
	s_and_not1_b32 exec_lo, exec_lo, s15
	s_cbranch_execnz .LBB73_200
.LBB73_201:                             ;   in Loop: Header=BB73_140 Depth=1
	s_or_b32 exec_lo, exec_lo, s14
	global_load_b64 v[2:3], v6, s[2:3] offset:16
	s_mov_b32 s15, exec_lo
	s_mov_b32 s14, exec_lo
	v_mbcnt_lo_u32_b32 v4, s15, 0
	s_delay_alu instid0(VALU_DEP_1)
	v_cmpx_eq_u32_e32 0, v4
	s_cbranch_execz .LBB73_203
; %bb.202:                              ;   in Loop: Header=BB73_140 Depth=1
	s_bcnt1_i32_b32 s15, s15
	s_delay_alu instid0(SALU_CYCLE_1)
	v_mov_b32_e32 v5, s15
	s_waitcnt vmcnt(0)
	global_atomic_add_u64 v[2:3], v[5:6], off offset:8
.LBB73_203:                             ;   in Loop: Header=BB73_140 Depth=1
	s_or_b32 exec_lo, exec_lo, s14
	s_waitcnt vmcnt(0)
	global_load_b64 v[9:10], v[2:3], off offset:16
	s_waitcnt vmcnt(0)
	v_cmp_eq_u64_e32 vcc_lo, 0, v[9:10]
	s_cbranch_vccnz .LBB73_205
; %bb.204:                              ;   in Loop: Header=BB73_140 Depth=1
	global_load_b32 v5, v[2:3], off offset:24
	s_waitcnt vmcnt(0)
	v_and_b32_e32 v2, 0xffffff, v5
	s_waitcnt_vscnt null, 0x0
	global_store_b64 v[9:10], v[5:6], off
	v_readfirstlane_b32 m0, v2
	s_sendmsg sendmsg(MSG_INTERRUPT)
.LBB73_205:                             ;   in Loop: Header=BB73_140 Depth=1
	s_or_b32 exec_lo, exec_lo, s1
	v_add_co_u32 v2, vcc_lo, v27, v31
	v_add_co_ci_u32_e32 v3, vcc_lo, 0, v28, vcc_lo
	s_branch .LBB73_209
	.p2align	6
.LBB73_206:                             ;   in Loop: Header=BB73_209 Depth=2
	s_or_b32 exec_lo, exec_lo, s1
	s_delay_alu instid0(VALU_DEP_1) | instskip(NEXT) | instid1(VALU_DEP_1)
	v_readfirstlane_b32 s1, v4
	s_cmp_eq_u32 s1, 0
	s_cbranch_scc1 .LBB73_208
; %bb.207:                              ;   in Loop: Header=BB73_209 Depth=2
	s_sleep 1
	s_cbranch_execnz .LBB73_209
	s_branch .LBB73_211
	.p2align	6
.LBB73_208:                             ;   in Loop: Header=BB73_140 Depth=1
	s_branch .LBB73_211
.LBB73_209:                             ;   Parent Loop BB73_140 Depth=1
                                        ; =>  This Inner Loop Header: Depth=2
	v_mov_b32_e32 v4, 1
	s_and_saveexec_b32 s1, s0
	s_cbranch_execz .LBB73_206
; %bb.210:                              ;   in Loop: Header=BB73_209 Depth=2
	global_load_b32 v4, v[29:30], off offset:20 glc
	s_waitcnt vmcnt(0)
	buffer_gl1_inv
	buffer_gl0_inv
	v_and_b32_e32 v4, 1, v4
	s_branch .LBB73_206
.LBB73_211:                             ;   in Loop: Header=BB73_140 Depth=1
	global_load_b128 v[2:5], v[2:3], off
	s_and_saveexec_b32 s1, s0
	s_cbranch_execz .LBB73_139
; %bb.212:                              ;   in Loop: Header=BB73_140 Depth=1
	s_clause 0x2
	global_load_b64 v[4:5], v6, s[2:3] offset:40
	global_load_b64 v[13:14], v6, s[2:3] offset:24 glc
	global_load_b64 v[11:12], v6, s[2:3]
	s_waitcnt vmcnt(2)
	v_add_co_u32 v15, vcc_lo, v4, 1
	v_add_co_ci_u32_e32 v16, vcc_lo, 0, v5, vcc_lo
	s_delay_alu instid0(VALU_DEP_2) | instskip(NEXT) | instid1(VALU_DEP_2)
	v_add_co_u32 v9, vcc_lo, v15, s12
	v_add_co_ci_u32_e32 v10, vcc_lo, s13, v16, vcc_lo
	s_delay_alu instid0(VALU_DEP_1) | instskip(SKIP_1) | instid1(VALU_DEP_1)
	v_cmp_eq_u64_e32 vcc_lo, 0, v[9:10]
	v_dual_cndmask_b32 v10, v10, v16 :: v_dual_cndmask_b32 v9, v9, v15
	v_and_b32_e32 v5, v10, v5
	s_delay_alu instid0(VALU_DEP_2) | instskip(NEXT) | instid1(VALU_DEP_2)
	v_and_b32_e32 v4, v9, v4
	v_mul_lo_u32 v5, v5, 24
	s_delay_alu instid0(VALU_DEP_2) | instskip(SKIP_1) | instid1(VALU_DEP_2)
	v_mul_hi_u32 v15, v4, 24
	v_mul_lo_u32 v4, v4, 24
	v_add_nc_u32_e32 v5, v15, v5
	s_waitcnt vmcnt(0)
	s_delay_alu instid0(VALU_DEP_2) | instskip(SKIP_1) | instid1(VALU_DEP_3)
	v_add_co_u32 v4, vcc_lo, v11, v4
	v_mov_b32_e32 v11, v13
	v_add_co_ci_u32_e32 v5, vcc_lo, v12, v5, vcc_lo
	v_mov_b32_e32 v12, v14
	global_store_b64 v[4:5], v[13:14], off
	s_waitcnt_vscnt null, 0x0
	global_atomic_cmpswap_b64 v[11:12], v6, v[9:12], s[2:3] offset:24 glc
	s_waitcnt vmcnt(0)
	v_cmp_ne_u64_e32 vcc_lo, v[11:12], v[13:14]
	s_and_b32 exec_lo, exec_lo, vcc_lo
	s_cbranch_execz .LBB73_139
; %bb.213:                              ;   in Loop: Header=BB73_140 Depth=1
	s_mov_b32 s0, 0
.LBB73_214:                             ;   Parent Loop BB73_140 Depth=1
                                        ; =>  This Inner Loop Header: Depth=2
	s_sleep 1
	global_store_b64 v[4:5], v[11:12], off
	s_waitcnt_vscnt null, 0x0
	global_atomic_cmpswap_b64 v[13:14], v6, v[9:12], s[2:3] offset:24 glc
	s_waitcnt vmcnt(0)
	v_cmp_eq_u64_e32 vcc_lo, v[13:14], v[11:12]
	v_dual_mov_b32 v11, v13 :: v_dual_mov_b32 v12, v14
	s_or_b32 s0, vcc_lo, s0
	s_delay_alu instid0(SALU_CYCLE_1)
	s_and_not1_b32 exec_lo, exec_lo, s0
	s_cbranch_execnz .LBB73_214
	s_branch .LBB73_139
.LBB73_215:
                                        ; implicit-def: $vgpr2_vgpr3
	s_cbranch_execnz .LBB73_217
	s_branch .LBB73_244
.LBB73_216:
	s_branch .LBB73_244
.LBB73_217:
	v_readfirstlane_b32 s0, v32
	v_mov_b32_e32 v8, 0
	v_mov_b32_e32 v9, 0
	s_delay_alu instid0(VALU_DEP_3) | instskip(NEXT) | instid1(VALU_DEP_1)
	v_cmp_eq_u32_e64 s0, s0, v32
	s_and_saveexec_b32 s1, s0
	s_cbranch_execz .LBB73_223
; %bb.218:
	s_waitcnt vmcnt(0)
	v_mov_b32_e32 v2, 0
	s_mov_b32 s4, exec_lo
	global_load_b64 v[5:6], v2, s[2:3] offset:24 glc
	s_waitcnt vmcnt(0)
	buffer_gl1_inv
	buffer_gl0_inv
	s_clause 0x1
	global_load_b64 v[3:4], v2, s[2:3] offset:40
	global_load_b64 v[7:8], v2, s[2:3]
	s_waitcnt vmcnt(1)
	v_and_b32_e32 v3, v3, v5
	v_and_b32_e32 v4, v4, v6
	s_delay_alu instid0(VALU_DEP_2) | instskip(NEXT) | instid1(VALU_DEP_2)
	v_mul_hi_u32 v9, v3, 24
	v_mul_lo_u32 v4, v4, 24
	v_mul_lo_u32 v3, v3, 24
	s_delay_alu instid0(VALU_DEP_2) | instskip(SKIP_1) | instid1(VALU_DEP_2)
	v_add_nc_u32_e32 v4, v9, v4
	s_waitcnt vmcnt(0)
	v_add_co_u32 v3, vcc_lo, v7, v3
	s_delay_alu instid0(VALU_DEP_2)
	v_add_co_ci_u32_e32 v4, vcc_lo, v8, v4, vcc_lo
	global_load_b64 v[3:4], v[3:4], off glc
	s_waitcnt vmcnt(0)
	global_atomic_cmpswap_b64 v[8:9], v2, v[3:6], s[2:3] offset:24 glc
	s_waitcnt vmcnt(0)
	buffer_gl1_inv
	buffer_gl0_inv
	v_cmpx_ne_u64_e64 v[8:9], v[5:6]
	s_cbranch_execz .LBB73_222
; %bb.219:
	s_mov_b32 s5, 0
	.p2align	6
.LBB73_220:                             ; =>This Inner Loop Header: Depth=1
	s_sleep 1
	s_clause 0x1
	global_load_b64 v[3:4], v2, s[2:3] offset:40
	global_load_b64 v[10:11], v2, s[2:3]
	v_dual_mov_b32 v5, v8 :: v_dual_mov_b32 v6, v9
	s_waitcnt vmcnt(1)
	s_delay_alu instid0(VALU_DEP_1) | instskip(NEXT) | instid1(VALU_DEP_2)
	v_and_b32_e32 v3, v3, v5
	v_and_b32_e32 v4, v4, v6
	s_waitcnt vmcnt(0)
	s_delay_alu instid0(VALU_DEP_2) | instskip(NEXT) | instid1(VALU_DEP_1)
	v_mad_u64_u32 v[7:8], null, v3, 24, v[10:11]
	v_mov_b32_e32 v3, v8
	s_delay_alu instid0(VALU_DEP_1)
	v_mad_u64_u32 v[8:9], null, v4, 24, v[3:4]
	global_load_b64 v[3:4], v[7:8], off glc
	s_waitcnt vmcnt(0)
	global_atomic_cmpswap_b64 v[8:9], v2, v[3:6], s[2:3] offset:24 glc
	s_waitcnt vmcnt(0)
	buffer_gl1_inv
	buffer_gl0_inv
	v_cmp_eq_u64_e32 vcc_lo, v[8:9], v[5:6]
	s_or_b32 s5, vcc_lo, s5
	s_delay_alu instid0(SALU_CYCLE_1)
	s_and_not1_b32 exec_lo, exec_lo, s5
	s_cbranch_execnz .LBB73_220
; %bb.221:
	s_or_b32 exec_lo, exec_lo, s5
.LBB73_222:
	s_delay_alu instid0(SALU_CYCLE_1)
	s_or_b32 exec_lo, exec_lo, s4
.LBB73_223:
	s_delay_alu instid0(SALU_CYCLE_1)
	s_or_b32 exec_lo, exec_lo, s1
	s_waitcnt vmcnt(0)
	v_mov_b32_e32 v2, 0
	v_readfirstlane_b32 s4, v8
	v_readfirstlane_b32 s5, v9
	s_mov_b32 s1, exec_lo
	s_clause 0x1
	global_load_b64 v[10:11], v2, s[2:3] offset:40
	global_load_b128 v[4:7], v2, s[2:3]
	s_waitcnt vmcnt(1)
	v_readfirstlane_b32 s6, v10
	v_readfirstlane_b32 s7, v11
	s_delay_alu instid0(VALU_DEP_1) | instskip(NEXT) | instid1(SALU_CYCLE_1)
	s_and_b64 s[6:7], s[4:5], s[6:7]
	s_mul_i32 s10, s7, 24
	s_mul_hi_u32 s11, s6, 24
	s_mul_i32 s12, s6, 24
	s_add_i32 s11, s11, s10
	s_waitcnt vmcnt(0)
	v_add_co_u32 v8, vcc_lo, v4, s12
	v_add_co_ci_u32_e32 v9, vcc_lo, s11, v5, vcc_lo
	s_and_saveexec_b32 s10, s0
	s_cbranch_execz .LBB73_225
; %bb.224:
	v_dual_mov_b32 v10, s1 :: v_dual_mov_b32 v11, v2
	v_dual_mov_b32 v12, 2 :: v_dual_mov_b32 v13, 1
	global_store_b128 v[8:9], v[10:13], off offset:8
.LBB73_225:
	s_or_b32 exec_lo, exec_lo, s10
	s_lshl_b64 s[6:7], s[6:7], 12
	s_mov_b32 s12, 0
	v_add_co_u32 v6, vcc_lo, v6, s6
	v_add_co_ci_u32_e32 v7, vcc_lo, s7, v7, vcc_lo
	s_mov_b32 s13, s12
	s_delay_alu instid0(VALU_DEP_2)
	v_readfirstlane_b32 s6, v6
	v_add_co_u32 v6, vcc_lo, v6, v31
	s_mov_b32 s14, s12
	s_mov_b32 s15, s12
	v_and_or_b32 v0, 0xffffff1f, v0, 32
	v_dual_mov_b32 v3, v2 :: v_dual_mov_b32 v10, s12
	v_readfirstlane_b32 s7, v7
	v_add_co_ci_u32_e32 v7, vcc_lo, 0, v7, vcc_lo
	v_dual_mov_b32 v11, s13 :: v_dual_mov_b32 v12, s14
	v_mov_b32_e32 v13, s15
	s_clause 0x3
	global_store_b128 v31, v[0:3], s[6:7]
	global_store_b128 v31, v[10:13], s[6:7] offset:16
	global_store_b128 v31, v[10:13], s[6:7] offset:32
	global_store_b128 v31, v[10:13], s[6:7] offset:48
	s_and_saveexec_b32 s1, s0
	s_cbranch_execz .LBB73_233
; %bb.226:
	v_dual_mov_b32 v10, 0 :: v_dual_mov_b32 v11, s4
	v_mov_b32_e32 v12, s5
	s_clause 0x1
	global_load_b64 v[13:14], v10, s[2:3] offset:32 glc
	global_load_b64 v[0:1], v10, s[2:3] offset:40
	s_waitcnt vmcnt(0)
	v_readfirstlane_b32 s6, v0
	v_readfirstlane_b32 s7, v1
	s_delay_alu instid0(VALU_DEP_1) | instskip(NEXT) | instid1(SALU_CYCLE_1)
	s_and_b64 s[6:7], s[6:7], s[4:5]
	s_mul_i32 s7, s7, 24
	s_mul_hi_u32 s10, s6, 24
	s_mul_i32 s6, s6, 24
	s_add_i32 s10, s10, s7
	v_add_co_u32 v4, vcc_lo, v4, s6
	v_add_co_ci_u32_e32 v5, vcc_lo, s10, v5, vcc_lo
	s_mov_b32 s6, exec_lo
	global_store_b64 v[4:5], v[13:14], off
	s_waitcnt_vscnt null, 0x0
	global_atomic_cmpswap_b64 v[2:3], v10, v[11:14], s[2:3] offset:32 glc
	s_waitcnt vmcnt(0)
	v_cmpx_ne_u64_e64 v[2:3], v[13:14]
	s_cbranch_execz .LBB73_229
; %bb.227:
	s_mov_b32 s7, 0
.LBB73_228:                             ; =>This Inner Loop Header: Depth=1
	v_dual_mov_b32 v0, s4 :: v_dual_mov_b32 v1, s5
	s_sleep 1
	global_store_b64 v[4:5], v[2:3], off
	s_waitcnt_vscnt null, 0x0
	global_atomic_cmpswap_b64 v[0:1], v10, v[0:3], s[2:3] offset:32 glc
	s_waitcnt vmcnt(0)
	v_cmp_eq_u64_e32 vcc_lo, v[0:1], v[2:3]
	v_dual_mov_b32 v3, v1 :: v_dual_mov_b32 v2, v0
	s_or_b32 s7, vcc_lo, s7
	s_delay_alu instid0(SALU_CYCLE_1)
	s_and_not1_b32 exec_lo, exec_lo, s7
	s_cbranch_execnz .LBB73_228
.LBB73_229:
	s_or_b32 exec_lo, exec_lo, s6
	v_mov_b32_e32 v3, 0
	s_mov_b32 s7, exec_lo
	s_mov_b32 s6, exec_lo
	v_mbcnt_lo_u32_b32 v2, s7, 0
	global_load_b64 v[0:1], v3, s[2:3] offset:16
	v_cmpx_eq_u32_e32 0, v2
	s_cbranch_execz .LBB73_231
; %bb.230:
	s_bcnt1_i32_b32 s7, s7
	s_delay_alu instid0(SALU_CYCLE_1)
	v_mov_b32_e32 v2, s7
	s_waitcnt vmcnt(0)
	global_atomic_add_u64 v[0:1], v[2:3], off offset:8
.LBB73_231:
	s_or_b32 exec_lo, exec_lo, s6
	s_waitcnt vmcnt(0)
	global_load_b64 v[2:3], v[0:1], off offset:16
	s_waitcnt vmcnt(0)
	v_cmp_eq_u64_e32 vcc_lo, 0, v[2:3]
	s_cbranch_vccnz .LBB73_233
; %bb.232:
	global_load_b32 v0, v[0:1], off offset:24
	s_waitcnt vmcnt(0)
	v_dual_mov_b32 v1, 0 :: v_dual_and_b32 v4, 0xffffff, v0
	s_waitcnt_vscnt null, 0x0
	global_store_b64 v[2:3], v[0:1], off
	v_readfirstlane_b32 m0, v4
	s_sendmsg sendmsg(MSG_INTERRUPT)
.LBB73_233:
	s_or_b32 exec_lo, exec_lo, s1
	s_branch .LBB73_237
	.p2align	6
.LBB73_234:                             ;   in Loop: Header=BB73_237 Depth=1
	s_or_b32 exec_lo, exec_lo, s1
	s_delay_alu instid0(VALU_DEP_1) | instskip(NEXT) | instid1(VALU_DEP_1)
	v_readfirstlane_b32 s1, v0
	s_cmp_eq_u32 s1, 0
	s_cbranch_scc1 .LBB73_236
; %bb.235:                              ;   in Loop: Header=BB73_237 Depth=1
	s_sleep 1
	s_cbranch_execnz .LBB73_237
	s_branch .LBB73_239
	.p2align	6
.LBB73_236:
	s_branch .LBB73_239
.LBB73_237:                             ; =>This Inner Loop Header: Depth=1
	v_mov_b32_e32 v0, 1
	s_and_saveexec_b32 s1, s0
	s_cbranch_execz .LBB73_234
; %bb.238:                              ;   in Loop: Header=BB73_237 Depth=1
	global_load_b32 v0, v[8:9], off offset:20 glc
	s_waitcnt vmcnt(0)
	buffer_gl1_inv
	buffer_gl0_inv
	v_and_b32_e32 v0, 1, v0
	s_branch .LBB73_234
.LBB73_239:
	global_load_b64 v[2:3], v[6:7], off
	s_and_saveexec_b32 s1, s0
	s_cbranch_execz .LBB73_243
; %bb.240:
	v_mov_b32_e32 v8, 0
	s_clause 0x2
	global_load_b64 v[0:1], v8, s[2:3] offset:40
	global_load_b64 v[9:10], v8, s[2:3] offset:24 glc
	global_load_b64 v[6:7], v8, s[2:3]
	s_waitcnt vmcnt(2)
	v_add_co_u32 v11, vcc_lo, v0, 1
	v_add_co_ci_u32_e32 v12, vcc_lo, 0, v1, vcc_lo
	s_delay_alu instid0(VALU_DEP_2) | instskip(NEXT) | instid1(VALU_DEP_2)
	v_add_co_u32 v4, vcc_lo, v11, s4
	v_add_co_ci_u32_e32 v5, vcc_lo, s5, v12, vcc_lo
	s_delay_alu instid0(VALU_DEP_1) | instskip(SKIP_1) | instid1(VALU_DEP_1)
	v_cmp_eq_u64_e32 vcc_lo, 0, v[4:5]
	v_dual_cndmask_b32 v5, v5, v12 :: v_dual_cndmask_b32 v4, v4, v11
	v_and_b32_e32 v1, v5, v1
	s_delay_alu instid0(VALU_DEP_2) | instskip(NEXT) | instid1(VALU_DEP_2)
	v_and_b32_e32 v0, v4, v0
	v_mul_lo_u32 v1, v1, 24
	s_delay_alu instid0(VALU_DEP_2) | instskip(SKIP_1) | instid1(VALU_DEP_2)
	v_mul_hi_u32 v11, v0, 24
	v_mul_lo_u32 v0, v0, 24
	v_add_nc_u32_e32 v1, v11, v1
	s_waitcnt vmcnt(0)
	s_delay_alu instid0(VALU_DEP_2) | instskip(SKIP_1) | instid1(VALU_DEP_3)
	v_add_co_u32 v0, vcc_lo, v6, v0
	v_mov_b32_e32 v6, v9
	v_add_co_ci_u32_e32 v1, vcc_lo, v7, v1, vcc_lo
	v_mov_b32_e32 v7, v10
	global_store_b64 v[0:1], v[9:10], off
	s_waitcnt_vscnt null, 0x0
	global_atomic_cmpswap_b64 v[6:7], v8, v[4:7], s[2:3] offset:24 glc
	s_waitcnt vmcnt(0)
	v_cmp_ne_u64_e32 vcc_lo, v[6:7], v[9:10]
	s_and_b32 exec_lo, exec_lo, vcc_lo
	s_cbranch_execz .LBB73_243
; %bb.241:
	s_mov_b32 s0, 0
.LBB73_242:                             ; =>This Inner Loop Header: Depth=1
	s_sleep 1
	global_store_b64 v[0:1], v[6:7], off
	s_waitcnt_vscnt null, 0x0
	global_atomic_cmpswap_b64 v[9:10], v8, v[4:7], s[2:3] offset:24 glc
	s_waitcnt vmcnt(0)
	v_cmp_eq_u64_e32 vcc_lo, v[9:10], v[6:7]
	v_dual_mov_b32 v6, v9 :: v_dual_mov_b32 v7, v10
	s_or_b32 s0, vcc_lo, s0
	s_delay_alu instid0(SALU_CYCLE_1)
	s_and_not1_b32 exec_lo, exec_lo, s0
	s_cbranch_execnz .LBB73_242
.LBB73_243:
	s_or_b32 exec_lo, exec_lo, s1
.LBB73_244:
	v_readfirstlane_b32 s0, v32
	s_waitcnt vmcnt(0)
	v_mov_b32_e32 v0, 0
	v_mov_b32_e32 v1, 0
	s_delay_alu instid0(VALU_DEP_3) | instskip(NEXT) | instid1(VALU_DEP_1)
	v_cmp_eq_u32_e64 s0, s0, v32
	s_and_saveexec_b32 s1, s0
	s_cbranch_execz .LBB73_250
; %bb.245:
	v_mov_b32_e32 v4, 0
	s_mov_b32 s4, exec_lo
	global_load_b64 v[7:8], v4, s[2:3] offset:24 glc
	s_waitcnt vmcnt(0)
	buffer_gl1_inv
	buffer_gl0_inv
	s_clause 0x1
	global_load_b64 v[0:1], v4, s[2:3] offset:40
	global_load_b64 v[5:6], v4, s[2:3]
	s_waitcnt vmcnt(1)
	v_and_b32_e32 v1, v1, v8
	v_and_b32_e32 v0, v0, v7
	s_delay_alu instid0(VALU_DEP_2) | instskip(NEXT) | instid1(VALU_DEP_2)
	v_mul_lo_u32 v1, v1, 24
	v_mul_hi_u32 v9, v0, 24
	v_mul_lo_u32 v0, v0, 24
	s_delay_alu instid0(VALU_DEP_2) | instskip(SKIP_1) | instid1(VALU_DEP_2)
	v_add_nc_u32_e32 v1, v9, v1
	s_waitcnt vmcnt(0)
	v_add_co_u32 v0, vcc_lo, v5, v0
	s_delay_alu instid0(VALU_DEP_2)
	v_add_co_ci_u32_e32 v1, vcc_lo, v6, v1, vcc_lo
	global_load_b64 v[5:6], v[0:1], off glc
	s_waitcnt vmcnt(0)
	global_atomic_cmpswap_b64 v[0:1], v4, v[5:8], s[2:3] offset:24 glc
	s_waitcnt vmcnt(0)
	buffer_gl1_inv
	buffer_gl0_inv
	v_cmpx_ne_u64_e64 v[0:1], v[7:8]
	s_cbranch_execz .LBB73_249
; %bb.246:
	s_mov_b32 s5, 0
	.p2align	6
.LBB73_247:                             ; =>This Inner Loop Header: Depth=1
	s_sleep 1
	s_clause 0x1
	global_load_b64 v[5:6], v4, s[2:3] offset:40
	global_load_b64 v[9:10], v4, s[2:3]
	v_dual_mov_b32 v8, v1 :: v_dual_mov_b32 v7, v0
	s_waitcnt vmcnt(1)
	s_delay_alu instid0(VALU_DEP_1) | instskip(SKIP_1) | instid1(VALU_DEP_1)
	v_and_b32_e32 v5, v5, v7
	s_waitcnt vmcnt(0)
	v_mad_u64_u32 v[0:1], null, v5, 24, v[9:10]
	v_and_b32_e32 v9, v6, v8
	s_delay_alu instid0(VALU_DEP_1) | instskip(NEXT) | instid1(VALU_DEP_1)
	v_mad_u64_u32 v[5:6], null, v9, 24, v[1:2]
	v_mov_b32_e32 v1, v5
	global_load_b64 v[5:6], v[0:1], off glc
	s_waitcnt vmcnt(0)
	global_atomic_cmpswap_b64 v[0:1], v4, v[5:8], s[2:3] offset:24 glc
	s_waitcnt vmcnt(0)
	buffer_gl1_inv
	buffer_gl0_inv
	v_cmp_eq_u64_e32 vcc_lo, v[0:1], v[7:8]
	s_or_b32 s5, vcc_lo, s5
	s_delay_alu instid0(SALU_CYCLE_1)
	s_and_not1_b32 exec_lo, exec_lo, s5
	s_cbranch_execnz .LBB73_247
; %bb.248:
	s_or_b32 exec_lo, exec_lo, s5
.LBB73_249:
	s_delay_alu instid0(SALU_CYCLE_1)
	s_or_b32 exec_lo, exec_lo, s4
.LBB73_250:
	s_delay_alu instid0(SALU_CYCLE_1)
	s_or_b32 exec_lo, exec_lo, s1
	v_mov_b32_e32 v5, 0
	v_readfirstlane_b32 s4, v0
	v_readfirstlane_b32 s5, v1
	s_mov_b32 s1, exec_lo
	s_clause 0x1
	global_load_b64 v[10:11], v5, s[2:3] offset:40
	global_load_b128 v[6:9], v5, s[2:3]
	s_waitcnt vmcnt(1)
	v_readfirstlane_b32 s6, v10
	v_readfirstlane_b32 s7, v11
	s_delay_alu instid0(VALU_DEP_1) | instskip(NEXT) | instid1(SALU_CYCLE_1)
	s_and_b64 s[6:7], s[4:5], s[6:7]
	s_mul_i32 s10, s7, 24
	s_mul_hi_u32 s11, s6, 24
	s_mul_i32 s12, s6, 24
	s_add_i32 s11, s11, s10
	s_waitcnt vmcnt(0)
	v_add_co_u32 v10, vcc_lo, v6, s12
	v_add_co_ci_u32_e32 v11, vcc_lo, s11, v7, vcc_lo
	s_and_saveexec_b32 s10, s0
	s_cbranch_execz .LBB73_252
; %bb.251:
	v_dual_mov_b32 v4, s1 :: v_dual_mov_b32 v15, 1
	v_dual_mov_b32 v14, 2 :: v_dual_mov_b32 v13, v5
	s_delay_alu instid0(VALU_DEP_2)
	v_mov_b32_e32 v12, v4
	global_store_b128 v[10:11], v[12:15], off offset:8
.LBB73_252:
	s_or_b32 exec_lo, exec_lo, s10
	s_lshl_b64 s[6:7], s[6:7], 12
	s_mov_b32 s12, 0
	v_add_co_u32 v0, vcc_lo, v8, s6
	v_add_co_ci_u32_e32 v1, vcc_lo, s7, v9, vcc_lo
	s_mov_b32 s13, s12
	s_delay_alu instid0(VALU_DEP_2)
	v_add_co_u32 v8, vcc_lo, v0, v31
	s_mov_b32 s14, s12
	s_mov_b32 s15, s12
	v_and_or_b32 v2, 0xffffff1f, v2, 32
	v_mov_b32_e32 v4, 0x347
	v_readfirstlane_b32 s6, v0
	v_readfirstlane_b32 s7, v1
	v_dual_mov_b32 v12, s12 :: v_dual_mov_b32 v15, s15
	v_add_co_ci_u32_e32 v9, vcc_lo, 0, v1, vcc_lo
	v_dual_mov_b32 v13, s13 :: v_dual_mov_b32 v14, s14
	s_clause 0x3
	global_store_b128 v31, v[2:5], s[6:7]
	global_store_b128 v31, v[12:15], s[6:7] offset:16
	global_store_b128 v31, v[12:15], s[6:7] offset:32
	;; [unrolled: 1-line block ×3, first 2 shown]
	s_and_saveexec_b32 s1, s0
	s_cbranch_execz .LBB73_260
; %bb.253:
	v_dual_mov_b32 v12, 0 :: v_dual_mov_b32 v13, s4
	v_mov_b32_e32 v14, s5
	s_clause 0x1
	global_load_b64 v[15:16], v12, s[2:3] offset:32 glc
	global_load_b64 v[0:1], v12, s[2:3] offset:40
	s_waitcnt vmcnt(0)
	v_readfirstlane_b32 s6, v0
	v_readfirstlane_b32 s7, v1
	s_delay_alu instid0(VALU_DEP_1) | instskip(NEXT) | instid1(SALU_CYCLE_1)
	s_and_b64 s[6:7], s[6:7], s[4:5]
	s_mul_i32 s7, s7, 24
	s_mul_hi_u32 s10, s6, 24
	s_mul_i32 s6, s6, 24
	s_add_i32 s10, s10, s7
	v_add_co_u32 v4, vcc_lo, v6, s6
	v_add_co_ci_u32_e32 v5, vcc_lo, s10, v7, vcc_lo
	s_mov_b32 s6, exec_lo
	global_store_b64 v[4:5], v[15:16], off
	s_waitcnt_vscnt null, 0x0
	global_atomic_cmpswap_b64 v[2:3], v12, v[13:16], s[2:3] offset:32 glc
	s_waitcnt vmcnt(0)
	v_cmpx_ne_u64_e64 v[2:3], v[15:16]
	s_cbranch_execz .LBB73_256
; %bb.254:
	s_mov_b32 s7, 0
.LBB73_255:                             ; =>This Inner Loop Header: Depth=1
	v_dual_mov_b32 v0, s4 :: v_dual_mov_b32 v1, s5
	s_sleep 1
	global_store_b64 v[4:5], v[2:3], off
	s_waitcnt_vscnt null, 0x0
	global_atomic_cmpswap_b64 v[0:1], v12, v[0:3], s[2:3] offset:32 glc
	s_waitcnt vmcnt(0)
	v_cmp_eq_u64_e32 vcc_lo, v[0:1], v[2:3]
	v_dual_mov_b32 v3, v1 :: v_dual_mov_b32 v2, v0
	s_or_b32 s7, vcc_lo, s7
	s_delay_alu instid0(SALU_CYCLE_1)
	s_and_not1_b32 exec_lo, exec_lo, s7
	s_cbranch_execnz .LBB73_255
.LBB73_256:
	s_or_b32 exec_lo, exec_lo, s6
	v_mov_b32_e32 v3, 0
	s_mov_b32 s7, exec_lo
	s_mov_b32 s6, exec_lo
	v_mbcnt_lo_u32_b32 v2, s7, 0
	global_load_b64 v[0:1], v3, s[2:3] offset:16
	v_cmpx_eq_u32_e32 0, v2
	s_cbranch_execz .LBB73_258
; %bb.257:
	s_bcnt1_i32_b32 s7, s7
	s_delay_alu instid0(SALU_CYCLE_1)
	v_mov_b32_e32 v2, s7
	s_waitcnt vmcnt(0)
	global_atomic_add_u64 v[0:1], v[2:3], off offset:8
.LBB73_258:
	s_or_b32 exec_lo, exec_lo, s6
	s_waitcnt vmcnt(0)
	global_load_b64 v[2:3], v[0:1], off offset:16
	s_waitcnt vmcnt(0)
	v_cmp_eq_u64_e32 vcc_lo, 0, v[2:3]
	s_cbranch_vccnz .LBB73_260
; %bb.259:
	global_load_b32 v0, v[0:1], off offset:24
	s_waitcnt vmcnt(0)
	v_dual_mov_b32 v1, 0 :: v_dual_and_b32 v4, 0xffffff, v0
	s_waitcnt_vscnt null, 0x0
	global_store_b64 v[2:3], v[0:1], off
	v_readfirstlane_b32 m0, v4
	s_sendmsg sendmsg(MSG_INTERRUPT)
.LBB73_260:
	s_or_b32 exec_lo, exec_lo, s1
	s_branch .LBB73_264
	.p2align	6
.LBB73_261:                             ;   in Loop: Header=BB73_264 Depth=1
	s_or_b32 exec_lo, exec_lo, s1
	s_delay_alu instid0(VALU_DEP_1) | instskip(NEXT) | instid1(VALU_DEP_1)
	v_readfirstlane_b32 s1, v0
	s_cmp_eq_u32 s1, 0
	s_cbranch_scc1 .LBB73_263
; %bb.262:                              ;   in Loop: Header=BB73_264 Depth=1
	s_sleep 1
	s_cbranch_execnz .LBB73_264
	s_branch .LBB73_266
	.p2align	6
.LBB73_263:
	s_branch .LBB73_266
.LBB73_264:                             ; =>This Inner Loop Header: Depth=1
	v_mov_b32_e32 v0, 1
	s_and_saveexec_b32 s1, s0
	s_cbranch_execz .LBB73_261
; %bb.265:                              ;   in Loop: Header=BB73_264 Depth=1
	global_load_b32 v0, v[10:11], off offset:20 glc
	s_waitcnt vmcnt(0)
	buffer_gl1_inv
	buffer_gl0_inv
	v_and_b32_e32 v0, 1, v0
	s_branch .LBB73_261
.LBB73_266:
	global_load_b64 v[0:1], v[8:9], off
	s_and_saveexec_b32 s1, s0
	s_cbranch_execz .LBB73_270
; %bb.267:
	v_mov_b32_e32 v8, 0
	s_clause 0x2
	global_load_b64 v[4:5], v8, s[2:3] offset:40
	global_load_b64 v[9:10], v8, s[2:3] offset:24 glc
	global_load_b64 v[6:7], v8, s[2:3]
	s_waitcnt vmcnt(2)
	v_add_co_u32 v11, vcc_lo, v4, 1
	v_add_co_ci_u32_e32 v12, vcc_lo, 0, v5, vcc_lo
	s_delay_alu instid0(VALU_DEP_2) | instskip(NEXT) | instid1(VALU_DEP_2)
	v_add_co_u32 v2, vcc_lo, v11, s4
	v_add_co_ci_u32_e32 v3, vcc_lo, s5, v12, vcc_lo
	s_delay_alu instid0(VALU_DEP_1) | instskip(SKIP_1) | instid1(VALU_DEP_1)
	v_cmp_eq_u64_e32 vcc_lo, 0, v[2:3]
	v_dual_cndmask_b32 v3, v3, v12 :: v_dual_cndmask_b32 v2, v2, v11
	v_and_b32_e32 v5, v3, v5
	s_delay_alu instid0(VALU_DEP_2) | instskip(NEXT) | instid1(VALU_DEP_2)
	v_and_b32_e32 v4, v2, v4
	v_mul_lo_u32 v5, v5, 24
	s_delay_alu instid0(VALU_DEP_2) | instskip(SKIP_1) | instid1(VALU_DEP_2)
	v_mul_hi_u32 v11, v4, 24
	v_mul_lo_u32 v4, v4, 24
	v_add_nc_u32_e32 v5, v11, v5
	s_waitcnt vmcnt(0)
	s_delay_alu instid0(VALU_DEP_2) | instskip(SKIP_1) | instid1(VALU_DEP_3)
	v_add_co_u32 v6, vcc_lo, v6, v4
	v_mov_b32_e32 v4, v9
	v_add_co_ci_u32_e32 v7, vcc_lo, v7, v5, vcc_lo
	v_mov_b32_e32 v5, v10
	global_store_b64 v[6:7], v[9:10], off
	s_waitcnt_vscnt null, 0x0
	global_atomic_cmpswap_b64 v[4:5], v8, v[2:5], s[2:3] offset:24 glc
	s_waitcnt vmcnt(0)
	v_cmp_ne_u64_e32 vcc_lo, v[4:5], v[9:10]
	s_and_b32 exec_lo, exec_lo, vcc_lo
	s_cbranch_execz .LBB73_270
; %bb.268:
	s_mov_b32 s0, 0
.LBB73_269:                             ; =>This Inner Loop Header: Depth=1
	s_sleep 1
	global_store_b64 v[6:7], v[4:5], off
	s_waitcnt_vscnt null, 0x0
	global_atomic_cmpswap_b64 v[9:10], v8, v[2:5], s[2:3] offset:24 glc
	s_waitcnt vmcnt(0)
	v_cmp_eq_u64_e32 vcc_lo, v[9:10], v[4:5]
	v_dual_mov_b32 v4, v9 :: v_dual_mov_b32 v5, v10
	s_or_b32 s0, vcc_lo, s0
	s_delay_alu instid0(SALU_CYCLE_1)
	s_and_not1_b32 exec_lo, exec_lo, s0
	s_cbranch_execnz .LBB73_269
.LBB73_270:
	s_or_b32 exec_lo, exec_lo, s1
	s_getpc_b64 s[0:1]
	s_add_u32 s0, s0, __FUNCTION__._ZL15flash_attn_tileILi40ELi40ELi8ELi8ELb1EEvPKcS1_S1_S1_S1_PKiPfP15HIP_vector_typeIfLj2EEffffjfiS5_IjLj3EEiiiiiiiiiiiliiliiiiil@rel32@lo+4
	s_addc_u32 s1, s1, __FUNCTION__._ZL15flash_attn_tileILi40ELi40ELi8ELi8ELb1EEvPKcS1_S1_S1_S1_PKiPfP15HIP_vector_typeIfLj2EEffffjfiS5_IjLj3EEiiiiiiiiiiiliiliiiiil@rel32@hi+12
	s_mov_b64 s[16:17], s[8:9]
	s_cmp_lg_u64 s[0:1], 0
	v_mov_b32_e32 v3, s1
	s_cselect_b32 s2, -1, 0
	v_mov_b32_e32 v5, 0
	v_cndmask_b32_e64 v2, 0, 1, s2
	s_getpc_b64 s[2:3]
	s_add_u32 s2, s2, __ockl_printf_append_string_n@rel32@lo+4
	s_addc_u32 s3, s3, __ockl_printf_append_string_n@rel32@hi+12
	s_delay_alu instid0(VALU_DEP_1)
	v_lshlrev_b32_e32 v4, 4, v2
	v_mov_b32_e32 v2, s0
	s_swappc_b64 s[30:31], s[2:3]
	v_dual_mov_b32 v2, 0x514 :: v_dual_mov_b32 v3, 0
	v_mov_b32_e32 v4, 1
	s_mov_b64 s[8:9], s[16:17]
	s_getpc_b64 s[0:1]
	s_add_u32 s0, s0, __ockl_printf_append_args@rel32@lo+4
	s_addc_u32 s1, s1, __ockl_printf_append_args@rel32@hi+12
	s_delay_alu instid0(SALU_CYCLE_1)
	s_swappc_b64 s[30:31], s[0:1]
	s_trap 2
	s_sendmsg_rtn_b32 s0, sendmsg(MSG_RTN_GET_DOORBELL)
	s_mov_b32 ttmp2, m0
	s_waitcnt lgkmcnt(0)
	s_and_b32 s0, s0, 0x3ff
	s_delay_alu instid0(SALU_CYCLE_1) | instskip(NEXT) | instid1(SALU_CYCLE_1)
	s_bitset1_b32 s0, 10
	s_mov_b32 m0, s0
	s_sendmsg sendmsg(MSG_INTERRUPT)
	s_mov_b32 m0, ttmp2
.LBB73_271:                             ; =>This Inner Loop Header: Depth=1
	s_sethalt 5
	s_branch .LBB73_271
.Lfunc_end73:
	.size	_ZL14no_device_codePKciS0_iS0_, .Lfunc_end73-_ZL14no_device_codePKciS0_iS0_
                                        ; -- End function
	.section	.AMDGPU.csdata,"",@progbits
; Function info:
; codeLenInByte = 10548
; NumSgprs: 36
; NumVgprs: 37
; ScratchSize: 16
; MemoryBound: 0
	.section	.text._ZL15flash_attn_tileILi40ELi40ELi8ELi8ELb1EEvPKcS1_S1_S1_S1_PKiPfP15HIP_vector_typeIfLj2EEffffjfiS5_IjLj3EEiiiiiiiiiiiliiliiiiil,"axG",@progbits,_ZL15flash_attn_tileILi40ELi40ELi8ELi8ELb1EEvPKcS1_S1_S1_S1_PKiPfP15HIP_vector_typeIfLj2EEffffjfiS5_IjLj3EEiiiiiiiiiiiliiliiiiil,comdat
	.globl	_ZL15flash_attn_tileILi40ELi40ELi8ELi8ELb1EEvPKcS1_S1_S1_S1_PKiPfP15HIP_vector_typeIfLj2EEffffjfiS5_IjLj3EEiiiiiiiiiiiliiliiiiil ; -- Begin function _ZL15flash_attn_tileILi40ELi40ELi8ELi8ELb1EEvPKcS1_S1_S1_S1_PKiPfP15HIP_vector_typeIfLj2EEffffjfiS5_IjLj3EEiiiiiiiiiiiliiliiiiil
	.p2align	8
	.type	_ZL15flash_attn_tileILi40ELi40ELi8ELi8ELb1EEvPKcS1_S1_S1_S1_PKiPfP15HIP_vector_typeIfLj2EEffffjfiS5_IjLj3EEiiiiiiiiiiiliiliiiiil,@function
_ZL15flash_attn_tileILi40ELi40ELi8ELi8ELb1EEvPKcS1_S1_S1_S1_PKiPfP15HIP_vector_typeIfLj2EEffffjfiS5_IjLj3EEiiiiiiiiiiiliiliiiiil: ; @_ZL15flash_attn_tileILi40ELi40ELi8ELi8ELb1EEvPKcS1_S1_S1_S1_PKiPfP15HIP_vector_typeIfLj2EEffffjfiS5_IjLj3EEiiiiiiiiiiiliiliiiiil
; %bb.0:
	s_add_u32 s8, s0, 0xd0
	s_addc_u32 s9, s1, 0
	s_mov_b32 s32, 0
	s_getpc_b64 s[0:1]
	s_add_u32 s0, s0, _ZL14no_device_codePKciS0_iS0_@rel32@lo+4
	s_addc_u32 s1, s1, _ZL14no_device_codePKciS0_iS0_@rel32@hi+12
	s_delay_alu instid0(SALU_CYCLE_1)
	s_swappc_b64 s[30:31], s[0:1]
	.section	.rodata,"a",@progbits
	.p2align	6, 0x0
	.amdhsa_kernel _ZL15flash_attn_tileILi40ELi40ELi8ELi8ELb1EEvPKcS1_S1_S1_S1_PKiPfP15HIP_vector_typeIfLj2EEffffjfiS5_IjLj3EEiiiiiiiiiiiliiliiiiil
		.amdhsa_group_segment_fixed_size 0
		.amdhsa_private_segment_fixed_size 16
		.amdhsa_kernarg_size 464
		.amdhsa_user_sgpr_count 15
		.amdhsa_user_sgpr_dispatch_ptr 0
		.amdhsa_user_sgpr_queue_ptr 0
		.amdhsa_user_sgpr_kernarg_segment_ptr 1
		.amdhsa_user_sgpr_dispatch_id 0
		.amdhsa_user_sgpr_private_segment_size 0
		.amdhsa_wavefront_size32 1
		.amdhsa_uses_dynamic_stack 0
		.amdhsa_enable_private_segment 1
		.amdhsa_system_sgpr_workgroup_id_x 1
		.amdhsa_system_sgpr_workgroup_id_y 0
		.amdhsa_system_sgpr_workgroup_id_z 0
		.amdhsa_system_sgpr_workgroup_info 0
		.amdhsa_system_vgpr_workitem_id 0
		.amdhsa_next_free_vgpr 37
		.amdhsa_next_free_sgpr 34
		.amdhsa_reserve_vcc 1
		.amdhsa_float_round_mode_32 0
		.amdhsa_float_round_mode_16_64 0
		.amdhsa_float_denorm_mode_32 3
		.amdhsa_float_denorm_mode_16_64 3
		.amdhsa_dx10_clamp 1
		.amdhsa_ieee_mode 1
		.amdhsa_fp16_overflow 0
		.amdhsa_workgroup_processor_mode 1
		.amdhsa_memory_ordered 1
		.amdhsa_forward_progress 0
		.amdhsa_shared_vgpr_count 0
		.amdhsa_exception_fp_ieee_invalid_op 0
		.amdhsa_exception_fp_denorm_src 0
		.amdhsa_exception_fp_ieee_div_zero 0
		.amdhsa_exception_fp_ieee_overflow 0
		.amdhsa_exception_fp_ieee_underflow 0
		.amdhsa_exception_fp_ieee_inexact 0
		.amdhsa_exception_int_div_zero 0
	.end_amdhsa_kernel
	.section	.text._ZL15flash_attn_tileILi40ELi40ELi8ELi8ELb1EEvPKcS1_S1_S1_S1_PKiPfP15HIP_vector_typeIfLj2EEffffjfiS5_IjLj3EEiiiiiiiiiiiliiliiiiil,"axG",@progbits,_ZL15flash_attn_tileILi40ELi40ELi8ELi8ELb1EEvPKcS1_S1_S1_S1_PKiPfP15HIP_vector_typeIfLj2EEffffjfiS5_IjLj3EEiiiiiiiiiiiliiliiiiil,comdat
.Lfunc_end74:
	.size	_ZL15flash_attn_tileILi40ELi40ELi8ELi8ELb1EEvPKcS1_S1_S1_S1_PKiPfP15HIP_vector_typeIfLj2EEffffjfiS5_IjLj3EEiiiiiiiiiiiliiliiiiil, .Lfunc_end74-_ZL15flash_attn_tileILi40ELi40ELi8ELi8ELb1EEvPKcS1_S1_S1_S1_PKiPfP15HIP_vector_typeIfLj2EEffffjfiS5_IjLj3EEiiiiiiiiiiiliiliiiiil
                                        ; -- End function
	.section	.AMDGPU.csdata,"",@progbits
; Kernel info:
; codeLenInByte = 44
; NumSgprs: 36
; NumVgprs: 37
; ScratchSize: 16
; MemoryBound: 0
; FloatMode: 240
; IeeeMode: 1
; LDSByteSize: 0 bytes/workgroup (compile time only)
; SGPRBlocks: 4
; VGPRBlocks: 4
; NumSGPRsForWavesPerEU: 36
; NumVGPRsForWavesPerEU: 37
; Occupancy: 16
; WaveLimiterHint : 1
; COMPUTE_PGM_RSRC2:SCRATCH_EN: 1
; COMPUTE_PGM_RSRC2:USER_SGPR: 15
; COMPUTE_PGM_RSRC2:TRAP_HANDLER: 0
; COMPUTE_PGM_RSRC2:TGID_X_EN: 1
; COMPUTE_PGM_RSRC2:TGID_Y_EN: 0
; COMPUTE_PGM_RSRC2:TGID_Z_EN: 0
; COMPUTE_PGM_RSRC2:TIDIG_COMP_CNT: 0
	.section	.text._ZL15flash_attn_tileILi40ELi40ELi4ELi8ELb1EEvPKcS1_S1_S1_S1_PKiPfP15HIP_vector_typeIfLj2EEffffjfiS5_IjLj3EEiiiiiiiiiiiliiliiiiil,"axG",@progbits,_ZL15flash_attn_tileILi40ELi40ELi4ELi8ELb1EEvPKcS1_S1_S1_S1_PKiPfP15HIP_vector_typeIfLj2EEffffjfiS5_IjLj3EEiiiiiiiiiiiliiliiiiil,comdat
	.globl	_ZL15flash_attn_tileILi40ELi40ELi4ELi8ELb1EEvPKcS1_S1_S1_S1_PKiPfP15HIP_vector_typeIfLj2EEffffjfiS5_IjLj3EEiiiiiiiiiiiliiliiiiil ; -- Begin function _ZL15flash_attn_tileILi40ELi40ELi4ELi8ELb1EEvPKcS1_S1_S1_S1_PKiPfP15HIP_vector_typeIfLj2EEffffjfiS5_IjLj3EEiiiiiiiiiiiliiliiiiil
	.p2align	8
	.type	_ZL15flash_attn_tileILi40ELi40ELi4ELi8ELb1EEvPKcS1_S1_S1_S1_PKiPfP15HIP_vector_typeIfLj2EEffffjfiS5_IjLj3EEiiiiiiiiiiiliiliiiiil,@function
_ZL15flash_attn_tileILi40ELi40ELi4ELi8ELb1EEvPKcS1_S1_S1_S1_PKiPfP15HIP_vector_typeIfLj2EEffffjfiS5_IjLj3EEiiiiiiiiiiiliiliiiiil: ; @_ZL15flash_attn_tileILi40ELi40ELi4ELi8ELb1EEvPKcS1_S1_S1_S1_PKiPfP15HIP_vector_typeIfLj2EEffffjfiS5_IjLj3EEiiiiiiiiiiiliiliiiiil
; %bb.0:
	s_add_u32 s8, s0, 0xd0
	s_addc_u32 s9, s1, 0
	s_mov_b32 s32, 0
	s_getpc_b64 s[0:1]
	s_add_u32 s0, s0, _ZL14no_device_codePKciS0_iS0_@rel32@lo+4
	s_addc_u32 s1, s1, _ZL14no_device_codePKciS0_iS0_@rel32@hi+12
	s_delay_alu instid0(SALU_CYCLE_1)
	s_swappc_b64 s[30:31], s[0:1]
	.section	.rodata,"a",@progbits
	.p2align	6, 0x0
	.amdhsa_kernel _ZL15flash_attn_tileILi40ELi40ELi4ELi8ELb1EEvPKcS1_S1_S1_S1_PKiPfP15HIP_vector_typeIfLj2EEffffjfiS5_IjLj3EEiiiiiiiiiiiliiliiiiil
		.amdhsa_group_segment_fixed_size 0
		.amdhsa_private_segment_fixed_size 16
		.amdhsa_kernarg_size 464
		.amdhsa_user_sgpr_count 15
		.amdhsa_user_sgpr_dispatch_ptr 0
		.amdhsa_user_sgpr_queue_ptr 0
		.amdhsa_user_sgpr_kernarg_segment_ptr 1
		.amdhsa_user_sgpr_dispatch_id 0
		.amdhsa_user_sgpr_private_segment_size 0
		.amdhsa_wavefront_size32 1
		.amdhsa_uses_dynamic_stack 0
		.amdhsa_enable_private_segment 1
		.amdhsa_system_sgpr_workgroup_id_x 1
		.amdhsa_system_sgpr_workgroup_id_y 0
		.amdhsa_system_sgpr_workgroup_id_z 0
		.amdhsa_system_sgpr_workgroup_info 0
		.amdhsa_system_vgpr_workitem_id 0
		.amdhsa_next_free_vgpr 37
		.amdhsa_next_free_sgpr 34
		.amdhsa_reserve_vcc 1
		.amdhsa_float_round_mode_32 0
		.amdhsa_float_round_mode_16_64 0
		.amdhsa_float_denorm_mode_32 3
		.amdhsa_float_denorm_mode_16_64 3
		.amdhsa_dx10_clamp 1
		.amdhsa_ieee_mode 1
		.amdhsa_fp16_overflow 0
		.amdhsa_workgroup_processor_mode 1
		.amdhsa_memory_ordered 1
		.amdhsa_forward_progress 0
		.amdhsa_shared_vgpr_count 0
		.amdhsa_exception_fp_ieee_invalid_op 0
		.amdhsa_exception_fp_denorm_src 0
		.amdhsa_exception_fp_ieee_div_zero 0
		.amdhsa_exception_fp_ieee_overflow 0
		.amdhsa_exception_fp_ieee_underflow 0
		.amdhsa_exception_fp_ieee_inexact 0
		.amdhsa_exception_int_div_zero 0
	.end_amdhsa_kernel
	.section	.text._ZL15flash_attn_tileILi40ELi40ELi4ELi8ELb1EEvPKcS1_S1_S1_S1_PKiPfP15HIP_vector_typeIfLj2EEffffjfiS5_IjLj3EEiiiiiiiiiiiliiliiiiil,"axG",@progbits,_ZL15flash_attn_tileILi40ELi40ELi4ELi8ELb1EEvPKcS1_S1_S1_S1_PKiPfP15HIP_vector_typeIfLj2EEffffjfiS5_IjLj3EEiiiiiiiiiiiliiliiiiil,comdat
.Lfunc_end75:
	.size	_ZL15flash_attn_tileILi40ELi40ELi4ELi8ELb1EEvPKcS1_S1_S1_S1_PKiPfP15HIP_vector_typeIfLj2EEffffjfiS5_IjLj3EEiiiiiiiiiiiliiliiiiil, .Lfunc_end75-_ZL15flash_attn_tileILi40ELi40ELi4ELi8ELb1EEvPKcS1_S1_S1_S1_PKiPfP15HIP_vector_typeIfLj2EEffffjfiS5_IjLj3EEiiiiiiiiiiiliiliiiiil
                                        ; -- End function
	.section	.AMDGPU.csdata,"",@progbits
; Kernel info:
; codeLenInByte = 44
; NumSgprs: 36
; NumVgprs: 37
; ScratchSize: 16
; MemoryBound: 0
; FloatMode: 240
; IeeeMode: 1
; LDSByteSize: 0 bytes/workgroup (compile time only)
; SGPRBlocks: 4
; VGPRBlocks: 4
; NumSGPRsForWavesPerEU: 36
; NumVGPRsForWavesPerEU: 37
; Occupancy: 16
; WaveLimiterHint : 1
; COMPUTE_PGM_RSRC2:SCRATCH_EN: 1
; COMPUTE_PGM_RSRC2:USER_SGPR: 15
; COMPUTE_PGM_RSRC2:TRAP_HANDLER: 0
; COMPUTE_PGM_RSRC2:TGID_X_EN: 1
; COMPUTE_PGM_RSRC2:TGID_Y_EN: 0
; COMPUTE_PGM_RSRC2:TGID_Z_EN: 0
; COMPUTE_PGM_RSRC2:TIDIG_COMP_CNT: 0
	.section	.text._ZL15flash_attn_tileILi40ELi40ELi2ELi8ELb1EEvPKcS1_S1_S1_S1_PKiPfP15HIP_vector_typeIfLj2EEffffjfiS5_IjLj3EEiiiiiiiiiiiliiliiiiil,"axG",@progbits,_ZL15flash_attn_tileILi40ELi40ELi2ELi8ELb1EEvPKcS1_S1_S1_S1_PKiPfP15HIP_vector_typeIfLj2EEffffjfiS5_IjLj3EEiiiiiiiiiiiliiliiiiil,comdat
	.globl	_ZL15flash_attn_tileILi40ELi40ELi2ELi8ELb1EEvPKcS1_S1_S1_S1_PKiPfP15HIP_vector_typeIfLj2EEffffjfiS5_IjLj3EEiiiiiiiiiiiliiliiiiil ; -- Begin function _ZL15flash_attn_tileILi40ELi40ELi2ELi8ELb1EEvPKcS1_S1_S1_S1_PKiPfP15HIP_vector_typeIfLj2EEffffjfiS5_IjLj3EEiiiiiiiiiiiliiliiiiil
	.p2align	8
	.type	_ZL15flash_attn_tileILi40ELi40ELi2ELi8ELb1EEvPKcS1_S1_S1_S1_PKiPfP15HIP_vector_typeIfLj2EEffffjfiS5_IjLj3EEiiiiiiiiiiiliiliiiiil,@function
_ZL15flash_attn_tileILi40ELi40ELi2ELi8ELb1EEvPKcS1_S1_S1_S1_PKiPfP15HIP_vector_typeIfLj2EEffffjfiS5_IjLj3EEiiiiiiiiiiiliiliiiiil: ; @_ZL15flash_attn_tileILi40ELi40ELi2ELi8ELb1EEvPKcS1_S1_S1_S1_PKiPfP15HIP_vector_typeIfLj2EEffffjfiS5_IjLj3EEiiiiiiiiiiiliiliiiiil
; %bb.0:
	s_add_u32 s8, s0, 0xd0
	s_addc_u32 s9, s1, 0
	s_mov_b32 s32, 0
	s_getpc_b64 s[0:1]
	s_add_u32 s0, s0, _ZL14no_device_codePKciS0_iS0_@rel32@lo+4
	s_addc_u32 s1, s1, _ZL14no_device_codePKciS0_iS0_@rel32@hi+12
	s_delay_alu instid0(SALU_CYCLE_1)
	s_swappc_b64 s[30:31], s[0:1]
	.section	.rodata,"a",@progbits
	.p2align	6, 0x0
	.amdhsa_kernel _ZL15flash_attn_tileILi40ELi40ELi2ELi8ELb1EEvPKcS1_S1_S1_S1_PKiPfP15HIP_vector_typeIfLj2EEffffjfiS5_IjLj3EEiiiiiiiiiiiliiliiiiil
		.amdhsa_group_segment_fixed_size 0
		.amdhsa_private_segment_fixed_size 16
		.amdhsa_kernarg_size 464
		.amdhsa_user_sgpr_count 15
		.amdhsa_user_sgpr_dispatch_ptr 0
		.amdhsa_user_sgpr_queue_ptr 0
		.amdhsa_user_sgpr_kernarg_segment_ptr 1
		.amdhsa_user_sgpr_dispatch_id 0
		.amdhsa_user_sgpr_private_segment_size 0
		.amdhsa_wavefront_size32 1
		.amdhsa_uses_dynamic_stack 0
		.amdhsa_enable_private_segment 1
		.amdhsa_system_sgpr_workgroup_id_x 1
		.amdhsa_system_sgpr_workgroup_id_y 0
		.amdhsa_system_sgpr_workgroup_id_z 0
		.amdhsa_system_sgpr_workgroup_info 0
		.amdhsa_system_vgpr_workitem_id 0
		.amdhsa_next_free_vgpr 37
		.amdhsa_next_free_sgpr 34
		.amdhsa_reserve_vcc 1
		.amdhsa_float_round_mode_32 0
		.amdhsa_float_round_mode_16_64 0
		.amdhsa_float_denorm_mode_32 3
		.amdhsa_float_denorm_mode_16_64 3
		.amdhsa_dx10_clamp 1
		.amdhsa_ieee_mode 1
		.amdhsa_fp16_overflow 0
		.amdhsa_workgroup_processor_mode 1
		.amdhsa_memory_ordered 1
		.amdhsa_forward_progress 0
		.amdhsa_shared_vgpr_count 0
		.amdhsa_exception_fp_ieee_invalid_op 0
		.amdhsa_exception_fp_denorm_src 0
		.amdhsa_exception_fp_ieee_div_zero 0
		.amdhsa_exception_fp_ieee_overflow 0
		.amdhsa_exception_fp_ieee_underflow 0
		.amdhsa_exception_fp_ieee_inexact 0
		.amdhsa_exception_int_div_zero 0
	.end_amdhsa_kernel
	.section	.text._ZL15flash_attn_tileILi40ELi40ELi2ELi8ELb1EEvPKcS1_S1_S1_S1_PKiPfP15HIP_vector_typeIfLj2EEffffjfiS5_IjLj3EEiiiiiiiiiiiliiliiiiil,"axG",@progbits,_ZL15flash_attn_tileILi40ELi40ELi2ELi8ELb1EEvPKcS1_S1_S1_S1_PKiPfP15HIP_vector_typeIfLj2EEffffjfiS5_IjLj3EEiiiiiiiiiiiliiliiiiil,comdat
.Lfunc_end76:
	.size	_ZL15flash_attn_tileILi40ELi40ELi2ELi8ELb1EEvPKcS1_S1_S1_S1_PKiPfP15HIP_vector_typeIfLj2EEffffjfiS5_IjLj3EEiiiiiiiiiiiliiliiiiil, .Lfunc_end76-_ZL15flash_attn_tileILi40ELi40ELi2ELi8ELb1EEvPKcS1_S1_S1_S1_PKiPfP15HIP_vector_typeIfLj2EEffffjfiS5_IjLj3EEiiiiiiiiiiiliiliiiiil
                                        ; -- End function
	.section	.AMDGPU.csdata,"",@progbits
; Kernel info:
; codeLenInByte = 44
; NumSgprs: 36
; NumVgprs: 37
; ScratchSize: 16
; MemoryBound: 0
; FloatMode: 240
; IeeeMode: 1
; LDSByteSize: 0 bytes/workgroup (compile time only)
; SGPRBlocks: 4
; VGPRBlocks: 4
; NumSGPRsForWavesPerEU: 36
; NumVGPRsForWavesPerEU: 37
; Occupancy: 16
; WaveLimiterHint : 1
; COMPUTE_PGM_RSRC2:SCRATCH_EN: 1
; COMPUTE_PGM_RSRC2:USER_SGPR: 15
; COMPUTE_PGM_RSRC2:TRAP_HANDLER: 0
; COMPUTE_PGM_RSRC2:TGID_X_EN: 1
; COMPUTE_PGM_RSRC2:TGID_Y_EN: 0
; COMPUTE_PGM_RSRC2:TGID_Z_EN: 0
; COMPUTE_PGM_RSRC2:TIDIG_COMP_CNT: 0
	.section	.text._ZL15flash_attn_tileILi40ELi40ELi1ELi8ELb1EEvPKcS1_S1_S1_S1_PKiPfP15HIP_vector_typeIfLj2EEffffjfiS5_IjLj3EEiiiiiiiiiiiliiliiiiil,"axG",@progbits,_ZL15flash_attn_tileILi40ELi40ELi1ELi8ELb1EEvPKcS1_S1_S1_S1_PKiPfP15HIP_vector_typeIfLj2EEffffjfiS5_IjLj3EEiiiiiiiiiiiliiliiiiil,comdat
	.globl	_ZL15flash_attn_tileILi40ELi40ELi1ELi8ELb1EEvPKcS1_S1_S1_S1_PKiPfP15HIP_vector_typeIfLj2EEffffjfiS5_IjLj3EEiiiiiiiiiiiliiliiiiil ; -- Begin function _ZL15flash_attn_tileILi40ELi40ELi1ELi8ELb1EEvPKcS1_S1_S1_S1_PKiPfP15HIP_vector_typeIfLj2EEffffjfiS5_IjLj3EEiiiiiiiiiiiliiliiiiil
	.p2align	8
	.type	_ZL15flash_attn_tileILi40ELi40ELi1ELi8ELb1EEvPKcS1_S1_S1_S1_PKiPfP15HIP_vector_typeIfLj2EEffffjfiS5_IjLj3EEiiiiiiiiiiiliiliiiiil,@function
_ZL15flash_attn_tileILi40ELi40ELi1ELi8ELb1EEvPKcS1_S1_S1_S1_PKiPfP15HIP_vector_typeIfLj2EEffffjfiS5_IjLj3EEiiiiiiiiiiiliiliiiiil: ; @_ZL15flash_attn_tileILi40ELi40ELi1ELi8ELb1EEvPKcS1_S1_S1_S1_PKiPfP15HIP_vector_typeIfLj2EEffffjfiS5_IjLj3EEiiiiiiiiiiiliiliiiiil
; %bb.0:
	s_add_u32 s8, s0, 0xd0
	s_addc_u32 s9, s1, 0
	s_mov_b32 s32, 0
	s_getpc_b64 s[0:1]
	s_add_u32 s0, s0, _ZL14no_device_codePKciS0_iS0_@rel32@lo+4
	s_addc_u32 s1, s1, _ZL14no_device_codePKciS0_iS0_@rel32@hi+12
	s_delay_alu instid0(SALU_CYCLE_1)
	s_swappc_b64 s[30:31], s[0:1]
	.section	.rodata,"a",@progbits
	.p2align	6, 0x0
	.amdhsa_kernel _ZL15flash_attn_tileILi40ELi40ELi1ELi8ELb1EEvPKcS1_S1_S1_S1_PKiPfP15HIP_vector_typeIfLj2EEffffjfiS5_IjLj3EEiiiiiiiiiiiliiliiiiil
		.amdhsa_group_segment_fixed_size 0
		.amdhsa_private_segment_fixed_size 16
		.amdhsa_kernarg_size 464
		.amdhsa_user_sgpr_count 15
		.amdhsa_user_sgpr_dispatch_ptr 0
		.amdhsa_user_sgpr_queue_ptr 0
		.amdhsa_user_sgpr_kernarg_segment_ptr 1
		.amdhsa_user_sgpr_dispatch_id 0
		.amdhsa_user_sgpr_private_segment_size 0
		.amdhsa_wavefront_size32 1
		.amdhsa_uses_dynamic_stack 0
		.amdhsa_enable_private_segment 1
		.amdhsa_system_sgpr_workgroup_id_x 1
		.amdhsa_system_sgpr_workgroup_id_y 0
		.amdhsa_system_sgpr_workgroup_id_z 0
		.amdhsa_system_sgpr_workgroup_info 0
		.amdhsa_system_vgpr_workitem_id 0
		.amdhsa_next_free_vgpr 37
		.amdhsa_next_free_sgpr 34
		.amdhsa_reserve_vcc 1
		.amdhsa_float_round_mode_32 0
		.amdhsa_float_round_mode_16_64 0
		.amdhsa_float_denorm_mode_32 3
		.amdhsa_float_denorm_mode_16_64 3
		.amdhsa_dx10_clamp 1
		.amdhsa_ieee_mode 1
		.amdhsa_fp16_overflow 0
		.amdhsa_workgroup_processor_mode 1
		.amdhsa_memory_ordered 1
		.amdhsa_forward_progress 0
		.amdhsa_shared_vgpr_count 0
		.amdhsa_exception_fp_ieee_invalid_op 0
		.amdhsa_exception_fp_denorm_src 0
		.amdhsa_exception_fp_ieee_div_zero 0
		.amdhsa_exception_fp_ieee_overflow 0
		.amdhsa_exception_fp_ieee_underflow 0
		.amdhsa_exception_fp_ieee_inexact 0
		.amdhsa_exception_int_div_zero 0
	.end_amdhsa_kernel
	.section	.text._ZL15flash_attn_tileILi40ELi40ELi1ELi8ELb1EEvPKcS1_S1_S1_S1_PKiPfP15HIP_vector_typeIfLj2EEffffjfiS5_IjLj3EEiiiiiiiiiiiliiliiiiil,"axG",@progbits,_ZL15flash_attn_tileILi40ELi40ELi1ELi8ELb1EEvPKcS1_S1_S1_S1_PKiPfP15HIP_vector_typeIfLj2EEffffjfiS5_IjLj3EEiiiiiiiiiiiliiliiiiil,comdat
.Lfunc_end77:
	.size	_ZL15flash_attn_tileILi40ELi40ELi1ELi8ELb1EEvPKcS1_S1_S1_S1_PKiPfP15HIP_vector_typeIfLj2EEffffjfiS5_IjLj3EEiiiiiiiiiiiliiliiiiil, .Lfunc_end77-_ZL15flash_attn_tileILi40ELi40ELi1ELi8ELb1EEvPKcS1_S1_S1_S1_PKiPfP15HIP_vector_typeIfLj2EEffffjfiS5_IjLj3EEiiiiiiiiiiiliiliiiiil
                                        ; -- End function
	.section	.AMDGPU.csdata,"",@progbits
; Kernel info:
; codeLenInByte = 44
; NumSgprs: 36
; NumVgprs: 37
; ScratchSize: 16
; MemoryBound: 0
; FloatMode: 240
; IeeeMode: 1
; LDSByteSize: 0 bytes/workgroup (compile time only)
; SGPRBlocks: 4
; VGPRBlocks: 4
; NumSGPRsForWavesPerEU: 36
; NumVGPRsForWavesPerEU: 37
; Occupancy: 16
; WaveLimiterHint : 1
; COMPUTE_PGM_RSRC2:SCRATCH_EN: 1
; COMPUTE_PGM_RSRC2:USER_SGPR: 15
; COMPUTE_PGM_RSRC2:TRAP_HANDLER: 0
; COMPUTE_PGM_RSRC2:TGID_X_EN: 1
; COMPUTE_PGM_RSRC2:TGID_Y_EN: 0
; COMPUTE_PGM_RSRC2:TGID_Z_EN: 0
; COMPUTE_PGM_RSRC2:TIDIG_COMP_CNT: 0
	.section	.text._ZL15flash_attn_tileILi40ELi40ELi16ELi4ELb1EEvPKcS1_S1_S1_S1_PKiPfP15HIP_vector_typeIfLj2EEffffjfiS5_IjLj3EEiiiiiiiiiiiliiliiiiil,"axG",@progbits,_ZL15flash_attn_tileILi40ELi40ELi16ELi4ELb1EEvPKcS1_S1_S1_S1_PKiPfP15HIP_vector_typeIfLj2EEffffjfiS5_IjLj3EEiiiiiiiiiiiliiliiiiil,comdat
	.globl	_ZL15flash_attn_tileILi40ELi40ELi16ELi4ELb1EEvPKcS1_S1_S1_S1_PKiPfP15HIP_vector_typeIfLj2EEffffjfiS5_IjLj3EEiiiiiiiiiiiliiliiiiil ; -- Begin function _ZL15flash_attn_tileILi40ELi40ELi16ELi4ELb1EEvPKcS1_S1_S1_S1_PKiPfP15HIP_vector_typeIfLj2EEffffjfiS5_IjLj3EEiiiiiiiiiiiliiliiiiil
	.p2align	8
	.type	_ZL15flash_attn_tileILi40ELi40ELi16ELi4ELb1EEvPKcS1_S1_S1_S1_PKiPfP15HIP_vector_typeIfLj2EEffffjfiS5_IjLj3EEiiiiiiiiiiiliiliiiiil,@function
_ZL15flash_attn_tileILi40ELi40ELi16ELi4ELb1EEvPKcS1_S1_S1_S1_PKiPfP15HIP_vector_typeIfLj2EEffffjfiS5_IjLj3EEiiiiiiiiiiiliiliiiiil: ; @_ZL15flash_attn_tileILi40ELi40ELi16ELi4ELb1EEvPKcS1_S1_S1_S1_PKiPfP15HIP_vector_typeIfLj2EEffffjfiS5_IjLj3EEiiiiiiiiiiiliiliiiiil
; %bb.0:
	s_add_u32 s8, s0, 0xd0
	s_addc_u32 s9, s1, 0
	s_mov_b32 s32, 0
	s_getpc_b64 s[0:1]
	s_add_u32 s0, s0, _ZL14no_device_codePKciS0_iS0_@rel32@lo+4
	s_addc_u32 s1, s1, _ZL14no_device_codePKciS0_iS0_@rel32@hi+12
	s_delay_alu instid0(SALU_CYCLE_1)
	s_swappc_b64 s[30:31], s[0:1]
	.section	.rodata,"a",@progbits
	.p2align	6, 0x0
	.amdhsa_kernel _ZL15flash_attn_tileILi40ELi40ELi16ELi4ELb1EEvPKcS1_S1_S1_S1_PKiPfP15HIP_vector_typeIfLj2EEffffjfiS5_IjLj3EEiiiiiiiiiiiliiliiiiil
		.amdhsa_group_segment_fixed_size 0
		.amdhsa_private_segment_fixed_size 16
		.amdhsa_kernarg_size 464
		.amdhsa_user_sgpr_count 15
		.amdhsa_user_sgpr_dispatch_ptr 0
		.amdhsa_user_sgpr_queue_ptr 0
		.amdhsa_user_sgpr_kernarg_segment_ptr 1
		.amdhsa_user_sgpr_dispatch_id 0
		.amdhsa_user_sgpr_private_segment_size 0
		.amdhsa_wavefront_size32 1
		.amdhsa_uses_dynamic_stack 0
		.amdhsa_enable_private_segment 1
		.amdhsa_system_sgpr_workgroup_id_x 1
		.amdhsa_system_sgpr_workgroup_id_y 0
		.amdhsa_system_sgpr_workgroup_id_z 0
		.amdhsa_system_sgpr_workgroup_info 0
		.amdhsa_system_vgpr_workitem_id 0
		.amdhsa_next_free_vgpr 37
		.amdhsa_next_free_sgpr 34
		.amdhsa_reserve_vcc 1
		.amdhsa_float_round_mode_32 0
		.amdhsa_float_round_mode_16_64 0
		.amdhsa_float_denorm_mode_32 3
		.amdhsa_float_denorm_mode_16_64 3
		.amdhsa_dx10_clamp 1
		.amdhsa_ieee_mode 1
		.amdhsa_fp16_overflow 0
		.amdhsa_workgroup_processor_mode 1
		.amdhsa_memory_ordered 1
		.amdhsa_forward_progress 0
		.amdhsa_shared_vgpr_count 0
		.amdhsa_exception_fp_ieee_invalid_op 0
		.amdhsa_exception_fp_denorm_src 0
		.amdhsa_exception_fp_ieee_div_zero 0
		.amdhsa_exception_fp_ieee_overflow 0
		.amdhsa_exception_fp_ieee_underflow 0
		.amdhsa_exception_fp_ieee_inexact 0
		.amdhsa_exception_int_div_zero 0
	.end_amdhsa_kernel
	.section	.text._ZL15flash_attn_tileILi40ELi40ELi16ELi4ELb1EEvPKcS1_S1_S1_S1_PKiPfP15HIP_vector_typeIfLj2EEffffjfiS5_IjLj3EEiiiiiiiiiiiliiliiiiil,"axG",@progbits,_ZL15flash_attn_tileILi40ELi40ELi16ELi4ELb1EEvPKcS1_S1_S1_S1_PKiPfP15HIP_vector_typeIfLj2EEffffjfiS5_IjLj3EEiiiiiiiiiiiliiliiiiil,comdat
.Lfunc_end78:
	.size	_ZL15flash_attn_tileILi40ELi40ELi16ELi4ELb1EEvPKcS1_S1_S1_S1_PKiPfP15HIP_vector_typeIfLj2EEffffjfiS5_IjLj3EEiiiiiiiiiiiliiliiiiil, .Lfunc_end78-_ZL15flash_attn_tileILi40ELi40ELi16ELi4ELb1EEvPKcS1_S1_S1_S1_PKiPfP15HIP_vector_typeIfLj2EEffffjfiS5_IjLj3EEiiiiiiiiiiiliiliiiiil
                                        ; -- End function
	.section	.AMDGPU.csdata,"",@progbits
; Kernel info:
; codeLenInByte = 44
; NumSgprs: 36
; NumVgprs: 37
; ScratchSize: 16
; MemoryBound: 0
; FloatMode: 240
; IeeeMode: 1
; LDSByteSize: 0 bytes/workgroup (compile time only)
; SGPRBlocks: 4
; VGPRBlocks: 4
; NumSGPRsForWavesPerEU: 36
; NumVGPRsForWavesPerEU: 37
; Occupancy: 16
; WaveLimiterHint : 1
; COMPUTE_PGM_RSRC2:SCRATCH_EN: 1
; COMPUTE_PGM_RSRC2:USER_SGPR: 15
; COMPUTE_PGM_RSRC2:TRAP_HANDLER: 0
; COMPUTE_PGM_RSRC2:TGID_X_EN: 1
; COMPUTE_PGM_RSRC2:TGID_Y_EN: 0
; COMPUTE_PGM_RSRC2:TGID_Z_EN: 0
; COMPUTE_PGM_RSRC2:TIDIG_COMP_CNT: 0
	.section	.text._ZL15flash_attn_tileILi40ELi40ELi8ELi4ELb1EEvPKcS1_S1_S1_S1_PKiPfP15HIP_vector_typeIfLj2EEffffjfiS5_IjLj3EEiiiiiiiiiiiliiliiiiil,"axG",@progbits,_ZL15flash_attn_tileILi40ELi40ELi8ELi4ELb1EEvPKcS1_S1_S1_S1_PKiPfP15HIP_vector_typeIfLj2EEffffjfiS5_IjLj3EEiiiiiiiiiiiliiliiiiil,comdat
	.globl	_ZL15flash_attn_tileILi40ELi40ELi8ELi4ELb1EEvPKcS1_S1_S1_S1_PKiPfP15HIP_vector_typeIfLj2EEffffjfiS5_IjLj3EEiiiiiiiiiiiliiliiiiil ; -- Begin function _ZL15flash_attn_tileILi40ELi40ELi8ELi4ELb1EEvPKcS1_S1_S1_S1_PKiPfP15HIP_vector_typeIfLj2EEffffjfiS5_IjLj3EEiiiiiiiiiiiliiliiiiil
	.p2align	8
	.type	_ZL15flash_attn_tileILi40ELi40ELi8ELi4ELb1EEvPKcS1_S1_S1_S1_PKiPfP15HIP_vector_typeIfLj2EEffffjfiS5_IjLj3EEiiiiiiiiiiiliiliiiiil,@function
_ZL15flash_attn_tileILi40ELi40ELi8ELi4ELb1EEvPKcS1_S1_S1_S1_PKiPfP15HIP_vector_typeIfLj2EEffffjfiS5_IjLj3EEiiiiiiiiiiiliiliiiiil: ; @_ZL15flash_attn_tileILi40ELi40ELi8ELi4ELb1EEvPKcS1_S1_S1_S1_PKiPfP15HIP_vector_typeIfLj2EEffffjfiS5_IjLj3EEiiiiiiiiiiiliiliiiiil
; %bb.0:
	s_add_u32 s8, s0, 0xd0
	s_addc_u32 s9, s1, 0
	s_mov_b32 s32, 0
	s_getpc_b64 s[0:1]
	s_add_u32 s0, s0, _ZL14no_device_codePKciS0_iS0_@rel32@lo+4
	s_addc_u32 s1, s1, _ZL14no_device_codePKciS0_iS0_@rel32@hi+12
	s_delay_alu instid0(SALU_CYCLE_1)
	s_swappc_b64 s[30:31], s[0:1]
	.section	.rodata,"a",@progbits
	.p2align	6, 0x0
	.amdhsa_kernel _ZL15flash_attn_tileILi40ELi40ELi8ELi4ELb1EEvPKcS1_S1_S1_S1_PKiPfP15HIP_vector_typeIfLj2EEffffjfiS5_IjLj3EEiiiiiiiiiiiliiliiiiil
		.amdhsa_group_segment_fixed_size 0
		.amdhsa_private_segment_fixed_size 16
		.amdhsa_kernarg_size 464
		.amdhsa_user_sgpr_count 15
		.amdhsa_user_sgpr_dispatch_ptr 0
		.amdhsa_user_sgpr_queue_ptr 0
		.amdhsa_user_sgpr_kernarg_segment_ptr 1
		.amdhsa_user_sgpr_dispatch_id 0
		.amdhsa_user_sgpr_private_segment_size 0
		.amdhsa_wavefront_size32 1
		.amdhsa_uses_dynamic_stack 0
		.amdhsa_enable_private_segment 1
		.amdhsa_system_sgpr_workgroup_id_x 1
		.amdhsa_system_sgpr_workgroup_id_y 0
		.amdhsa_system_sgpr_workgroup_id_z 0
		.amdhsa_system_sgpr_workgroup_info 0
		.amdhsa_system_vgpr_workitem_id 0
		.amdhsa_next_free_vgpr 37
		.amdhsa_next_free_sgpr 34
		.amdhsa_reserve_vcc 1
		.amdhsa_float_round_mode_32 0
		.amdhsa_float_round_mode_16_64 0
		.amdhsa_float_denorm_mode_32 3
		.amdhsa_float_denorm_mode_16_64 3
		.amdhsa_dx10_clamp 1
		.amdhsa_ieee_mode 1
		.amdhsa_fp16_overflow 0
		.amdhsa_workgroup_processor_mode 1
		.amdhsa_memory_ordered 1
		.amdhsa_forward_progress 0
		.amdhsa_shared_vgpr_count 0
		.amdhsa_exception_fp_ieee_invalid_op 0
		.amdhsa_exception_fp_denorm_src 0
		.amdhsa_exception_fp_ieee_div_zero 0
		.amdhsa_exception_fp_ieee_overflow 0
		.amdhsa_exception_fp_ieee_underflow 0
		.amdhsa_exception_fp_ieee_inexact 0
		.amdhsa_exception_int_div_zero 0
	.end_amdhsa_kernel
	.section	.text._ZL15flash_attn_tileILi40ELi40ELi8ELi4ELb1EEvPKcS1_S1_S1_S1_PKiPfP15HIP_vector_typeIfLj2EEffffjfiS5_IjLj3EEiiiiiiiiiiiliiliiiiil,"axG",@progbits,_ZL15flash_attn_tileILi40ELi40ELi8ELi4ELb1EEvPKcS1_S1_S1_S1_PKiPfP15HIP_vector_typeIfLj2EEffffjfiS5_IjLj3EEiiiiiiiiiiiliiliiiiil,comdat
.Lfunc_end79:
	.size	_ZL15flash_attn_tileILi40ELi40ELi8ELi4ELb1EEvPKcS1_S1_S1_S1_PKiPfP15HIP_vector_typeIfLj2EEffffjfiS5_IjLj3EEiiiiiiiiiiiliiliiiiil, .Lfunc_end79-_ZL15flash_attn_tileILi40ELi40ELi8ELi4ELb1EEvPKcS1_S1_S1_S1_PKiPfP15HIP_vector_typeIfLj2EEffffjfiS5_IjLj3EEiiiiiiiiiiiliiliiiiil
                                        ; -- End function
	.section	.AMDGPU.csdata,"",@progbits
; Kernel info:
; codeLenInByte = 44
; NumSgprs: 36
; NumVgprs: 37
; ScratchSize: 16
; MemoryBound: 0
; FloatMode: 240
; IeeeMode: 1
; LDSByteSize: 0 bytes/workgroup (compile time only)
; SGPRBlocks: 4
; VGPRBlocks: 4
; NumSGPRsForWavesPerEU: 36
; NumVGPRsForWavesPerEU: 37
; Occupancy: 16
; WaveLimiterHint : 1
; COMPUTE_PGM_RSRC2:SCRATCH_EN: 1
; COMPUTE_PGM_RSRC2:USER_SGPR: 15
; COMPUTE_PGM_RSRC2:TRAP_HANDLER: 0
; COMPUTE_PGM_RSRC2:TGID_X_EN: 1
; COMPUTE_PGM_RSRC2:TGID_Y_EN: 0
; COMPUTE_PGM_RSRC2:TGID_Z_EN: 0
; COMPUTE_PGM_RSRC2:TIDIG_COMP_CNT: 0
	.section	.text._ZL15flash_attn_tileILi40ELi40ELi4ELi4ELb1EEvPKcS1_S1_S1_S1_PKiPfP15HIP_vector_typeIfLj2EEffffjfiS5_IjLj3EEiiiiiiiiiiiliiliiiiil,"axG",@progbits,_ZL15flash_attn_tileILi40ELi40ELi4ELi4ELb1EEvPKcS1_S1_S1_S1_PKiPfP15HIP_vector_typeIfLj2EEffffjfiS5_IjLj3EEiiiiiiiiiiiliiliiiiil,comdat
	.globl	_ZL15flash_attn_tileILi40ELi40ELi4ELi4ELb1EEvPKcS1_S1_S1_S1_PKiPfP15HIP_vector_typeIfLj2EEffffjfiS5_IjLj3EEiiiiiiiiiiiliiliiiiil ; -- Begin function _ZL15flash_attn_tileILi40ELi40ELi4ELi4ELb1EEvPKcS1_S1_S1_S1_PKiPfP15HIP_vector_typeIfLj2EEffffjfiS5_IjLj3EEiiiiiiiiiiiliiliiiiil
	.p2align	8
	.type	_ZL15flash_attn_tileILi40ELi40ELi4ELi4ELb1EEvPKcS1_S1_S1_S1_PKiPfP15HIP_vector_typeIfLj2EEffffjfiS5_IjLj3EEiiiiiiiiiiiliiliiiiil,@function
_ZL15flash_attn_tileILi40ELi40ELi4ELi4ELb1EEvPKcS1_S1_S1_S1_PKiPfP15HIP_vector_typeIfLj2EEffffjfiS5_IjLj3EEiiiiiiiiiiiliiliiiiil: ; @_ZL15flash_attn_tileILi40ELi40ELi4ELi4ELb1EEvPKcS1_S1_S1_S1_PKiPfP15HIP_vector_typeIfLj2EEffffjfiS5_IjLj3EEiiiiiiiiiiiliiliiiiil
; %bb.0:
	s_add_u32 s8, s0, 0xd0
	s_addc_u32 s9, s1, 0
	s_mov_b32 s32, 0
	s_getpc_b64 s[0:1]
	s_add_u32 s0, s0, _ZL14no_device_codePKciS0_iS0_@rel32@lo+4
	s_addc_u32 s1, s1, _ZL14no_device_codePKciS0_iS0_@rel32@hi+12
	s_delay_alu instid0(SALU_CYCLE_1)
	s_swappc_b64 s[30:31], s[0:1]
	.section	.rodata,"a",@progbits
	.p2align	6, 0x0
	.amdhsa_kernel _ZL15flash_attn_tileILi40ELi40ELi4ELi4ELb1EEvPKcS1_S1_S1_S1_PKiPfP15HIP_vector_typeIfLj2EEffffjfiS5_IjLj3EEiiiiiiiiiiiliiliiiiil
		.amdhsa_group_segment_fixed_size 0
		.amdhsa_private_segment_fixed_size 16
		.amdhsa_kernarg_size 464
		.amdhsa_user_sgpr_count 15
		.amdhsa_user_sgpr_dispatch_ptr 0
		.amdhsa_user_sgpr_queue_ptr 0
		.amdhsa_user_sgpr_kernarg_segment_ptr 1
		.amdhsa_user_sgpr_dispatch_id 0
		.amdhsa_user_sgpr_private_segment_size 0
		.amdhsa_wavefront_size32 1
		.amdhsa_uses_dynamic_stack 0
		.amdhsa_enable_private_segment 1
		.amdhsa_system_sgpr_workgroup_id_x 1
		.amdhsa_system_sgpr_workgroup_id_y 0
		.amdhsa_system_sgpr_workgroup_id_z 0
		.amdhsa_system_sgpr_workgroup_info 0
		.amdhsa_system_vgpr_workitem_id 0
		.amdhsa_next_free_vgpr 37
		.amdhsa_next_free_sgpr 34
		.amdhsa_reserve_vcc 1
		.amdhsa_float_round_mode_32 0
		.amdhsa_float_round_mode_16_64 0
		.amdhsa_float_denorm_mode_32 3
		.amdhsa_float_denorm_mode_16_64 3
		.amdhsa_dx10_clamp 1
		.amdhsa_ieee_mode 1
		.amdhsa_fp16_overflow 0
		.amdhsa_workgroup_processor_mode 1
		.amdhsa_memory_ordered 1
		.amdhsa_forward_progress 0
		.amdhsa_shared_vgpr_count 0
		.amdhsa_exception_fp_ieee_invalid_op 0
		.amdhsa_exception_fp_denorm_src 0
		.amdhsa_exception_fp_ieee_div_zero 0
		.amdhsa_exception_fp_ieee_overflow 0
		.amdhsa_exception_fp_ieee_underflow 0
		.amdhsa_exception_fp_ieee_inexact 0
		.amdhsa_exception_int_div_zero 0
	.end_amdhsa_kernel
	.section	.text._ZL15flash_attn_tileILi40ELi40ELi4ELi4ELb1EEvPKcS1_S1_S1_S1_PKiPfP15HIP_vector_typeIfLj2EEffffjfiS5_IjLj3EEiiiiiiiiiiiliiliiiiil,"axG",@progbits,_ZL15flash_attn_tileILi40ELi40ELi4ELi4ELb1EEvPKcS1_S1_S1_S1_PKiPfP15HIP_vector_typeIfLj2EEffffjfiS5_IjLj3EEiiiiiiiiiiiliiliiiiil,comdat
.Lfunc_end80:
	.size	_ZL15flash_attn_tileILi40ELi40ELi4ELi4ELb1EEvPKcS1_S1_S1_S1_PKiPfP15HIP_vector_typeIfLj2EEffffjfiS5_IjLj3EEiiiiiiiiiiiliiliiiiil, .Lfunc_end80-_ZL15flash_attn_tileILi40ELi40ELi4ELi4ELb1EEvPKcS1_S1_S1_S1_PKiPfP15HIP_vector_typeIfLj2EEffffjfiS5_IjLj3EEiiiiiiiiiiiliiliiiiil
                                        ; -- End function
	.section	.AMDGPU.csdata,"",@progbits
; Kernel info:
; codeLenInByte = 44
; NumSgprs: 36
; NumVgprs: 37
; ScratchSize: 16
; MemoryBound: 0
; FloatMode: 240
; IeeeMode: 1
; LDSByteSize: 0 bytes/workgroup (compile time only)
; SGPRBlocks: 4
; VGPRBlocks: 4
; NumSGPRsForWavesPerEU: 36
; NumVGPRsForWavesPerEU: 37
; Occupancy: 16
; WaveLimiterHint : 1
; COMPUTE_PGM_RSRC2:SCRATCH_EN: 1
; COMPUTE_PGM_RSRC2:USER_SGPR: 15
; COMPUTE_PGM_RSRC2:TRAP_HANDLER: 0
; COMPUTE_PGM_RSRC2:TGID_X_EN: 1
; COMPUTE_PGM_RSRC2:TGID_Y_EN: 0
; COMPUTE_PGM_RSRC2:TGID_Z_EN: 0
; COMPUTE_PGM_RSRC2:TIDIG_COMP_CNT: 0
	.section	.text._ZL15flash_attn_tileILi40ELi40ELi2ELi4ELb1EEvPKcS1_S1_S1_S1_PKiPfP15HIP_vector_typeIfLj2EEffffjfiS5_IjLj3EEiiiiiiiiiiiliiliiiiil,"axG",@progbits,_ZL15flash_attn_tileILi40ELi40ELi2ELi4ELb1EEvPKcS1_S1_S1_S1_PKiPfP15HIP_vector_typeIfLj2EEffffjfiS5_IjLj3EEiiiiiiiiiiiliiliiiiil,comdat
	.globl	_ZL15flash_attn_tileILi40ELi40ELi2ELi4ELb1EEvPKcS1_S1_S1_S1_PKiPfP15HIP_vector_typeIfLj2EEffffjfiS5_IjLj3EEiiiiiiiiiiiliiliiiiil ; -- Begin function _ZL15flash_attn_tileILi40ELi40ELi2ELi4ELb1EEvPKcS1_S1_S1_S1_PKiPfP15HIP_vector_typeIfLj2EEffffjfiS5_IjLj3EEiiiiiiiiiiiliiliiiiil
	.p2align	8
	.type	_ZL15flash_attn_tileILi40ELi40ELi2ELi4ELb1EEvPKcS1_S1_S1_S1_PKiPfP15HIP_vector_typeIfLj2EEffffjfiS5_IjLj3EEiiiiiiiiiiiliiliiiiil,@function
_ZL15flash_attn_tileILi40ELi40ELi2ELi4ELb1EEvPKcS1_S1_S1_S1_PKiPfP15HIP_vector_typeIfLj2EEffffjfiS5_IjLj3EEiiiiiiiiiiiliiliiiiil: ; @_ZL15flash_attn_tileILi40ELi40ELi2ELi4ELb1EEvPKcS1_S1_S1_S1_PKiPfP15HIP_vector_typeIfLj2EEffffjfiS5_IjLj3EEiiiiiiiiiiiliiliiiiil
; %bb.0:
	s_add_u32 s8, s0, 0xd0
	s_addc_u32 s9, s1, 0
	s_mov_b32 s32, 0
	s_getpc_b64 s[0:1]
	s_add_u32 s0, s0, _ZL14no_device_codePKciS0_iS0_@rel32@lo+4
	s_addc_u32 s1, s1, _ZL14no_device_codePKciS0_iS0_@rel32@hi+12
	s_delay_alu instid0(SALU_CYCLE_1)
	s_swappc_b64 s[30:31], s[0:1]
	.section	.rodata,"a",@progbits
	.p2align	6, 0x0
	.amdhsa_kernel _ZL15flash_attn_tileILi40ELi40ELi2ELi4ELb1EEvPKcS1_S1_S1_S1_PKiPfP15HIP_vector_typeIfLj2EEffffjfiS5_IjLj3EEiiiiiiiiiiiliiliiiiil
		.amdhsa_group_segment_fixed_size 0
		.amdhsa_private_segment_fixed_size 16
		.amdhsa_kernarg_size 464
		.amdhsa_user_sgpr_count 15
		.amdhsa_user_sgpr_dispatch_ptr 0
		.amdhsa_user_sgpr_queue_ptr 0
		.amdhsa_user_sgpr_kernarg_segment_ptr 1
		.amdhsa_user_sgpr_dispatch_id 0
		.amdhsa_user_sgpr_private_segment_size 0
		.amdhsa_wavefront_size32 1
		.amdhsa_uses_dynamic_stack 0
		.amdhsa_enable_private_segment 1
		.amdhsa_system_sgpr_workgroup_id_x 1
		.amdhsa_system_sgpr_workgroup_id_y 0
		.amdhsa_system_sgpr_workgroup_id_z 0
		.amdhsa_system_sgpr_workgroup_info 0
		.amdhsa_system_vgpr_workitem_id 0
		.amdhsa_next_free_vgpr 37
		.amdhsa_next_free_sgpr 34
		.amdhsa_reserve_vcc 1
		.amdhsa_float_round_mode_32 0
		.amdhsa_float_round_mode_16_64 0
		.amdhsa_float_denorm_mode_32 3
		.amdhsa_float_denorm_mode_16_64 3
		.amdhsa_dx10_clamp 1
		.amdhsa_ieee_mode 1
		.amdhsa_fp16_overflow 0
		.amdhsa_workgroup_processor_mode 1
		.amdhsa_memory_ordered 1
		.amdhsa_forward_progress 0
		.amdhsa_shared_vgpr_count 0
		.amdhsa_exception_fp_ieee_invalid_op 0
		.amdhsa_exception_fp_denorm_src 0
		.amdhsa_exception_fp_ieee_div_zero 0
		.amdhsa_exception_fp_ieee_overflow 0
		.amdhsa_exception_fp_ieee_underflow 0
		.amdhsa_exception_fp_ieee_inexact 0
		.amdhsa_exception_int_div_zero 0
	.end_amdhsa_kernel
	.section	.text._ZL15flash_attn_tileILi40ELi40ELi2ELi4ELb1EEvPKcS1_S1_S1_S1_PKiPfP15HIP_vector_typeIfLj2EEffffjfiS5_IjLj3EEiiiiiiiiiiiliiliiiiil,"axG",@progbits,_ZL15flash_attn_tileILi40ELi40ELi2ELi4ELb1EEvPKcS1_S1_S1_S1_PKiPfP15HIP_vector_typeIfLj2EEffffjfiS5_IjLj3EEiiiiiiiiiiiliiliiiiil,comdat
.Lfunc_end81:
	.size	_ZL15flash_attn_tileILi40ELi40ELi2ELi4ELb1EEvPKcS1_S1_S1_S1_PKiPfP15HIP_vector_typeIfLj2EEffffjfiS5_IjLj3EEiiiiiiiiiiiliiliiiiil, .Lfunc_end81-_ZL15flash_attn_tileILi40ELi40ELi2ELi4ELb1EEvPKcS1_S1_S1_S1_PKiPfP15HIP_vector_typeIfLj2EEffffjfiS5_IjLj3EEiiiiiiiiiiiliiliiiiil
                                        ; -- End function
	.section	.AMDGPU.csdata,"",@progbits
; Kernel info:
; codeLenInByte = 44
; NumSgprs: 36
; NumVgprs: 37
; ScratchSize: 16
; MemoryBound: 0
; FloatMode: 240
; IeeeMode: 1
; LDSByteSize: 0 bytes/workgroup (compile time only)
; SGPRBlocks: 4
; VGPRBlocks: 4
; NumSGPRsForWavesPerEU: 36
; NumVGPRsForWavesPerEU: 37
; Occupancy: 16
; WaveLimiterHint : 1
; COMPUTE_PGM_RSRC2:SCRATCH_EN: 1
; COMPUTE_PGM_RSRC2:USER_SGPR: 15
; COMPUTE_PGM_RSRC2:TRAP_HANDLER: 0
; COMPUTE_PGM_RSRC2:TGID_X_EN: 1
; COMPUTE_PGM_RSRC2:TGID_Y_EN: 0
; COMPUTE_PGM_RSRC2:TGID_Z_EN: 0
; COMPUTE_PGM_RSRC2:TIDIG_COMP_CNT: 0
	.section	.text._ZL15flash_attn_tileILi40ELi40ELi1ELi4ELb1EEvPKcS1_S1_S1_S1_PKiPfP15HIP_vector_typeIfLj2EEffffjfiS5_IjLj3EEiiiiiiiiiiiliiliiiiil,"axG",@progbits,_ZL15flash_attn_tileILi40ELi40ELi1ELi4ELb1EEvPKcS1_S1_S1_S1_PKiPfP15HIP_vector_typeIfLj2EEffffjfiS5_IjLj3EEiiiiiiiiiiiliiliiiiil,comdat
	.globl	_ZL15flash_attn_tileILi40ELi40ELi1ELi4ELb1EEvPKcS1_S1_S1_S1_PKiPfP15HIP_vector_typeIfLj2EEffffjfiS5_IjLj3EEiiiiiiiiiiiliiliiiiil ; -- Begin function _ZL15flash_attn_tileILi40ELi40ELi1ELi4ELb1EEvPKcS1_S1_S1_S1_PKiPfP15HIP_vector_typeIfLj2EEffffjfiS5_IjLj3EEiiiiiiiiiiiliiliiiiil
	.p2align	8
	.type	_ZL15flash_attn_tileILi40ELi40ELi1ELi4ELb1EEvPKcS1_S1_S1_S1_PKiPfP15HIP_vector_typeIfLj2EEffffjfiS5_IjLj3EEiiiiiiiiiiiliiliiiiil,@function
_ZL15flash_attn_tileILi40ELi40ELi1ELi4ELb1EEvPKcS1_S1_S1_S1_PKiPfP15HIP_vector_typeIfLj2EEffffjfiS5_IjLj3EEiiiiiiiiiiiliiliiiiil: ; @_ZL15flash_attn_tileILi40ELi40ELi1ELi4ELb1EEvPKcS1_S1_S1_S1_PKiPfP15HIP_vector_typeIfLj2EEffffjfiS5_IjLj3EEiiiiiiiiiiiliiliiiiil
; %bb.0:
	s_add_u32 s8, s0, 0xd0
	s_addc_u32 s9, s1, 0
	s_mov_b32 s32, 0
	s_getpc_b64 s[0:1]
	s_add_u32 s0, s0, _ZL14no_device_codePKciS0_iS0_@rel32@lo+4
	s_addc_u32 s1, s1, _ZL14no_device_codePKciS0_iS0_@rel32@hi+12
	s_delay_alu instid0(SALU_CYCLE_1)
	s_swappc_b64 s[30:31], s[0:1]
	.section	.rodata,"a",@progbits
	.p2align	6, 0x0
	.amdhsa_kernel _ZL15flash_attn_tileILi40ELi40ELi1ELi4ELb1EEvPKcS1_S1_S1_S1_PKiPfP15HIP_vector_typeIfLj2EEffffjfiS5_IjLj3EEiiiiiiiiiiiliiliiiiil
		.amdhsa_group_segment_fixed_size 0
		.amdhsa_private_segment_fixed_size 16
		.amdhsa_kernarg_size 464
		.amdhsa_user_sgpr_count 15
		.amdhsa_user_sgpr_dispatch_ptr 0
		.amdhsa_user_sgpr_queue_ptr 0
		.amdhsa_user_sgpr_kernarg_segment_ptr 1
		.amdhsa_user_sgpr_dispatch_id 0
		.amdhsa_user_sgpr_private_segment_size 0
		.amdhsa_wavefront_size32 1
		.amdhsa_uses_dynamic_stack 0
		.amdhsa_enable_private_segment 1
		.amdhsa_system_sgpr_workgroup_id_x 1
		.amdhsa_system_sgpr_workgroup_id_y 0
		.amdhsa_system_sgpr_workgroup_id_z 0
		.amdhsa_system_sgpr_workgroup_info 0
		.amdhsa_system_vgpr_workitem_id 0
		.amdhsa_next_free_vgpr 37
		.amdhsa_next_free_sgpr 34
		.amdhsa_reserve_vcc 1
		.amdhsa_float_round_mode_32 0
		.amdhsa_float_round_mode_16_64 0
		.amdhsa_float_denorm_mode_32 3
		.amdhsa_float_denorm_mode_16_64 3
		.amdhsa_dx10_clamp 1
		.amdhsa_ieee_mode 1
		.amdhsa_fp16_overflow 0
		.amdhsa_workgroup_processor_mode 1
		.amdhsa_memory_ordered 1
		.amdhsa_forward_progress 0
		.amdhsa_shared_vgpr_count 0
		.amdhsa_exception_fp_ieee_invalid_op 0
		.amdhsa_exception_fp_denorm_src 0
		.amdhsa_exception_fp_ieee_div_zero 0
		.amdhsa_exception_fp_ieee_overflow 0
		.amdhsa_exception_fp_ieee_underflow 0
		.amdhsa_exception_fp_ieee_inexact 0
		.amdhsa_exception_int_div_zero 0
	.end_amdhsa_kernel
	.section	.text._ZL15flash_attn_tileILi40ELi40ELi1ELi4ELb1EEvPKcS1_S1_S1_S1_PKiPfP15HIP_vector_typeIfLj2EEffffjfiS5_IjLj3EEiiiiiiiiiiiliiliiiiil,"axG",@progbits,_ZL15flash_attn_tileILi40ELi40ELi1ELi4ELb1EEvPKcS1_S1_S1_S1_PKiPfP15HIP_vector_typeIfLj2EEffffjfiS5_IjLj3EEiiiiiiiiiiiliiliiiiil,comdat
.Lfunc_end82:
	.size	_ZL15flash_attn_tileILi40ELi40ELi1ELi4ELb1EEvPKcS1_S1_S1_S1_PKiPfP15HIP_vector_typeIfLj2EEffffjfiS5_IjLj3EEiiiiiiiiiiiliiliiiiil, .Lfunc_end82-_ZL15flash_attn_tileILi40ELi40ELi1ELi4ELb1EEvPKcS1_S1_S1_S1_PKiPfP15HIP_vector_typeIfLj2EEffffjfiS5_IjLj3EEiiiiiiiiiiiliiliiiiil
                                        ; -- End function
	.section	.AMDGPU.csdata,"",@progbits
; Kernel info:
; codeLenInByte = 44
; NumSgprs: 36
; NumVgprs: 37
; ScratchSize: 16
; MemoryBound: 0
; FloatMode: 240
; IeeeMode: 1
; LDSByteSize: 0 bytes/workgroup (compile time only)
; SGPRBlocks: 4
; VGPRBlocks: 4
; NumSGPRsForWavesPerEU: 36
; NumVGPRsForWavesPerEU: 37
; Occupancy: 16
; WaveLimiterHint : 1
; COMPUTE_PGM_RSRC2:SCRATCH_EN: 1
; COMPUTE_PGM_RSRC2:USER_SGPR: 15
; COMPUTE_PGM_RSRC2:TRAP_HANDLER: 0
; COMPUTE_PGM_RSRC2:TGID_X_EN: 1
; COMPUTE_PGM_RSRC2:TGID_Y_EN: 0
; COMPUTE_PGM_RSRC2:TGID_Z_EN: 0
; COMPUTE_PGM_RSRC2:TIDIG_COMP_CNT: 0
	.section	.text._ZL15flash_attn_tileILi40ELi40ELi32ELi2ELb1EEvPKcS1_S1_S1_S1_PKiPfP15HIP_vector_typeIfLj2EEffffjfiS5_IjLj3EEiiiiiiiiiiiliiliiiiil,"axG",@progbits,_ZL15flash_attn_tileILi40ELi40ELi32ELi2ELb1EEvPKcS1_S1_S1_S1_PKiPfP15HIP_vector_typeIfLj2EEffffjfiS5_IjLj3EEiiiiiiiiiiiliiliiiiil,comdat
	.globl	_ZL15flash_attn_tileILi40ELi40ELi32ELi2ELb1EEvPKcS1_S1_S1_S1_PKiPfP15HIP_vector_typeIfLj2EEffffjfiS5_IjLj3EEiiiiiiiiiiiliiliiiiil ; -- Begin function _ZL15flash_attn_tileILi40ELi40ELi32ELi2ELb1EEvPKcS1_S1_S1_S1_PKiPfP15HIP_vector_typeIfLj2EEffffjfiS5_IjLj3EEiiiiiiiiiiiliiliiiiil
	.p2align	8
	.type	_ZL15flash_attn_tileILi40ELi40ELi32ELi2ELb1EEvPKcS1_S1_S1_S1_PKiPfP15HIP_vector_typeIfLj2EEffffjfiS5_IjLj3EEiiiiiiiiiiiliiliiiiil,@function
_ZL15flash_attn_tileILi40ELi40ELi32ELi2ELb1EEvPKcS1_S1_S1_S1_PKiPfP15HIP_vector_typeIfLj2EEffffjfiS5_IjLj3EEiiiiiiiiiiiliiliiiiil: ; @_ZL15flash_attn_tileILi40ELi40ELi32ELi2ELb1EEvPKcS1_S1_S1_S1_PKiPfP15HIP_vector_typeIfLj2EEffffjfiS5_IjLj3EEiiiiiiiiiiiliiliiiiil
; %bb.0:
	s_add_u32 s8, s0, 0xd0
	s_addc_u32 s9, s1, 0
	s_mov_b32 s32, 0
	s_getpc_b64 s[0:1]
	s_add_u32 s0, s0, _ZL14no_device_codePKciS0_iS0_@rel32@lo+4
	s_addc_u32 s1, s1, _ZL14no_device_codePKciS0_iS0_@rel32@hi+12
	s_delay_alu instid0(SALU_CYCLE_1)
	s_swappc_b64 s[30:31], s[0:1]
	.section	.rodata,"a",@progbits
	.p2align	6, 0x0
	.amdhsa_kernel _ZL15flash_attn_tileILi40ELi40ELi32ELi2ELb1EEvPKcS1_S1_S1_S1_PKiPfP15HIP_vector_typeIfLj2EEffffjfiS5_IjLj3EEiiiiiiiiiiiliiliiiiil
		.amdhsa_group_segment_fixed_size 0
		.amdhsa_private_segment_fixed_size 16
		.amdhsa_kernarg_size 464
		.amdhsa_user_sgpr_count 15
		.amdhsa_user_sgpr_dispatch_ptr 0
		.amdhsa_user_sgpr_queue_ptr 0
		.amdhsa_user_sgpr_kernarg_segment_ptr 1
		.amdhsa_user_sgpr_dispatch_id 0
		.amdhsa_user_sgpr_private_segment_size 0
		.amdhsa_wavefront_size32 1
		.amdhsa_uses_dynamic_stack 0
		.amdhsa_enable_private_segment 1
		.amdhsa_system_sgpr_workgroup_id_x 1
		.amdhsa_system_sgpr_workgroup_id_y 0
		.amdhsa_system_sgpr_workgroup_id_z 0
		.amdhsa_system_sgpr_workgroup_info 0
		.amdhsa_system_vgpr_workitem_id 0
		.amdhsa_next_free_vgpr 37
		.amdhsa_next_free_sgpr 34
		.amdhsa_reserve_vcc 1
		.amdhsa_float_round_mode_32 0
		.amdhsa_float_round_mode_16_64 0
		.amdhsa_float_denorm_mode_32 3
		.amdhsa_float_denorm_mode_16_64 3
		.amdhsa_dx10_clamp 1
		.amdhsa_ieee_mode 1
		.amdhsa_fp16_overflow 0
		.amdhsa_workgroup_processor_mode 1
		.amdhsa_memory_ordered 1
		.amdhsa_forward_progress 0
		.amdhsa_shared_vgpr_count 0
		.amdhsa_exception_fp_ieee_invalid_op 0
		.amdhsa_exception_fp_denorm_src 0
		.amdhsa_exception_fp_ieee_div_zero 0
		.amdhsa_exception_fp_ieee_overflow 0
		.amdhsa_exception_fp_ieee_underflow 0
		.amdhsa_exception_fp_ieee_inexact 0
		.amdhsa_exception_int_div_zero 0
	.end_amdhsa_kernel
	.section	.text._ZL15flash_attn_tileILi40ELi40ELi32ELi2ELb1EEvPKcS1_S1_S1_S1_PKiPfP15HIP_vector_typeIfLj2EEffffjfiS5_IjLj3EEiiiiiiiiiiiliiliiiiil,"axG",@progbits,_ZL15flash_attn_tileILi40ELi40ELi32ELi2ELb1EEvPKcS1_S1_S1_S1_PKiPfP15HIP_vector_typeIfLj2EEffffjfiS5_IjLj3EEiiiiiiiiiiiliiliiiiil,comdat
.Lfunc_end83:
	.size	_ZL15flash_attn_tileILi40ELi40ELi32ELi2ELb1EEvPKcS1_S1_S1_S1_PKiPfP15HIP_vector_typeIfLj2EEffffjfiS5_IjLj3EEiiiiiiiiiiiliiliiiiil, .Lfunc_end83-_ZL15flash_attn_tileILi40ELi40ELi32ELi2ELb1EEvPKcS1_S1_S1_S1_PKiPfP15HIP_vector_typeIfLj2EEffffjfiS5_IjLj3EEiiiiiiiiiiiliiliiiiil
                                        ; -- End function
	.section	.AMDGPU.csdata,"",@progbits
; Kernel info:
; codeLenInByte = 44
; NumSgprs: 36
; NumVgprs: 37
; ScratchSize: 16
; MemoryBound: 0
; FloatMode: 240
; IeeeMode: 1
; LDSByteSize: 0 bytes/workgroup (compile time only)
; SGPRBlocks: 4
; VGPRBlocks: 4
; NumSGPRsForWavesPerEU: 36
; NumVGPRsForWavesPerEU: 37
; Occupancy: 16
; WaveLimiterHint : 1
; COMPUTE_PGM_RSRC2:SCRATCH_EN: 1
; COMPUTE_PGM_RSRC2:USER_SGPR: 15
; COMPUTE_PGM_RSRC2:TRAP_HANDLER: 0
; COMPUTE_PGM_RSRC2:TGID_X_EN: 1
; COMPUTE_PGM_RSRC2:TGID_Y_EN: 0
; COMPUTE_PGM_RSRC2:TGID_Z_EN: 0
; COMPUTE_PGM_RSRC2:TIDIG_COMP_CNT: 0
	.section	.text._ZL15flash_attn_tileILi40ELi40ELi16ELi2ELb1EEvPKcS1_S1_S1_S1_PKiPfP15HIP_vector_typeIfLj2EEffffjfiS5_IjLj3EEiiiiiiiiiiiliiliiiiil,"axG",@progbits,_ZL15flash_attn_tileILi40ELi40ELi16ELi2ELb1EEvPKcS1_S1_S1_S1_PKiPfP15HIP_vector_typeIfLj2EEffffjfiS5_IjLj3EEiiiiiiiiiiiliiliiiiil,comdat
	.globl	_ZL15flash_attn_tileILi40ELi40ELi16ELi2ELb1EEvPKcS1_S1_S1_S1_PKiPfP15HIP_vector_typeIfLj2EEffffjfiS5_IjLj3EEiiiiiiiiiiiliiliiiiil ; -- Begin function _ZL15flash_attn_tileILi40ELi40ELi16ELi2ELb1EEvPKcS1_S1_S1_S1_PKiPfP15HIP_vector_typeIfLj2EEffffjfiS5_IjLj3EEiiiiiiiiiiiliiliiiiil
	.p2align	8
	.type	_ZL15flash_attn_tileILi40ELi40ELi16ELi2ELb1EEvPKcS1_S1_S1_S1_PKiPfP15HIP_vector_typeIfLj2EEffffjfiS5_IjLj3EEiiiiiiiiiiiliiliiiiil,@function
_ZL15flash_attn_tileILi40ELi40ELi16ELi2ELb1EEvPKcS1_S1_S1_S1_PKiPfP15HIP_vector_typeIfLj2EEffffjfiS5_IjLj3EEiiiiiiiiiiiliiliiiiil: ; @_ZL15flash_attn_tileILi40ELi40ELi16ELi2ELb1EEvPKcS1_S1_S1_S1_PKiPfP15HIP_vector_typeIfLj2EEffffjfiS5_IjLj3EEiiiiiiiiiiiliiliiiiil
; %bb.0:
	s_add_u32 s8, s0, 0xd0
	s_addc_u32 s9, s1, 0
	s_mov_b32 s32, 0
	s_getpc_b64 s[0:1]
	s_add_u32 s0, s0, _ZL14no_device_codePKciS0_iS0_@rel32@lo+4
	s_addc_u32 s1, s1, _ZL14no_device_codePKciS0_iS0_@rel32@hi+12
	s_delay_alu instid0(SALU_CYCLE_1)
	s_swappc_b64 s[30:31], s[0:1]
	.section	.rodata,"a",@progbits
	.p2align	6, 0x0
	.amdhsa_kernel _ZL15flash_attn_tileILi40ELi40ELi16ELi2ELb1EEvPKcS1_S1_S1_S1_PKiPfP15HIP_vector_typeIfLj2EEffffjfiS5_IjLj3EEiiiiiiiiiiiliiliiiiil
		.amdhsa_group_segment_fixed_size 0
		.amdhsa_private_segment_fixed_size 16
		.amdhsa_kernarg_size 464
		.amdhsa_user_sgpr_count 15
		.amdhsa_user_sgpr_dispatch_ptr 0
		.amdhsa_user_sgpr_queue_ptr 0
		.amdhsa_user_sgpr_kernarg_segment_ptr 1
		.amdhsa_user_sgpr_dispatch_id 0
		.amdhsa_user_sgpr_private_segment_size 0
		.amdhsa_wavefront_size32 1
		.amdhsa_uses_dynamic_stack 0
		.amdhsa_enable_private_segment 1
		.amdhsa_system_sgpr_workgroup_id_x 1
		.amdhsa_system_sgpr_workgroup_id_y 0
		.amdhsa_system_sgpr_workgroup_id_z 0
		.amdhsa_system_sgpr_workgroup_info 0
		.amdhsa_system_vgpr_workitem_id 0
		.amdhsa_next_free_vgpr 37
		.amdhsa_next_free_sgpr 34
		.amdhsa_reserve_vcc 1
		.amdhsa_float_round_mode_32 0
		.amdhsa_float_round_mode_16_64 0
		.amdhsa_float_denorm_mode_32 3
		.amdhsa_float_denorm_mode_16_64 3
		.amdhsa_dx10_clamp 1
		.amdhsa_ieee_mode 1
		.amdhsa_fp16_overflow 0
		.amdhsa_workgroup_processor_mode 1
		.amdhsa_memory_ordered 1
		.amdhsa_forward_progress 0
		.amdhsa_shared_vgpr_count 0
		.amdhsa_exception_fp_ieee_invalid_op 0
		.amdhsa_exception_fp_denorm_src 0
		.amdhsa_exception_fp_ieee_div_zero 0
		.amdhsa_exception_fp_ieee_overflow 0
		.amdhsa_exception_fp_ieee_underflow 0
		.amdhsa_exception_fp_ieee_inexact 0
		.amdhsa_exception_int_div_zero 0
	.end_amdhsa_kernel
	.section	.text._ZL15flash_attn_tileILi40ELi40ELi16ELi2ELb1EEvPKcS1_S1_S1_S1_PKiPfP15HIP_vector_typeIfLj2EEffffjfiS5_IjLj3EEiiiiiiiiiiiliiliiiiil,"axG",@progbits,_ZL15flash_attn_tileILi40ELi40ELi16ELi2ELb1EEvPKcS1_S1_S1_S1_PKiPfP15HIP_vector_typeIfLj2EEffffjfiS5_IjLj3EEiiiiiiiiiiiliiliiiiil,comdat
.Lfunc_end84:
	.size	_ZL15flash_attn_tileILi40ELi40ELi16ELi2ELb1EEvPKcS1_S1_S1_S1_PKiPfP15HIP_vector_typeIfLj2EEffffjfiS5_IjLj3EEiiiiiiiiiiiliiliiiiil, .Lfunc_end84-_ZL15flash_attn_tileILi40ELi40ELi16ELi2ELb1EEvPKcS1_S1_S1_S1_PKiPfP15HIP_vector_typeIfLj2EEffffjfiS5_IjLj3EEiiiiiiiiiiiliiliiiiil
                                        ; -- End function
	.section	.AMDGPU.csdata,"",@progbits
; Kernel info:
; codeLenInByte = 44
; NumSgprs: 36
; NumVgprs: 37
; ScratchSize: 16
; MemoryBound: 0
; FloatMode: 240
; IeeeMode: 1
; LDSByteSize: 0 bytes/workgroup (compile time only)
; SGPRBlocks: 4
; VGPRBlocks: 4
; NumSGPRsForWavesPerEU: 36
; NumVGPRsForWavesPerEU: 37
; Occupancy: 16
; WaveLimiterHint : 1
; COMPUTE_PGM_RSRC2:SCRATCH_EN: 1
; COMPUTE_PGM_RSRC2:USER_SGPR: 15
; COMPUTE_PGM_RSRC2:TRAP_HANDLER: 0
; COMPUTE_PGM_RSRC2:TGID_X_EN: 1
; COMPUTE_PGM_RSRC2:TGID_Y_EN: 0
; COMPUTE_PGM_RSRC2:TGID_Z_EN: 0
; COMPUTE_PGM_RSRC2:TIDIG_COMP_CNT: 0
	.section	.text._ZL15flash_attn_tileILi40ELi40ELi8ELi2ELb1EEvPKcS1_S1_S1_S1_PKiPfP15HIP_vector_typeIfLj2EEffffjfiS5_IjLj3EEiiiiiiiiiiiliiliiiiil,"axG",@progbits,_ZL15flash_attn_tileILi40ELi40ELi8ELi2ELb1EEvPKcS1_S1_S1_S1_PKiPfP15HIP_vector_typeIfLj2EEffffjfiS5_IjLj3EEiiiiiiiiiiiliiliiiiil,comdat
	.globl	_ZL15flash_attn_tileILi40ELi40ELi8ELi2ELb1EEvPKcS1_S1_S1_S1_PKiPfP15HIP_vector_typeIfLj2EEffffjfiS5_IjLj3EEiiiiiiiiiiiliiliiiiil ; -- Begin function _ZL15flash_attn_tileILi40ELi40ELi8ELi2ELb1EEvPKcS1_S1_S1_S1_PKiPfP15HIP_vector_typeIfLj2EEffffjfiS5_IjLj3EEiiiiiiiiiiiliiliiiiil
	.p2align	8
	.type	_ZL15flash_attn_tileILi40ELi40ELi8ELi2ELb1EEvPKcS1_S1_S1_S1_PKiPfP15HIP_vector_typeIfLj2EEffffjfiS5_IjLj3EEiiiiiiiiiiiliiliiiiil,@function
_ZL15flash_attn_tileILi40ELi40ELi8ELi2ELb1EEvPKcS1_S1_S1_S1_PKiPfP15HIP_vector_typeIfLj2EEffffjfiS5_IjLj3EEiiiiiiiiiiiliiliiiiil: ; @_ZL15flash_attn_tileILi40ELi40ELi8ELi2ELb1EEvPKcS1_S1_S1_S1_PKiPfP15HIP_vector_typeIfLj2EEffffjfiS5_IjLj3EEiiiiiiiiiiiliiliiiiil
; %bb.0:
	s_add_u32 s8, s0, 0xd0
	s_addc_u32 s9, s1, 0
	s_mov_b32 s32, 0
	s_getpc_b64 s[0:1]
	s_add_u32 s0, s0, _ZL14no_device_codePKciS0_iS0_@rel32@lo+4
	s_addc_u32 s1, s1, _ZL14no_device_codePKciS0_iS0_@rel32@hi+12
	s_delay_alu instid0(SALU_CYCLE_1)
	s_swappc_b64 s[30:31], s[0:1]
	.section	.rodata,"a",@progbits
	.p2align	6, 0x0
	.amdhsa_kernel _ZL15flash_attn_tileILi40ELi40ELi8ELi2ELb1EEvPKcS1_S1_S1_S1_PKiPfP15HIP_vector_typeIfLj2EEffffjfiS5_IjLj3EEiiiiiiiiiiiliiliiiiil
		.amdhsa_group_segment_fixed_size 0
		.amdhsa_private_segment_fixed_size 16
		.amdhsa_kernarg_size 464
		.amdhsa_user_sgpr_count 15
		.amdhsa_user_sgpr_dispatch_ptr 0
		.amdhsa_user_sgpr_queue_ptr 0
		.amdhsa_user_sgpr_kernarg_segment_ptr 1
		.amdhsa_user_sgpr_dispatch_id 0
		.amdhsa_user_sgpr_private_segment_size 0
		.amdhsa_wavefront_size32 1
		.amdhsa_uses_dynamic_stack 0
		.amdhsa_enable_private_segment 1
		.amdhsa_system_sgpr_workgroup_id_x 1
		.amdhsa_system_sgpr_workgroup_id_y 0
		.amdhsa_system_sgpr_workgroup_id_z 0
		.amdhsa_system_sgpr_workgroup_info 0
		.amdhsa_system_vgpr_workitem_id 0
		.amdhsa_next_free_vgpr 37
		.amdhsa_next_free_sgpr 34
		.amdhsa_reserve_vcc 1
		.amdhsa_float_round_mode_32 0
		.amdhsa_float_round_mode_16_64 0
		.amdhsa_float_denorm_mode_32 3
		.amdhsa_float_denorm_mode_16_64 3
		.amdhsa_dx10_clamp 1
		.amdhsa_ieee_mode 1
		.amdhsa_fp16_overflow 0
		.amdhsa_workgroup_processor_mode 1
		.amdhsa_memory_ordered 1
		.amdhsa_forward_progress 0
		.amdhsa_shared_vgpr_count 0
		.amdhsa_exception_fp_ieee_invalid_op 0
		.amdhsa_exception_fp_denorm_src 0
		.amdhsa_exception_fp_ieee_div_zero 0
		.amdhsa_exception_fp_ieee_overflow 0
		.amdhsa_exception_fp_ieee_underflow 0
		.amdhsa_exception_fp_ieee_inexact 0
		.amdhsa_exception_int_div_zero 0
	.end_amdhsa_kernel
	.section	.text._ZL15flash_attn_tileILi40ELi40ELi8ELi2ELb1EEvPKcS1_S1_S1_S1_PKiPfP15HIP_vector_typeIfLj2EEffffjfiS5_IjLj3EEiiiiiiiiiiiliiliiiiil,"axG",@progbits,_ZL15flash_attn_tileILi40ELi40ELi8ELi2ELb1EEvPKcS1_S1_S1_S1_PKiPfP15HIP_vector_typeIfLj2EEffffjfiS5_IjLj3EEiiiiiiiiiiiliiliiiiil,comdat
.Lfunc_end85:
	.size	_ZL15flash_attn_tileILi40ELi40ELi8ELi2ELb1EEvPKcS1_S1_S1_S1_PKiPfP15HIP_vector_typeIfLj2EEffffjfiS5_IjLj3EEiiiiiiiiiiiliiliiiiil, .Lfunc_end85-_ZL15flash_attn_tileILi40ELi40ELi8ELi2ELb1EEvPKcS1_S1_S1_S1_PKiPfP15HIP_vector_typeIfLj2EEffffjfiS5_IjLj3EEiiiiiiiiiiiliiliiiiil
                                        ; -- End function
	.section	.AMDGPU.csdata,"",@progbits
; Kernel info:
; codeLenInByte = 44
; NumSgprs: 36
; NumVgprs: 37
; ScratchSize: 16
; MemoryBound: 0
; FloatMode: 240
; IeeeMode: 1
; LDSByteSize: 0 bytes/workgroup (compile time only)
; SGPRBlocks: 4
; VGPRBlocks: 4
; NumSGPRsForWavesPerEU: 36
; NumVGPRsForWavesPerEU: 37
; Occupancy: 16
; WaveLimiterHint : 1
; COMPUTE_PGM_RSRC2:SCRATCH_EN: 1
; COMPUTE_PGM_RSRC2:USER_SGPR: 15
; COMPUTE_PGM_RSRC2:TRAP_HANDLER: 0
; COMPUTE_PGM_RSRC2:TGID_X_EN: 1
; COMPUTE_PGM_RSRC2:TGID_Y_EN: 0
; COMPUTE_PGM_RSRC2:TGID_Z_EN: 0
; COMPUTE_PGM_RSRC2:TIDIG_COMP_CNT: 0
	.section	.text._ZL15flash_attn_tileILi40ELi40ELi4ELi2ELb1EEvPKcS1_S1_S1_S1_PKiPfP15HIP_vector_typeIfLj2EEffffjfiS5_IjLj3EEiiiiiiiiiiiliiliiiiil,"axG",@progbits,_ZL15flash_attn_tileILi40ELi40ELi4ELi2ELb1EEvPKcS1_S1_S1_S1_PKiPfP15HIP_vector_typeIfLj2EEffffjfiS5_IjLj3EEiiiiiiiiiiiliiliiiiil,comdat
	.globl	_ZL15flash_attn_tileILi40ELi40ELi4ELi2ELb1EEvPKcS1_S1_S1_S1_PKiPfP15HIP_vector_typeIfLj2EEffffjfiS5_IjLj3EEiiiiiiiiiiiliiliiiiil ; -- Begin function _ZL15flash_attn_tileILi40ELi40ELi4ELi2ELb1EEvPKcS1_S1_S1_S1_PKiPfP15HIP_vector_typeIfLj2EEffffjfiS5_IjLj3EEiiiiiiiiiiiliiliiiiil
	.p2align	8
	.type	_ZL15flash_attn_tileILi40ELi40ELi4ELi2ELb1EEvPKcS1_S1_S1_S1_PKiPfP15HIP_vector_typeIfLj2EEffffjfiS5_IjLj3EEiiiiiiiiiiiliiliiiiil,@function
_ZL15flash_attn_tileILi40ELi40ELi4ELi2ELb1EEvPKcS1_S1_S1_S1_PKiPfP15HIP_vector_typeIfLj2EEffffjfiS5_IjLj3EEiiiiiiiiiiiliiliiiiil: ; @_ZL15flash_attn_tileILi40ELi40ELi4ELi2ELb1EEvPKcS1_S1_S1_S1_PKiPfP15HIP_vector_typeIfLj2EEffffjfiS5_IjLj3EEiiiiiiiiiiiliiliiiiil
; %bb.0:
	s_add_u32 s8, s0, 0xd0
	s_addc_u32 s9, s1, 0
	s_mov_b32 s32, 0
	s_getpc_b64 s[0:1]
	s_add_u32 s0, s0, _ZL14no_device_codePKciS0_iS0_@rel32@lo+4
	s_addc_u32 s1, s1, _ZL14no_device_codePKciS0_iS0_@rel32@hi+12
	s_delay_alu instid0(SALU_CYCLE_1)
	s_swappc_b64 s[30:31], s[0:1]
	.section	.rodata,"a",@progbits
	.p2align	6, 0x0
	.amdhsa_kernel _ZL15flash_attn_tileILi40ELi40ELi4ELi2ELb1EEvPKcS1_S1_S1_S1_PKiPfP15HIP_vector_typeIfLj2EEffffjfiS5_IjLj3EEiiiiiiiiiiiliiliiiiil
		.amdhsa_group_segment_fixed_size 0
		.amdhsa_private_segment_fixed_size 16
		.amdhsa_kernarg_size 464
		.amdhsa_user_sgpr_count 15
		.amdhsa_user_sgpr_dispatch_ptr 0
		.amdhsa_user_sgpr_queue_ptr 0
		.amdhsa_user_sgpr_kernarg_segment_ptr 1
		.amdhsa_user_sgpr_dispatch_id 0
		.amdhsa_user_sgpr_private_segment_size 0
		.amdhsa_wavefront_size32 1
		.amdhsa_uses_dynamic_stack 0
		.amdhsa_enable_private_segment 1
		.amdhsa_system_sgpr_workgroup_id_x 1
		.amdhsa_system_sgpr_workgroup_id_y 0
		.amdhsa_system_sgpr_workgroup_id_z 0
		.amdhsa_system_sgpr_workgroup_info 0
		.amdhsa_system_vgpr_workitem_id 0
		.amdhsa_next_free_vgpr 37
		.amdhsa_next_free_sgpr 34
		.amdhsa_reserve_vcc 1
		.amdhsa_float_round_mode_32 0
		.amdhsa_float_round_mode_16_64 0
		.amdhsa_float_denorm_mode_32 3
		.amdhsa_float_denorm_mode_16_64 3
		.amdhsa_dx10_clamp 1
		.amdhsa_ieee_mode 1
		.amdhsa_fp16_overflow 0
		.amdhsa_workgroup_processor_mode 1
		.amdhsa_memory_ordered 1
		.amdhsa_forward_progress 0
		.amdhsa_shared_vgpr_count 0
		.amdhsa_exception_fp_ieee_invalid_op 0
		.amdhsa_exception_fp_denorm_src 0
		.amdhsa_exception_fp_ieee_div_zero 0
		.amdhsa_exception_fp_ieee_overflow 0
		.amdhsa_exception_fp_ieee_underflow 0
		.amdhsa_exception_fp_ieee_inexact 0
		.amdhsa_exception_int_div_zero 0
	.end_amdhsa_kernel
	.section	.text._ZL15flash_attn_tileILi40ELi40ELi4ELi2ELb1EEvPKcS1_S1_S1_S1_PKiPfP15HIP_vector_typeIfLj2EEffffjfiS5_IjLj3EEiiiiiiiiiiiliiliiiiil,"axG",@progbits,_ZL15flash_attn_tileILi40ELi40ELi4ELi2ELb1EEvPKcS1_S1_S1_S1_PKiPfP15HIP_vector_typeIfLj2EEffffjfiS5_IjLj3EEiiiiiiiiiiiliiliiiiil,comdat
.Lfunc_end86:
	.size	_ZL15flash_attn_tileILi40ELi40ELi4ELi2ELb1EEvPKcS1_S1_S1_S1_PKiPfP15HIP_vector_typeIfLj2EEffffjfiS5_IjLj3EEiiiiiiiiiiiliiliiiiil, .Lfunc_end86-_ZL15flash_attn_tileILi40ELi40ELi4ELi2ELb1EEvPKcS1_S1_S1_S1_PKiPfP15HIP_vector_typeIfLj2EEffffjfiS5_IjLj3EEiiiiiiiiiiiliiliiiiil
                                        ; -- End function
	.section	.AMDGPU.csdata,"",@progbits
; Kernel info:
; codeLenInByte = 44
; NumSgprs: 36
; NumVgprs: 37
; ScratchSize: 16
; MemoryBound: 0
; FloatMode: 240
; IeeeMode: 1
; LDSByteSize: 0 bytes/workgroup (compile time only)
; SGPRBlocks: 4
; VGPRBlocks: 4
; NumSGPRsForWavesPerEU: 36
; NumVGPRsForWavesPerEU: 37
; Occupancy: 16
; WaveLimiterHint : 1
; COMPUTE_PGM_RSRC2:SCRATCH_EN: 1
; COMPUTE_PGM_RSRC2:USER_SGPR: 15
; COMPUTE_PGM_RSRC2:TRAP_HANDLER: 0
; COMPUTE_PGM_RSRC2:TGID_X_EN: 1
; COMPUTE_PGM_RSRC2:TGID_Y_EN: 0
; COMPUTE_PGM_RSRC2:TGID_Z_EN: 0
; COMPUTE_PGM_RSRC2:TIDIG_COMP_CNT: 0
	.section	.text._ZL15flash_attn_tileILi40ELi40ELi2ELi2ELb1EEvPKcS1_S1_S1_S1_PKiPfP15HIP_vector_typeIfLj2EEffffjfiS5_IjLj3EEiiiiiiiiiiiliiliiiiil,"axG",@progbits,_ZL15flash_attn_tileILi40ELi40ELi2ELi2ELb1EEvPKcS1_S1_S1_S1_PKiPfP15HIP_vector_typeIfLj2EEffffjfiS5_IjLj3EEiiiiiiiiiiiliiliiiiil,comdat
	.globl	_ZL15flash_attn_tileILi40ELi40ELi2ELi2ELb1EEvPKcS1_S1_S1_S1_PKiPfP15HIP_vector_typeIfLj2EEffffjfiS5_IjLj3EEiiiiiiiiiiiliiliiiiil ; -- Begin function _ZL15flash_attn_tileILi40ELi40ELi2ELi2ELb1EEvPKcS1_S1_S1_S1_PKiPfP15HIP_vector_typeIfLj2EEffffjfiS5_IjLj3EEiiiiiiiiiiiliiliiiiil
	.p2align	8
	.type	_ZL15flash_attn_tileILi40ELi40ELi2ELi2ELb1EEvPKcS1_S1_S1_S1_PKiPfP15HIP_vector_typeIfLj2EEffffjfiS5_IjLj3EEiiiiiiiiiiiliiliiiiil,@function
_ZL15flash_attn_tileILi40ELi40ELi2ELi2ELb1EEvPKcS1_S1_S1_S1_PKiPfP15HIP_vector_typeIfLj2EEffffjfiS5_IjLj3EEiiiiiiiiiiiliiliiiiil: ; @_ZL15flash_attn_tileILi40ELi40ELi2ELi2ELb1EEvPKcS1_S1_S1_S1_PKiPfP15HIP_vector_typeIfLj2EEffffjfiS5_IjLj3EEiiiiiiiiiiiliiliiiiil
; %bb.0:
	s_add_u32 s8, s0, 0xd0
	s_addc_u32 s9, s1, 0
	s_mov_b32 s32, 0
	s_getpc_b64 s[0:1]
	s_add_u32 s0, s0, _ZL14no_device_codePKciS0_iS0_@rel32@lo+4
	s_addc_u32 s1, s1, _ZL14no_device_codePKciS0_iS0_@rel32@hi+12
	s_delay_alu instid0(SALU_CYCLE_1)
	s_swappc_b64 s[30:31], s[0:1]
	.section	.rodata,"a",@progbits
	.p2align	6, 0x0
	.amdhsa_kernel _ZL15flash_attn_tileILi40ELi40ELi2ELi2ELb1EEvPKcS1_S1_S1_S1_PKiPfP15HIP_vector_typeIfLj2EEffffjfiS5_IjLj3EEiiiiiiiiiiiliiliiiiil
		.amdhsa_group_segment_fixed_size 0
		.amdhsa_private_segment_fixed_size 16
		.amdhsa_kernarg_size 464
		.amdhsa_user_sgpr_count 15
		.amdhsa_user_sgpr_dispatch_ptr 0
		.amdhsa_user_sgpr_queue_ptr 0
		.amdhsa_user_sgpr_kernarg_segment_ptr 1
		.amdhsa_user_sgpr_dispatch_id 0
		.amdhsa_user_sgpr_private_segment_size 0
		.amdhsa_wavefront_size32 1
		.amdhsa_uses_dynamic_stack 0
		.amdhsa_enable_private_segment 1
		.amdhsa_system_sgpr_workgroup_id_x 1
		.amdhsa_system_sgpr_workgroup_id_y 0
		.amdhsa_system_sgpr_workgroup_id_z 0
		.amdhsa_system_sgpr_workgroup_info 0
		.amdhsa_system_vgpr_workitem_id 0
		.amdhsa_next_free_vgpr 37
		.amdhsa_next_free_sgpr 34
		.amdhsa_reserve_vcc 1
		.amdhsa_float_round_mode_32 0
		.amdhsa_float_round_mode_16_64 0
		.amdhsa_float_denorm_mode_32 3
		.amdhsa_float_denorm_mode_16_64 3
		.amdhsa_dx10_clamp 1
		.amdhsa_ieee_mode 1
		.amdhsa_fp16_overflow 0
		.amdhsa_workgroup_processor_mode 1
		.amdhsa_memory_ordered 1
		.amdhsa_forward_progress 0
		.amdhsa_shared_vgpr_count 0
		.amdhsa_exception_fp_ieee_invalid_op 0
		.amdhsa_exception_fp_denorm_src 0
		.amdhsa_exception_fp_ieee_div_zero 0
		.amdhsa_exception_fp_ieee_overflow 0
		.amdhsa_exception_fp_ieee_underflow 0
		.amdhsa_exception_fp_ieee_inexact 0
		.amdhsa_exception_int_div_zero 0
	.end_amdhsa_kernel
	.section	.text._ZL15flash_attn_tileILi40ELi40ELi2ELi2ELb1EEvPKcS1_S1_S1_S1_PKiPfP15HIP_vector_typeIfLj2EEffffjfiS5_IjLj3EEiiiiiiiiiiiliiliiiiil,"axG",@progbits,_ZL15flash_attn_tileILi40ELi40ELi2ELi2ELb1EEvPKcS1_S1_S1_S1_PKiPfP15HIP_vector_typeIfLj2EEffffjfiS5_IjLj3EEiiiiiiiiiiiliiliiiiil,comdat
.Lfunc_end87:
	.size	_ZL15flash_attn_tileILi40ELi40ELi2ELi2ELb1EEvPKcS1_S1_S1_S1_PKiPfP15HIP_vector_typeIfLj2EEffffjfiS5_IjLj3EEiiiiiiiiiiiliiliiiiil, .Lfunc_end87-_ZL15flash_attn_tileILi40ELi40ELi2ELi2ELb1EEvPKcS1_S1_S1_S1_PKiPfP15HIP_vector_typeIfLj2EEffffjfiS5_IjLj3EEiiiiiiiiiiiliiliiiiil
                                        ; -- End function
	.section	.AMDGPU.csdata,"",@progbits
; Kernel info:
; codeLenInByte = 44
; NumSgprs: 36
; NumVgprs: 37
; ScratchSize: 16
; MemoryBound: 0
; FloatMode: 240
; IeeeMode: 1
; LDSByteSize: 0 bytes/workgroup (compile time only)
; SGPRBlocks: 4
; VGPRBlocks: 4
; NumSGPRsForWavesPerEU: 36
; NumVGPRsForWavesPerEU: 37
; Occupancy: 16
; WaveLimiterHint : 1
; COMPUTE_PGM_RSRC2:SCRATCH_EN: 1
; COMPUTE_PGM_RSRC2:USER_SGPR: 15
; COMPUTE_PGM_RSRC2:TRAP_HANDLER: 0
; COMPUTE_PGM_RSRC2:TGID_X_EN: 1
; COMPUTE_PGM_RSRC2:TGID_Y_EN: 0
; COMPUTE_PGM_RSRC2:TGID_Z_EN: 0
; COMPUTE_PGM_RSRC2:TIDIG_COMP_CNT: 0
	.section	.text._ZL15flash_attn_tileILi40ELi40ELi1ELi2ELb1EEvPKcS1_S1_S1_S1_PKiPfP15HIP_vector_typeIfLj2EEffffjfiS5_IjLj3EEiiiiiiiiiiiliiliiiiil,"axG",@progbits,_ZL15flash_attn_tileILi40ELi40ELi1ELi2ELb1EEvPKcS1_S1_S1_S1_PKiPfP15HIP_vector_typeIfLj2EEffffjfiS5_IjLj3EEiiiiiiiiiiiliiliiiiil,comdat
	.globl	_ZL15flash_attn_tileILi40ELi40ELi1ELi2ELb1EEvPKcS1_S1_S1_S1_PKiPfP15HIP_vector_typeIfLj2EEffffjfiS5_IjLj3EEiiiiiiiiiiiliiliiiiil ; -- Begin function _ZL15flash_attn_tileILi40ELi40ELi1ELi2ELb1EEvPKcS1_S1_S1_S1_PKiPfP15HIP_vector_typeIfLj2EEffffjfiS5_IjLj3EEiiiiiiiiiiiliiliiiiil
	.p2align	8
	.type	_ZL15flash_attn_tileILi40ELi40ELi1ELi2ELb1EEvPKcS1_S1_S1_S1_PKiPfP15HIP_vector_typeIfLj2EEffffjfiS5_IjLj3EEiiiiiiiiiiiliiliiiiil,@function
_ZL15flash_attn_tileILi40ELi40ELi1ELi2ELb1EEvPKcS1_S1_S1_S1_PKiPfP15HIP_vector_typeIfLj2EEffffjfiS5_IjLj3EEiiiiiiiiiiiliiliiiiil: ; @_ZL15flash_attn_tileILi40ELi40ELi1ELi2ELb1EEvPKcS1_S1_S1_S1_PKiPfP15HIP_vector_typeIfLj2EEffffjfiS5_IjLj3EEiiiiiiiiiiiliiliiiiil
; %bb.0:
	s_add_u32 s8, s0, 0xd0
	s_addc_u32 s9, s1, 0
	s_mov_b32 s32, 0
	s_getpc_b64 s[0:1]
	s_add_u32 s0, s0, _ZL14no_device_codePKciS0_iS0_@rel32@lo+4
	s_addc_u32 s1, s1, _ZL14no_device_codePKciS0_iS0_@rel32@hi+12
	s_delay_alu instid0(SALU_CYCLE_1)
	s_swappc_b64 s[30:31], s[0:1]
	.section	.rodata,"a",@progbits
	.p2align	6, 0x0
	.amdhsa_kernel _ZL15flash_attn_tileILi40ELi40ELi1ELi2ELb1EEvPKcS1_S1_S1_S1_PKiPfP15HIP_vector_typeIfLj2EEffffjfiS5_IjLj3EEiiiiiiiiiiiliiliiiiil
		.amdhsa_group_segment_fixed_size 0
		.amdhsa_private_segment_fixed_size 16
		.amdhsa_kernarg_size 464
		.amdhsa_user_sgpr_count 15
		.amdhsa_user_sgpr_dispatch_ptr 0
		.amdhsa_user_sgpr_queue_ptr 0
		.amdhsa_user_sgpr_kernarg_segment_ptr 1
		.amdhsa_user_sgpr_dispatch_id 0
		.amdhsa_user_sgpr_private_segment_size 0
		.amdhsa_wavefront_size32 1
		.amdhsa_uses_dynamic_stack 0
		.amdhsa_enable_private_segment 1
		.amdhsa_system_sgpr_workgroup_id_x 1
		.amdhsa_system_sgpr_workgroup_id_y 0
		.amdhsa_system_sgpr_workgroup_id_z 0
		.amdhsa_system_sgpr_workgroup_info 0
		.amdhsa_system_vgpr_workitem_id 0
		.amdhsa_next_free_vgpr 37
		.amdhsa_next_free_sgpr 34
		.amdhsa_reserve_vcc 1
		.amdhsa_float_round_mode_32 0
		.amdhsa_float_round_mode_16_64 0
		.amdhsa_float_denorm_mode_32 3
		.amdhsa_float_denorm_mode_16_64 3
		.amdhsa_dx10_clamp 1
		.amdhsa_ieee_mode 1
		.amdhsa_fp16_overflow 0
		.amdhsa_workgroup_processor_mode 1
		.amdhsa_memory_ordered 1
		.amdhsa_forward_progress 0
		.amdhsa_shared_vgpr_count 0
		.amdhsa_exception_fp_ieee_invalid_op 0
		.amdhsa_exception_fp_denorm_src 0
		.amdhsa_exception_fp_ieee_div_zero 0
		.amdhsa_exception_fp_ieee_overflow 0
		.amdhsa_exception_fp_ieee_underflow 0
		.amdhsa_exception_fp_ieee_inexact 0
		.amdhsa_exception_int_div_zero 0
	.end_amdhsa_kernel
	.section	.text._ZL15flash_attn_tileILi40ELi40ELi1ELi2ELb1EEvPKcS1_S1_S1_S1_PKiPfP15HIP_vector_typeIfLj2EEffffjfiS5_IjLj3EEiiiiiiiiiiiliiliiiiil,"axG",@progbits,_ZL15flash_attn_tileILi40ELi40ELi1ELi2ELb1EEvPKcS1_S1_S1_S1_PKiPfP15HIP_vector_typeIfLj2EEffffjfiS5_IjLj3EEiiiiiiiiiiiliiliiiiil,comdat
.Lfunc_end88:
	.size	_ZL15flash_attn_tileILi40ELi40ELi1ELi2ELb1EEvPKcS1_S1_S1_S1_PKiPfP15HIP_vector_typeIfLj2EEffffjfiS5_IjLj3EEiiiiiiiiiiiliiliiiiil, .Lfunc_end88-_ZL15flash_attn_tileILi40ELi40ELi1ELi2ELb1EEvPKcS1_S1_S1_S1_PKiPfP15HIP_vector_typeIfLj2EEffffjfiS5_IjLj3EEiiiiiiiiiiiliiliiiiil
                                        ; -- End function
	.section	.AMDGPU.csdata,"",@progbits
; Kernel info:
; codeLenInByte = 44
; NumSgprs: 36
; NumVgprs: 37
; ScratchSize: 16
; MemoryBound: 0
; FloatMode: 240
; IeeeMode: 1
; LDSByteSize: 0 bytes/workgroup (compile time only)
; SGPRBlocks: 4
; VGPRBlocks: 4
; NumSGPRsForWavesPerEU: 36
; NumVGPRsForWavesPerEU: 37
; Occupancy: 16
; WaveLimiterHint : 1
; COMPUTE_PGM_RSRC2:SCRATCH_EN: 1
; COMPUTE_PGM_RSRC2:USER_SGPR: 15
; COMPUTE_PGM_RSRC2:TRAP_HANDLER: 0
; COMPUTE_PGM_RSRC2:TGID_X_EN: 1
; COMPUTE_PGM_RSRC2:TGID_Y_EN: 0
; COMPUTE_PGM_RSRC2:TGID_Z_EN: 0
; COMPUTE_PGM_RSRC2:TIDIG_COMP_CNT: 0
	.section	.text._ZL15flash_attn_tileILi40ELi40ELi64ELi1ELb1EEvPKcS1_S1_S1_S1_PKiPfP15HIP_vector_typeIfLj2EEffffjfiS5_IjLj3EEiiiiiiiiiiiliiliiiiil,"axG",@progbits,_ZL15flash_attn_tileILi40ELi40ELi64ELi1ELb1EEvPKcS1_S1_S1_S1_PKiPfP15HIP_vector_typeIfLj2EEffffjfiS5_IjLj3EEiiiiiiiiiiiliiliiiiil,comdat
	.globl	_ZL15flash_attn_tileILi40ELi40ELi64ELi1ELb1EEvPKcS1_S1_S1_S1_PKiPfP15HIP_vector_typeIfLj2EEffffjfiS5_IjLj3EEiiiiiiiiiiiliiliiiiil ; -- Begin function _ZL15flash_attn_tileILi40ELi40ELi64ELi1ELb1EEvPKcS1_S1_S1_S1_PKiPfP15HIP_vector_typeIfLj2EEffffjfiS5_IjLj3EEiiiiiiiiiiiliiliiiiil
	.p2align	8
	.type	_ZL15flash_attn_tileILi40ELi40ELi64ELi1ELb1EEvPKcS1_S1_S1_S1_PKiPfP15HIP_vector_typeIfLj2EEffffjfiS5_IjLj3EEiiiiiiiiiiiliiliiiiil,@function
_ZL15flash_attn_tileILi40ELi40ELi64ELi1ELb1EEvPKcS1_S1_S1_S1_PKiPfP15HIP_vector_typeIfLj2EEffffjfiS5_IjLj3EEiiiiiiiiiiiliiliiiiil: ; @_ZL15flash_attn_tileILi40ELi40ELi64ELi1ELb1EEvPKcS1_S1_S1_S1_PKiPfP15HIP_vector_typeIfLj2EEffffjfiS5_IjLj3EEiiiiiiiiiiiliiliiiiil
; %bb.0:
	s_add_u32 s8, s0, 0xd0
	s_addc_u32 s9, s1, 0
	s_mov_b32 s32, 0
	s_getpc_b64 s[0:1]
	s_add_u32 s0, s0, _ZL14no_device_codePKciS0_iS0_@rel32@lo+4
	s_addc_u32 s1, s1, _ZL14no_device_codePKciS0_iS0_@rel32@hi+12
	s_delay_alu instid0(SALU_CYCLE_1)
	s_swappc_b64 s[30:31], s[0:1]
	.section	.rodata,"a",@progbits
	.p2align	6, 0x0
	.amdhsa_kernel _ZL15flash_attn_tileILi40ELi40ELi64ELi1ELb1EEvPKcS1_S1_S1_S1_PKiPfP15HIP_vector_typeIfLj2EEffffjfiS5_IjLj3EEiiiiiiiiiiiliiliiiiil
		.amdhsa_group_segment_fixed_size 0
		.amdhsa_private_segment_fixed_size 16
		.amdhsa_kernarg_size 464
		.amdhsa_user_sgpr_count 15
		.amdhsa_user_sgpr_dispatch_ptr 0
		.amdhsa_user_sgpr_queue_ptr 0
		.amdhsa_user_sgpr_kernarg_segment_ptr 1
		.amdhsa_user_sgpr_dispatch_id 0
		.amdhsa_user_sgpr_private_segment_size 0
		.amdhsa_wavefront_size32 1
		.amdhsa_uses_dynamic_stack 0
		.amdhsa_enable_private_segment 1
		.amdhsa_system_sgpr_workgroup_id_x 1
		.amdhsa_system_sgpr_workgroup_id_y 0
		.amdhsa_system_sgpr_workgroup_id_z 0
		.amdhsa_system_sgpr_workgroup_info 0
		.amdhsa_system_vgpr_workitem_id 0
		.amdhsa_next_free_vgpr 37
		.amdhsa_next_free_sgpr 34
		.amdhsa_reserve_vcc 1
		.amdhsa_float_round_mode_32 0
		.amdhsa_float_round_mode_16_64 0
		.amdhsa_float_denorm_mode_32 3
		.amdhsa_float_denorm_mode_16_64 3
		.amdhsa_dx10_clamp 1
		.amdhsa_ieee_mode 1
		.amdhsa_fp16_overflow 0
		.amdhsa_workgroup_processor_mode 1
		.amdhsa_memory_ordered 1
		.amdhsa_forward_progress 0
		.amdhsa_shared_vgpr_count 0
		.amdhsa_exception_fp_ieee_invalid_op 0
		.amdhsa_exception_fp_denorm_src 0
		.amdhsa_exception_fp_ieee_div_zero 0
		.amdhsa_exception_fp_ieee_overflow 0
		.amdhsa_exception_fp_ieee_underflow 0
		.amdhsa_exception_fp_ieee_inexact 0
		.amdhsa_exception_int_div_zero 0
	.end_amdhsa_kernel
	.section	.text._ZL15flash_attn_tileILi40ELi40ELi64ELi1ELb1EEvPKcS1_S1_S1_S1_PKiPfP15HIP_vector_typeIfLj2EEffffjfiS5_IjLj3EEiiiiiiiiiiiliiliiiiil,"axG",@progbits,_ZL15flash_attn_tileILi40ELi40ELi64ELi1ELb1EEvPKcS1_S1_S1_S1_PKiPfP15HIP_vector_typeIfLj2EEffffjfiS5_IjLj3EEiiiiiiiiiiiliiliiiiil,comdat
.Lfunc_end89:
	.size	_ZL15flash_attn_tileILi40ELi40ELi64ELi1ELb1EEvPKcS1_S1_S1_S1_PKiPfP15HIP_vector_typeIfLj2EEffffjfiS5_IjLj3EEiiiiiiiiiiiliiliiiiil, .Lfunc_end89-_ZL15flash_attn_tileILi40ELi40ELi64ELi1ELb1EEvPKcS1_S1_S1_S1_PKiPfP15HIP_vector_typeIfLj2EEffffjfiS5_IjLj3EEiiiiiiiiiiiliiliiiiil
                                        ; -- End function
	.section	.AMDGPU.csdata,"",@progbits
; Kernel info:
; codeLenInByte = 44
; NumSgprs: 36
; NumVgprs: 37
; ScratchSize: 16
; MemoryBound: 0
; FloatMode: 240
; IeeeMode: 1
; LDSByteSize: 0 bytes/workgroup (compile time only)
; SGPRBlocks: 4
; VGPRBlocks: 4
; NumSGPRsForWavesPerEU: 36
; NumVGPRsForWavesPerEU: 37
; Occupancy: 16
; WaveLimiterHint : 1
; COMPUTE_PGM_RSRC2:SCRATCH_EN: 1
; COMPUTE_PGM_RSRC2:USER_SGPR: 15
; COMPUTE_PGM_RSRC2:TRAP_HANDLER: 0
; COMPUTE_PGM_RSRC2:TGID_X_EN: 1
; COMPUTE_PGM_RSRC2:TGID_Y_EN: 0
; COMPUTE_PGM_RSRC2:TGID_Z_EN: 0
; COMPUTE_PGM_RSRC2:TIDIG_COMP_CNT: 0
	.section	.text._ZL15flash_attn_tileILi40ELi40ELi32ELi1ELb1EEvPKcS1_S1_S1_S1_PKiPfP15HIP_vector_typeIfLj2EEffffjfiS5_IjLj3EEiiiiiiiiiiiliiliiiiil,"axG",@progbits,_ZL15flash_attn_tileILi40ELi40ELi32ELi1ELb1EEvPKcS1_S1_S1_S1_PKiPfP15HIP_vector_typeIfLj2EEffffjfiS5_IjLj3EEiiiiiiiiiiiliiliiiiil,comdat
	.globl	_ZL15flash_attn_tileILi40ELi40ELi32ELi1ELb1EEvPKcS1_S1_S1_S1_PKiPfP15HIP_vector_typeIfLj2EEffffjfiS5_IjLj3EEiiiiiiiiiiiliiliiiiil ; -- Begin function _ZL15flash_attn_tileILi40ELi40ELi32ELi1ELb1EEvPKcS1_S1_S1_S1_PKiPfP15HIP_vector_typeIfLj2EEffffjfiS5_IjLj3EEiiiiiiiiiiiliiliiiiil
	.p2align	8
	.type	_ZL15flash_attn_tileILi40ELi40ELi32ELi1ELb1EEvPKcS1_S1_S1_S1_PKiPfP15HIP_vector_typeIfLj2EEffffjfiS5_IjLj3EEiiiiiiiiiiiliiliiiiil,@function
_ZL15flash_attn_tileILi40ELi40ELi32ELi1ELb1EEvPKcS1_S1_S1_S1_PKiPfP15HIP_vector_typeIfLj2EEffffjfiS5_IjLj3EEiiiiiiiiiiiliiliiiiil: ; @_ZL15flash_attn_tileILi40ELi40ELi32ELi1ELb1EEvPKcS1_S1_S1_S1_PKiPfP15HIP_vector_typeIfLj2EEffffjfiS5_IjLj3EEiiiiiiiiiiiliiliiiiil
; %bb.0:
	s_add_u32 s8, s0, 0xd0
	s_addc_u32 s9, s1, 0
	s_mov_b32 s32, 0
	s_getpc_b64 s[0:1]
	s_add_u32 s0, s0, _ZL14no_device_codePKciS0_iS0_@rel32@lo+4
	s_addc_u32 s1, s1, _ZL14no_device_codePKciS0_iS0_@rel32@hi+12
	s_delay_alu instid0(SALU_CYCLE_1)
	s_swappc_b64 s[30:31], s[0:1]
	.section	.rodata,"a",@progbits
	.p2align	6, 0x0
	.amdhsa_kernel _ZL15flash_attn_tileILi40ELi40ELi32ELi1ELb1EEvPKcS1_S1_S1_S1_PKiPfP15HIP_vector_typeIfLj2EEffffjfiS5_IjLj3EEiiiiiiiiiiiliiliiiiil
		.amdhsa_group_segment_fixed_size 0
		.amdhsa_private_segment_fixed_size 16
		.amdhsa_kernarg_size 464
		.amdhsa_user_sgpr_count 15
		.amdhsa_user_sgpr_dispatch_ptr 0
		.amdhsa_user_sgpr_queue_ptr 0
		.amdhsa_user_sgpr_kernarg_segment_ptr 1
		.amdhsa_user_sgpr_dispatch_id 0
		.amdhsa_user_sgpr_private_segment_size 0
		.amdhsa_wavefront_size32 1
		.amdhsa_uses_dynamic_stack 0
		.amdhsa_enable_private_segment 1
		.amdhsa_system_sgpr_workgroup_id_x 1
		.amdhsa_system_sgpr_workgroup_id_y 0
		.amdhsa_system_sgpr_workgroup_id_z 0
		.amdhsa_system_sgpr_workgroup_info 0
		.amdhsa_system_vgpr_workitem_id 0
		.amdhsa_next_free_vgpr 37
		.amdhsa_next_free_sgpr 34
		.amdhsa_reserve_vcc 1
		.amdhsa_float_round_mode_32 0
		.amdhsa_float_round_mode_16_64 0
		.amdhsa_float_denorm_mode_32 3
		.amdhsa_float_denorm_mode_16_64 3
		.amdhsa_dx10_clamp 1
		.amdhsa_ieee_mode 1
		.amdhsa_fp16_overflow 0
		.amdhsa_workgroup_processor_mode 1
		.amdhsa_memory_ordered 1
		.amdhsa_forward_progress 0
		.amdhsa_shared_vgpr_count 0
		.amdhsa_exception_fp_ieee_invalid_op 0
		.amdhsa_exception_fp_denorm_src 0
		.amdhsa_exception_fp_ieee_div_zero 0
		.amdhsa_exception_fp_ieee_overflow 0
		.amdhsa_exception_fp_ieee_underflow 0
		.amdhsa_exception_fp_ieee_inexact 0
		.amdhsa_exception_int_div_zero 0
	.end_amdhsa_kernel
	.section	.text._ZL15flash_attn_tileILi40ELi40ELi32ELi1ELb1EEvPKcS1_S1_S1_S1_PKiPfP15HIP_vector_typeIfLj2EEffffjfiS5_IjLj3EEiiiiiiiiiiiliiliiiiil,"axG",@progbits,_ZL15flash_attn_tileILi40ELi40ELi32ELi1ELb1EEvPKcS1_S1_S1_S1_PKiPfP15HIP_vector_typeIfLj2EEffffjfiS5_IjLj3EEiiiiiiiiiiiliiliiiiil,comdat
.Lfunc_end90:
	.size	_ZL15flash_attn_tileILi40ELi40ELi32ELi1ELb1EEvPKcS1_S1_S1_S1_PKiPfP15HIP_vector_typeIfLj2EEffffjfiS5_IjLj3EEiiiiiiiiiiiliiliiiiil, .Lfunc_end90-_ZL15flash_attn_tileILi40ELi40ELi32ELi1ELb1EEvPKcS1_S1_S1_S1_PKiPfP15HIP_vector_typeIfLj2EEffffjfiS5_IjLj3EEiiiiiiiiiiiliiliiiiil
                                        ; -- End function
	.section	.AMDGPU.csdata,"",@progbits
; Kernel info:
; codeLenInByte = 44
; NumSgprs: 36
; NumVgprs: 37
; ScratchSize: 16
; MemoryBound: 0
; FloatMode: 240
; IeeeMode: 1
; LDSByteSize: 0 bytes/workgroup (compile time only)
; SGPRBlocks: 4
; VGPRBlocks: 4
; NumSGPRsForWavesPerEU: 36
; NumVGPRsForWavesPerEU: 37
; Occupancy: 16
; WaveLimiterHint : 1
; COMPUTE_PGM_RSRC2:SCRATCH_EN: 1
; COMPUTE_PGM_RSRC2:USER_SGPR: 15
; COMPUTE_PGM_RSRC2:TRAP_HANDLER: 0
; COMPUTE_PGM_RSRC2:TGID_X_EN: 1
; COMPUTE_PGM_RSRC2:TGID_Y_EN: 0
; COMPUTE_PGM_RSRC2:TGID_Z_EN: 0
; COMPUTE_PGM_RSRC2:TIDIG_COMP_CNT: 0
	.section	.text._ZL15flash_attn_tileILi40ELi40ELi16ELi1ELb1EEvPKcS1_S1_S1_S1_PKiPfP15HIP_vector_typeIfLj2EEffffjfiS5_IjLj3EEiiiiiiiiiiiliiliiiiil,"axG",@progbits,_ZL15flash_attn_tileILi40ELi40ELi16ELi1ELb1EEvPKcS1_S1_S1_S1_PKiPfP15HIP_vector_typeIfLj2EEffffjfiS5_IjLj3EEiiiiiiiiiiiliiliiiiil,comdat
	.globl	_ZL15flash_attn_tileILi40ELi40ELi16ELi1ELb1EEvPKcS1_S1_S1_S1_PKiPfP15HIP_vector_typeIfLj2EEffffjfiS5_IjLj3EEiiiiiiiiiiiliiliiiiil ; -- Begin function _ZL15flash_attn_tileILi40ELi40ELi16ELi1ELb1EEvPKcS1_S1_S1_S1_PKiPfP15HIP_vector_typeIfLj2EEffffjfiS5_IjLj3EEiiiiiiiiiiiliiliiiiil
	.p2align	8
	.type	_ZL15flash_attn_tileILi40ELi40ELi16ELi1ELb1EEvPKcS1_S1_S1_S1_PKiPfP15HIP_vector_typeIfLj2EEffffjfiS5_IjLj3EEiiiiiiiiiiiliiliiiiil,@function
_ZL15flash_attn_tileILi40ELi40ELi16ELi1ELb1EEvPKcS1_S1_S1_S1_PKiPfP15HIP_vector_typeIfLj2EEffffjfiS5_IjLj3EEiiiiiiiiiiiliiliiiiil: ; @_ZL15flash_attn_tileILi40ELi40ELi16ELi1ELb1EEvPKcS1_S1_S1_S1_PKiPfP15HIP_vector_typeIfLj2EEffffjfiS5_IjLj3EEiiiiiiiiiiiliiliiiiil
; %bb.0:
	s_add_u32 s8, s0, 0xd0
	s_addc_u32 s9, s1, 0
	s_mov_b32 s32, 0
	s_getpc_b64 s[0:1]
	s_add_u32 s0, s0, _ZL14no_device_codePKciS0_iS0_@rel32@lo+4
	s_addc_u32 s1, s1, _ZL14no_device_codePKciS0_iS0_@rel32@hi+12
	s_delay_alu instid0(SALU_CYCLE_1)
	s_swappc_b64 s[30:31], s[0:1]
	.section	.rodata,"a",@progbits
	.p2align	6, 0x0
	.amdhsa_kernel _ZL15flash_attn_tileILi40ELi40ELi16ELi1ELb1EEvPKcS1_S1_S1_S1_PKiPfP15HIP_vector_typeIfLj2EEffffjfiS5_IjLj3EEiiiiiiiiiiiliiliiiiil
		.amdhsa_group_segment_fixed_size 0
		.amdhsa_private_segment_fixed_size 16
		.amdhsa_kernarg_size 464
		.amdhsa_user_sgpr_count 15
		.amdhsa_user_sgpr_dispatch_ptr 0
		.amdhsa_user_sgpr_queue_ptr 0
		.amdhsa_user_sgpr_kernarg_segment_ptr 1
		.amdhsa_user_sgpr_dispatch_id 0
		.amdhsa_user_sgpr_private_segment_size 0
		.amdhsa_wavefront_size32 1
		.amdhsa_uses_dynamic_stack 0
		.amdhsa_enable_private_segment 1
		.amdhsa_system_sgpr_workgroup_id_x 1
		.amdhsa_system_sgpr_workgroup_id_y 0
		.amdhsa_system_sgpr_workgroup_id_z 0
		.amdhsa_system_sgpr_workgroup_info 0
		.amdhsa_system_vgpr_workitem_id 0
		.amdhsa_next_free_vgpr 37
		.amdhsa_next_free_sgpr 34
		.amdhsa_reserve_vcc 1
		.amdhsa_float_round_mode_32 0
		.amdhsa_float_round_mode_16_64 0
		.amdhsa_float_denorm_mode_32 3
		.amdhsa_float_denorm_mode_16_64 3
		.amdhsa_dx10_clamp 1
		.amdhsa_ieee_mode 1
		.amdhsa_fp16_overflow 0
		.amdhsa_workgroup_processor_mode 1
		.amdhsa_memory_ordered 1
		.amdhsa_forward_progress 0
		.amdhsa_shared_vgpr_count 0
		.amdhsa_exception_fp_ieee_invalid_op 0
		.amdhsa_exception_fp_denorm_src 0
		.amdhsa_exception_fp_ieee_div_zero 0
		.amdhsa_exception_fp_ieee_overflow 0
		.amdhsa_exception_fp_ieee_underflow 0
		.amdhsa_exception_fp_ieee_inexact 0
		.amdhsa_exception_int_div_zero 0
	.end_amdhsa_kernel
	.section	.text._ZL15flash_attn_tileILi40ELi40ELi16ELi1ELb1EEvPKcS1_S1_S1_S1_PKiPfP15HIP_vector_typeIfLj2EEffffjfiS5_IjLj3EEiiiiiiiiiiiliiliiiiil,"axG",@progbits,_ZL15flash_attn_tileILi40ELi40ELi16ELi1ELb1EEvPKcS1_S1_S1_S1_PKiPfP15HIP_vector_typeIfLj2EEffffjfiS5_IjLj3EEiiiiiiiiiiiliiliiiiil,comdat
.Lfunc_end91:
	.size	_ZL15flash_attn_tileILi40ELi40ELi16ELi1ELb1EEvPKcS1_S1_S1_S1_PKiPfP15HIP_vector_typeIfLj2EEffffjfiS5_IjLj3EEiiiiiiiiiiiliiliiiiil, .Lfunc_end91-_ZL15flash_attn_tileILi40ELi40ELi16ELi1ELb1EEvPKcS1_S1_S1_S1_PKiPfP15HIP_vector_typeIfLj2EEffffjfiS5_IjLj3EEiiiiiiiiiiiliiliiiiil
                                        ; -- End function
	.section	.AMDGPU.csdata,"",@progbits
; Kernel info:
; codeLenInByte = 44
; NumSgprs: 36
; NumVgprs: 37
; ScratchSize: 16
; MemoryBound: 0
; FloatMode: 240
; IeeeMode: 1
; LDSByteSize: 0 bytes/workgroup (compile time only)
; SGPRBlocks: 4
; VGPRBlocks: 4
; NumSGPRsForWavesPerEU: 36
; NumVGPRsForWavesPerEU: 37
; Occupancy: 16
; WaveLimiterHint : 1
; COMPUTE_PGM_RSRC2:SCRATCH_EN: 1
; COMPUTE_PGM_RSRC2:USER_SGPR: 15
; COMPUTE_PGM_RSRC2:TRAP_HANDLER: 0
; COMPUTE_PGM_RSRC2:TGID_X_EN: 1
; COMPUTE_PGM_RSRC2:TGID_Y_EN: 0
; COMPUTE_PGM_RSRC2:TGID_Z_EN: 0
; COMPUTE_PGM_RSRC2:TIDIG_COMP_CNT: 0
	.section	.text._ZL15flash_attn_tileILi40ELi40ELi8ELi1ELb1EEvPKcS1_S1_S1_S1_PKiPfP15HIP_vector_typeIfLj2EEffffjfiS5_IjLj3EEiiiiiiiiiiiliiliiiiil,"axG",@progbits,_ZL15flash_attn_tileILi40ELi40ELi8ELi1ELb1EEvPKcS1_S1_S1_S1_PKiPfP15HIP_vector_typeIfLj2EEffffjfiS5_IjLj3EEiiiiiiiiiiiliiliiiiil,comdat
	.globl	_ZL15flash_attn_tileILi40ELi40ELi8ELi1ELb1EEvPKcS1_S1_S1_S1_PKiPfP15HIP_vector_typeIfLj2EEffffjfiS5_IjLj3EEiiiiiiiiiiiliiliiiiil ; -- Begin function _ZL15flash_attn_tileILi40ELi40ELi8ELi1ELb1EEvPKcS1_S1_S1_S1_PKiPfP15HIP_vector_typeIfLj2EEffffjfiS5_IjLj3EEiiiiiiiiiiiliiliiiiil
	.p2align	8
	.type	_ZL15flash_attn_tileILi40ELi40ELi8ELi1ELb1EEvPKcS1_S1_S1_S1_PKiPfP15HIP_vector_typeIfLj2EEffffjfiS5_IjLj3EEiiiiiiiiiiiliiliiiiil,@function
_ZL15flash_attn_tileILi40ELi40ELi8ELi1ELb1EEvPKcS1_S1_S1_S1_PKiPfP15HIP_vector_typeIfLj2EEffffjfiS5_IjLj3EEiiiiiiiiiiiliiliiiiil: ; @_ZL15flash_attn_tileILi40ELi40ELi8ELi1ELb1EEvPKcS1_S1_S1_S1_PKiPfP15HIP_vector_typeIfLj2EEffffjfiS5_IjLj3EEiiiiiiiiiiiliiliiiiil
; %bb.0:
	s_add_u32 s8, s0, 0xd0
	s_addc_u32 s9, s1, 0
	s_mov_b32 s32, 0
	s_getpc_b64 s[0:1]
	s_add_u32 s0, s0, _ZL14no_device_codePKciS0_iS0_@rel32@lo+4
	s_addc_u32 s1, s1, _ZL14no_device_codePKciS0_iS0_@rel32@hi+12
	s_delay_alu instid0(SALU_CYCLE_1)
	s_swappc_b64 s[30:31], s[0:1]
	.section	.rodata,"a",@progbits
	.p2align	6, 0x0
	.amdhsa_kernel _ZL15flash_attn_tileILi40ELi40ELi8ELi1ELb1EEvPKcS1_S1_S1_S1_PKiPfP15HIP_vector_typeIfLj2EEffffjfiS5_IjLj3EEiiiiiiiiiiiliiliiiiil
		.amdhsa_group_segment_fixed_size 0
		.amdhsa_private_segment_fixed_size 16
		.amdhsa_kernarg_size 464
		.amdhsa_user_sgpr_count 15
		.amdhsa_user_sgpr_dispatch_ptr 0
		.amdhsa_user_sgpr_queue_ptr 0
		.amdhsa_user_sgpr_kernarg_segment_ptr 1
		.amdhsa_user_sgpr_dispatch_id 0
		.amdhsa_user_sgpr_private_segment_size 0
		.amdhsa_wavefront_size32 1
		.amdhsa_uses_dynamic_stack 0
		.amdhsa_enable_private_segment 1
		.amdhsa_system_sgpr_workgroup_id_x 1
		.amdhsa_system_sgpr_workgroup_id_y 0
		.amdhsa_system_sgpr_workgroup_id_z 0
		.amdhsa_system_sgpr_workgroup_info 0
		.amdhsa_system_vgpr_workitem_id 0
		.amdhsa_next_free_vgpr 37
		.amdhsa_next_free_sgpr 34
		.amdhsa_reserve_vcc 1
		.amdhsa_float_round_mode_32 0
		.amdhsa_float_round_mode_16_64 0
		.amdhsa_float_denorm_mode_32 3
		.amdhsa_float_denorm_mode_16_64 3
		.amdhsa_dx10_clamp 1
		.amdhsa_ieee_mode 1
		.amdhsa_fp16_overflow 0
		.amdhsa_workgroup_processor_mode 1
		.amdhsa_memory_ordered 1
		.amdhsa_forward_progress 0
		.amdhsa_shared_vgpr_count 0
		.amdhsa_exception_fp_ieee_invalid_op 0
		.amdhsa_exception_fp_denorm_src 0
		.amdhsa_exception_fp_ieee_div_zero 0
		.amdhsa_exception_fp_ieee_overflow 0
		.amdhsa_exception_fp_ieee_underflow 0
		.amdhsa_exception_fp_ieee_inexact 0
		.amdhsa_exception_int_div_zero 0
	.end_amdhsa_kernel
	.section	.text._ZL15flash_attn_tileILi40ELi40ELi8ELi1ELb1EEvPKcS1_S1_S1_S1_PKiPfP15HIP_vector_typeIfLj2EEffffjfiS5_IjLj3EEiiiiiiiiiiiliiliiiiil,"axG",@progbits,_ZL15flash_attn_tileILi40ELi40ELi8ELi1ELb1EEvPKcS1_S1_S1_S1_PKiPfP15HIP_vector_typeIfLj2EEffffjfiS5_IjLj3EEiiiiiiiiiiiliiliiiiil,comdat
.Lfunc_end92:
	.size	_ZL15flash_attn_tileILi40ELi40ELi8ELi1ELb1EEvPKcS1_S1_S1_S1_PKiPfP15HIP_vector_typeIfLj2EEffffjfiS5_IjLj3EEiiiiiiiiiiiliiliiiiil, .Lfunc_end92-_ZL15flash_attn_tileILi40ELi40ELi8ELi1ELb1EEvPKcS1_S1_S1_S1_PKiPfP15HIP_vector_typeIfLj2EEffffjfiS5_IjLj3EEiiiiiiiiiiiliiliiiiil
                                        ; -- End function
	.section	.AMDGPU.csdata,"",@progbits
; Kernel info:
; codeLenInByte = 44
; NumSgprs: 36
; NumVgprs: 37
; ScratchSize: 16
; MemoryBound: 0
; FloatMode: 240
; IeeeMode: 1
; LDSByteSize: 0 bytes/workgroup (compile time only)
; SGPRBlocks: 4
; VGPRBlocks: 4
; NumSGPRsForWavesPerEU: 36
; NumVGPRsForWavesPerEU: 37
; Occupancy: 16
; WaveLimiterHint : 1
; COMPUTE_PGM_RSRC2:SCRATCH_EN: 1
; COMPUTE_PGM_RSRC2:USER_SGPR: 15
; COMPUTE_PGM_RSRC2:TRAP_HANDLER: 0
; COMPUTE_PGM_RSRC2:TGID_X_EN: 1
; COMPUTE_PGM_RSRC2:TGID_Y_EN: 0
; COMPUTE_PGM_RSRC2:TGID_Z_EN: 0
; COMPUTE_PGM_RSRC2:TIDIG_COMP_CNT: 0
	.section	.text._ZL15flash_attn_tileILi40ELi40ELi4ELi1ELb1EEvPKcS1_S1_S1_S1_PKiPfP15HIP_vector_typeIfLj2EEffffjfiS5_IjLj3EEiiiiiiiiiiiliiliiiiil,"axG",@progbits,_ZL15flash_attn_tileILi40ELi40ELi4ELi1ELb1EEvPKcS1_S1_S1_S1_PKiPfP15HIP_vector_typeIfLj2EEffffjfiS5_IjLj3EEiiiiiiiiiiiliiliiiiil,comdat
	.globl	_ZL15flash_attn_tileILi40ELi40ELi4ELi1ELb1EEvPKcS1_S1_S1_S1_PKiPfP15HIP_vector_typeIfLj2EEffffjfiS5_IjLj3EEiiiiiiiiiiiliiliiiiil ; -- Begin function _ZL15flash_attn_tileILi40ELi40ELi4ELi1ELb1EEvPKcS1_S1_S1_S1_PKiPfP15HIP_vector_typeIfLj2EEffffjfiS5_IjLj3EEiiiiiiiiiiiliiliiiiil
	.p2align	8
	.type	_ZL15flash_attn_tileILi40ELi40ELi4ELi1ELb1EEvPKcS1_S1_S1_S1_PKiPfP15HIP_vector_typeIfLj2EEffffjfiS5_IjLj3EEiiiiiiiiiiiliiliiiiil,@function
_ZL15flash_attn_tileILi40ELi40ELi4ELi1ELb1EEvPKcS1_S1_S1_S1_PKiPfP15HIP_vector_typeIfLj2EEffffjfiS5_IjLj3EEiiiiiiiiiiiliiliiiiil: ; @_ZL15flash_attn_tileILi40ELi40ELi4ELi1ELb1EEvPKcS1_S1_S1_S1_PKiPfP15HIP_vector_typeIfLj2EEffffjfiS5_IjLj3EEiiiiiiiiiiiliiliiiiil
; %bb.0:
	s_add_u32 s8, s0, 0xd0
	s_addc_u32 s9, s1, 0
	s_mov_b32 s32, 0
	s_getpc_b64 s[0:1]
	s_add_u32 s0, s0, _ZL14no_device_codePKciS0_iS0_@rel32@lo+4
	s_addc_u32 s1, s1, _ZL14no_device_codePKciS0_iS0_@rel32@hi+12
	s_delay_alu instid0(SALU_CYCLE_1)
	s_swappc_b64 s[30:31], s[0:1]
	.section	.rodata,"a",@progbits
	.p2align	6, 0x0
	.amdhsa_kernel _ZL15flash_attn_tileILi40ELi40ELi4ELi1ELb1EEvPKcS1_S1_S1_S1_PKiPfP15HIP_vector_typeIfLj2EEffffjfiS5_IjLj3EEiiiiiiiiiiiliiliiiiil
		.amdhsa_group_segment_fixed_size 0
		.amdhsa_private_segment_fixed_size 16
		.amdhsa_kernarg_size 464
		.amdhsa_user_sgpr_count 15
		.amdhsa_user_sgpr_dispatch_ptr 0
		.amdhsa_user_sgpr_queue_ptr 0
		.amdhsa_user_sgpr_kernarg_segment_ptr 1
		.amdhsa_user_sgpr_dispatch_id 0
		.amdhsa_user_sgpr_private_segment_size 0
		.amdhsa_wavefront_size32 1
		.amdhsa_uses_dynamic_stack 0
		.amdhsa_enable_private_segment 1
		.amdhsa_system_sgpr_workgroup_id_x 1
		.amdhsa_system_sgpr_workgroup_id_y 0
		.amdhsa_system_sgpr_workgroup_id_z 0
		.amdhsa_system_sgpr_workgroup_info 0
		.amdhsa_system_vgpr_workitem_id 0
		.amdhsa_next_free_vgpr 37
		.amdhsa_next_free_sgpr 34
		.amdhsa_reserve_vcc 1
		.amdhsa_float_round_mode_32 0
		.amdhsa_float_round_mode_16_64 0
		.amdhsa_float_denorm_mode_32 3
		.amdhsa_float_denorm_mode_16_64 3
		.amdhsa_dx10_clamp 1
		.amdhsa_ieee_mode 1
		.amdhsa_fp16_overflow 0
		.amdhsa_workgroup_processor_mode 1
		.amdhsa_memory_ordered 1
		.amdhsa_forward_progress 0
		.amdhsa_shared_vgpr_count 0
		.amdhsa_exception_fp_ieee_invalid_op 0
		.amdhsa_exception_fp_denorm_src 0
		.amdhsa_exception_fp_ieee_div_zero 0
		.amdhsa_exception_fp_ieee_overflow 0
		.amdhsa_exception_fp_ieee_underflow 0
		.amdhsa_exception_fp_ieee_inexact 0
		.amdhsa_exception_int_div_zero 0
	.end_amdhsa_kernel
	.section	.text._ZL15flash_attn_tileILi40ELi40ELi4ELi1ELb1EEvPKcS1_S1_S1_S1_PKiPfP15HIP_vector_typeIfLj2EEffffjfiS5_IjLj3EEiiiiiiiiiiiliiliiiiil,"axG",@progbits,_ZL15flash_attn_tileILi40ELi40ELi4ELi1ELb1EEvPKcS1_S1_S1_S1_PKiPfP15HIP_vector_typeIfLj2EEffffjfiS5_IjLj3EEiiiiiiiiiiiliiliiiiil,comdat
.Lfunc_end93:
	.size	_ZL15flash_attn_tileILi40ELi40ELi4ELi1ELb1EEvPKcS1_S1_S1_S1_PKiPfP15HIP_vector_typeIfLj2EEffffjfiS5_IjLj3EEiiiiiiiiiiiliiliiiiil, .Lfunc_end93-_ZL15flash_attn_tileILi40ELi40ELi4ELi1ELb1EEvPKcS1_S1_S1_S1_PKiPfP15HIP_vector_typeIfLj2EEffffjfiS5_IjLj3EEiiiiiiiiiiiliiliiiiil
                                        ; -- End function
	.section	.AMDGPU.csdata,"",@progbits
; Kernel info:
; codeLenInByte = 44
; NumSgprs: 36
; NumVgprs: 37
; ScratchSize: 16
; MemoryBound: 0
; FloatMode: 240
; IeeeMode: 1
; LDSByteSize: 0 bytes/workgroup (compile time only)
; SGPRBlocks: 4
; VGPRBlocks: 4
; NumSGPRsForWavesPerEU: 36
; NumVGPRsForWavesPerEU: 37
; Occupancy: 16
; WaveLimiterHint : 1
; COMPUTE_PGM_RSRC2:SCRATCH_EN: 1
; COMPUTE_PGM_RSRC2:USER_SGPR: 15
; COMPUTE_PGM_RSRC2:TRAP_HANDLER: 0
; COMPUTE_PGM_RSRC2:TGID_X_EN: 1
; COMPUTE_PGM_RSRC2:TGID_Y_EN: 0
; COMPUTE_PGM_RSRC2:TGID_Z_EN: 0
; COMPUTE_PGM_RSRC2:TIDIG_COMP_CNT: 0
	.section	.text._ZL15flash_attn_tileILi40ELi40ELi2ELi1ELb1EEvPKcS1_S1_S1_S1_PKiPfP15HIP_vector_typeIfLj2EEffffjfiS5_IjLj3EEiiiiiiiiiiiliiliiiiil,"axG",@progbits,_ZL15flash_attn_tileILi40ELi40ELi2ELi1ELb1EEvPKcS1_S1_S1_S1_PKiPfP15HIP_vector_typeIfLj2EEffffjfiS5_IjLj3EEiiiiiiiiiiiliiliiiiil,comdat
	.globl	_ZL15flash_attn_tileILi40ELi40ELi2ELi1ELb1EEvPKcS1_S1_S1_S1_PKiPfP15HIP_vector_typeIfLj2EEffffjfiS5_IjLj3EEiiiiiiiiiiiliiliiiiil ; -- Begin function _ZL15flash_attn_tileILi40ELi40ELi2ELi1ELb1EEvPKcS1_S1_S1_S1_PKiPfP15HIP_vector_typeIfLj2EEffffjfiS5_IjLj3EEiiiiiiiiiiiliiliiiiil
	.p2align	8
	.type	_ZL15flash_attn_tileILi40ELi40ELi2ELi1ELb1EEvPKcS1_S1_S1_S1_PKiPfP15HIP_vector_typeIfLj2EEffffjfiS5_IjLj3EEiiiiiiiiiiiliiliiiiil,@function
_ZL15flash_attn_tileILi40ELi40ELi2ELi1ELb1EEvPKcS1_S1_S1_S1_PKiPfP15HIP_vector_typeIfLj2EEffffjfiS5_IjLj3EEiiiiiiiiiiiliiliiiiil: ; @_ZL15flash_attn_tileILi40ELi40ELi2ELi1ELb1EEvPKcS1_S1_S1_S1_PKiPfP15HIP_vector_typeIfLj2EEffffjfiS5_IjLj3EEiiiiiiiiiiiliiliiiiil
; %bb.0:
	s_add_u32 s8, s0, 0xd0
	s_addc_u32 s9, s1, 0
	s_mov_b32 s32, 0
	s_getpc_b64 s[0:1]
	s_add_u32 s0, s0, _ZL14no_device_codePKciS0_iS0_@rel32@lo+4
	s_addc_u32 s1, s1, _ZL14no_device_codePKciS0_iS0_@rel32@hi+12
	s_delay_alu instid0(SALU_CYCLE_1)
	s_swappc_b64 s[30:31], s[0:1]
	.section	.rodata,"a",@progbits
	.p2align	6, 0x0
	.amdhsa_kernel _ZL15flash_attn_tileILi40ELi40ELi2ELi1ELb1EEvPKcS1_S1_S1_S1_PKiPfP15HIP_vector_typeIfLj2EEffffjfiS5_IjLj3EEiiiiiiiiiiiliiliiiiil
		.amdhsa_group_segment_fixed_size 0
		.amdhsa_private_segment_fixed_size 16
		.amdhsa_kernarg_size 464
		.amdhsa_user_sgpr_count 15
		.amdhsa_user_sgpr_dispatch_ptr 0
		.amdhsa_user_sgpr_queue_ptr 0
		.amdhsa_user_sgpr_kernarg_segment_ptr 1
		.amdhsa_user_sgpr_dispatch_id 0
		.amdhsa_user_sgpr_private_segment_size 0
		.amdhsa_wavefront_size32 1
		.amdhsa_uses_dynamic_stack 0
		.amdhsa_enable_private_segment 1
		.amdhsa_system_sgpr_workgroup_id_x 1
		.amdhsa_system_sgpr_workgroup_id_y 0
		.amdhsa_system_sgpr_workgroup_id_z 0
		.amdhsa_system_sgpr_workgroup_info 0
		.amdhsa_system_vgpr_workitem_id 0
		.amdhsa_next_free_vgpr 37
		.amdhsa_next_free_sgpr 34
		.amdhsa_reserve_vcc 1
		.amdhsa_float_round_mode_32 0
		.amdhsa_float_round_mode_16_64 0
		.amdhsa_float_denorm_mode_32 3
		.amdhsa_float_denorm_mode_16_64 3
		.amdhsa_dx10_clamp 1
		.amdhsa_ieee_mode 1
		.amdhsa_fp16_overflow 0
		.amdhsa_workgroup_processor_mode 1
		.amdhsa_memory_ordered 1
		.amdhsa_forward_progress 0
		.amdhsa_shared_vgpr_count 0
		.amdhsa_exception_fp_ieee_invalid_op 0
		.amdhsa_exception_fp_denorm_src 0
		.amdhsa_exception_fp_ieee_div_zero 0
		.amdhsa_exception_fp_ieee_overflow 0
		.amdhsa_exception_fp_ieee_underflow 0
		.amdhsa_exception_fp_ieee_inexact 0
		.amdhsa_exception_int_div_zero 0
	.end_amdhsa_kernel
	.section	.text._ZL15flash_attn_tileILi40ELi40ELi2ELi1ELb1EEvPKcS1_S1_S1_S1_PKiPfP15HIP_vector_typeIfLj2EEffffjfiS5_IjLj3EEiiiiiiiiiiiliiliiiiil,"axG",@progbits,_ZL15flash_attn_tileILi40ELi40ELi2ELi1ELb1EEvPKcS1_S1_S1_S1_PKiPfP15HIP_vector_typeIfLj2EEffffjfiS5_IjLj3EEiiiiiiiiiiiliiliiiiil,comdat
.Lfunc_end94:
	.size	_ZL15flash_attn_tileILi40ELi40ELi2ELi1ELb1EEvPKcS1_S1_S1_S1_PKiPfP15HIP_vector_typeIfLj2EEffffjfiS5_IjLj3EEiiiiiiiiiiiliiliiiiil, .Lfunc_end94-_ZL15flash_attn_tileILi40ELi40ELi2ELi1ELb1EEvPKcS1_S1_S1_S1_PKiPfP15HIP_vector_typeIfLj2EEffffjfiS5_IjLj3EEiiiiiiiiiiiliiliiiiil
                                        ; -- End function
	.section	.AMDGPU.csdata,"",@progbits
; Kernel info:
; codeLenInByte = 44
; NumSgprs: 36
; NumVgprs: 37
; ScratchSize: 16
; MemoryBound: 0
; FloatMode: 240
; IeeeMode: 1
; LDSByteSize: 0 bytes/workgroup (compile time only)
; SGPRBlocks: 4
; VGPRBlocks: 4
; NumSGPRsForWavesPerEU: 36
; NumVGPRsForWavesPerEU: 37
; Occupancy: 16
; WaveLimiterHint : 1
; COMPUTE_PGM_RSRC2:SCRATCH_EN: 1
; COMPUTE_PGM_RSRC2:USER_SGPR: 15
; COMPUTE_PGM_RSRC2:TRAP_HANDLER: 0
; COMPUTE_PGM_RSRC2:TGID_X_EN: 1
; COMPUTE_PGM_RSRC2:TGID_Y_EN: 0
; COMPUTE_PGM_RSRC2:TGID_Z_EN: 0
; COMPUTE_PGM_RSRC2:TIDIG_COMP_CNT: 0
	.text
	.p2alignl 7, 3214868480
	.fill 96, 4, 3214868480
	.type	.str.1,@object                  ; @.str.1
	.section	.rodata.str1.1,"aMS",@progbits,1
.str.1:
	.asciz	"/root/src/amdgpu-assembly/repos/ggml-org__llama.cpp/ggml/src/ggml-cuda/template-instances/../fattn-tile.cuh"
	.size	.str.1, 108

	.type	__FUNCTION__._ZL15flash_attn_tileILi40ELi40ELi8ELi8ELb1EEvPKcS1_S1_S1_S1_PKiPfP15HIP_vector_typeIfLj2EEffffjfiS5_IjLj3EEiiiiiiiiiiiliiliiiiil,@object ; @__FUNCTION__._ZL15flash_attn_tileILi40ELi40ELi8ELi8ELb1EEvPKcS1_S1_S1_S1_PKiPfP15HIP_vector_typeIfLj2EEffffjfiS5_IjLj3EEiiiiiiiiiiiliiliiiiil
__FUNCTION__._ZL15flash_attn_tileILi40ELi40ELi8ELi8ELb1EEvPKcS1_S1_S1_S1_PKiPfP15HIP_vector_typeIfLj2EEffffjfiS5_IjLj3EEiiiiiiiiiiiliiliiiiil:
	.asciz	"flash_attn_tile"
	.size	__FUNCTION__._ZL15flash_attn_tileILi40ELi40ELi8ELi8ELb1EEvPKcS1_S1_S1_S1_PKiPfP15HIP_vector_typeIfLj2EEffffjfiS5_IjLj3EEiiiiiiiiiiiliiliiiiil, 16

	.type	.str.3,@object                  ; @.str.3
.str.3:
	.asciz	"%s:%d: ERROR: HIP kernel %s has no device code compatible with HIP arch %d.\n"
	.size	.str.3, 77

	.type	__hip_cuid_c9ae8c41da0dcd6,@object ; @__hip_cuid_c9ae8c41da0dcd6
	.section	.bss,"aw",@nobits
	.globl	__hip_cuid_c9ae8c41da0dcd6
__hip_cuid_c9ae8c41da0dcd6:
	.byte	0                               ; 0x0
	.size	__hip_cuid_c9ae8c41da0dcd6, 1

	.ident	"AMD clang version 19.0.0git (https://github.com/RadeonOpenCompute/llvm-project roc-6.4.0 25133 c7fe45cf4b819c5991fe208aaa96edf142730f1d)"
	.section	".note.GNU-stack","",@progbits
	.addrsig
	.addrsig_sym __hip_cuid_c9ae8c41da0dcd6
	.amdgpu_metadata
---
amdhsa.kernels:
  - .args:
      - .address_space:  global
        .offset:         0
        .size:           8
        .value_kind:     global_buffer
      - .address_space:  global
        .offset:         8
        .size:           8
        .value_kind:     global_buffer
      - .address_space:  global
        .offset:         16
        .size:           8
        .value_kind:     global_buffer
      - .address_space:  global
        .offset:         24
        .size:           8
        .value_kind:     global_buffer
      - .address_space:  global
        .offset:         32
        .size:           8
        .value_kind:     global_buffer
      - .address_space:  global
        .offset:         40
        .size:           8
        .value_kind:     global_buffer
      - .address_space:  global
        .offset:         48
        .size:           8
        .value_kind:     global_buffer
      - .address_space:  global
        .offset:         56
        .size:           8
        .value_kind:     global_buffer
      - .offset:         64
        .size:           4
        .value_kind:     by_value
      - .offset:         68
        .size:           4
        .value_kind:     by_value
      - .offset:         72
        .size:           4
        .value_kind:     by_value
      - .offset:         76
        .size:           4
        .value_kind:     by_value
      - .offset:         80
        .size:           4
        .value_kind:     by_value
      - .offset:         84
        .size:           4
        .value_kind:     by_value
      - .offset:         88
        .size:           4
        .value_kind:     by_value
      - .offset:         92
        .size:           12
        .value_kind:     by_value
      - .offset:         104
        .size:           4
        .value_kind:     by_value
      - .offset:         108
        .size:           4
        .value_kind:     by_value
      - .offset:         112
        .size:           4
        .value_kind:     by_value
      - .offset:         116
        .size:           4
        .value_kind:     by_value
      - .offset:         120
        .size:           4
        .value_kind:     by_value
      - .offset:         124
        .size:           4
        .value_kind:     by_value
      - .offset:         128
        .size:           4
        .value_kind:     by_value
      - .offset:         132
        .size:           4
        .value_kind:     by_value
      - .offset:         136
        .size:           4
        .value_kind:     by_value
      - .offset:         140
        .size:           4
        .value_kind:     by_value
      - .offset:         144
        .size:           4
        .value_kind:     by_value
      - .offset:         152
        .size:           8
        .value_kind:     by_value
      - .offset:         160
        .size:           4
        .value_kind:     by_value
      - .offset:         164
        .size:           4
        .value_kind:     by_value
      - .offset:         168
        .size:           8
        .value_kind:     by_value
      - .offset:         176
        .size:           4
        .value_kind:     by_value
      - .offset:         180
        .size:           4
        .value_kind:     by_value
      - .offset:         184
        .size:           4
        .value_kind:     by_value
      - .offset:         188
        .size:           4
        .value_kind:     by_value
      - .offset:         192
        .size:           4
        .value_kind:     by_value
      - .offset:         200
        .size:           8
        .value_kind:     by_value
      - .offset:         208
        .size:           4
        .value_kind:     hidden_block_count_x
      - .offset:         212
        .size:           4
        .value_kind:     hidden_block_count_y
      - .offset:         216
        .size:           4
        .value_kind:     hidden_block_count_z
      - .offset:         220
        .size:           2
        .value_kind:     hidden_group_size_x
      - .offset:         222
        .size:           2
        .value_kind:     hidden_group_size_y
      - .offset:         224
        .size:           2
        .value_kind:     hidden_group_size_z
      - .offset:         226
        .size:           2
        .value_kind:     hidden_remainder_x
      - .offset:         228
        .size:           2
        .value_kind:     hidden_remainder_y
      - .offset:         230
        .size:           2
        .value_kind:     hidden_remainder_z
      - .offset:         248
        .size:           8
        .value_kind:     hidden_global_offset_x
      - .offset:         256
        .size:           8
        .value_kind:     hidden_global_offset_y
      - .offset:         264
        .size:           8
        .value_kind:     hidden_global_offset_z
      - .offset:         272
        .size:           2
        .value_kind:     hidden_grid_dims
    .group_segment_fixed_size: 12384
    .kernarg_segment_align: 8
    .kernarg_segment_size: 464
    .language:       OpenCL C
    .language_version:
      - 2
      - 0
    .max_flat_workgroup_size: 256
    .name:           _ZL15flash_attn_tileILi40ELi40ELi8ELi8ELb0EEvPKcS1_S1_S1_S1_PKiPfP15HIP_vector_typeIfLj2EEffffjfiS5_IjLj3EEiiiiiiiiiiiliiliiiiil
    .private_segment_fixed_size: 0
    .sgpr_count:     50
    .sgpr_spill_count: 0
    .symbol:         _ZL15flash_attn_tileILi40ELi40ELi8ELi8ELb0EEvPKcS1_S1_S1_S1_PKiPfP15HIP_vector_typeIfLj2EEffffjfiS5_IjLj3EEiiiiiiiiiiiliiliiiiil.kd
    .uniform_work_group_size: 1
    .uses_dynamic_stack: false
    .vgpr_count:     99
    .vgpr_spill_count: 0
    .wavefront_size: 32
    .workgroup_processor_mode: 1
  - .args:
      - .actual_access:  read_only
        .address_space:  global
        .offset:         0
        .size:           8
        .value_kind:     global_buffer
      - .actual_access:  write_only
        .address_space:  global
        .offset:         8
        .size:           8
        .value_kind:     global_buffer
      - .offset:         16
        .size:           4
        .value_kind:     by_value
      - .offset:         20
        .size:           4
        .value_kind:     by_value
      - .offset:         24
        .size:           4
        .value_kind:     by_value
      - .offset:         32
        .size:           4
        .value_kind:     hidden_block_count_x
      - .offset:         36
        .size:           4
        .value_kind:     hidden_block_count_y
      - .offset:         40
        .size:           4
        .value_kind:     hidden_block_count_z
      - .offset:         44
        .size:           2
        .value_kind:     hidden_group_size_x
      - .offset:         46
        .size:           2
        .value_kind:     hidden_group_size_y
      - .offset:         48
        .size:           2
        .value_kind:     hidden_group_size_z
      - .offset:         50
        .size:           2
        .value_kind:     hidden_remainder_x
      - .offset:         52
        .size:           2
        .value_kind:     hidden_remainder_y
      - .offset:         54
        .size:           2
        .value_kind:     hidden_remainder_z
      - .offset:         72
        .size:           8
        .value_kind:     hidden_global_offset_x
      - .offset:         80
        .size:           8
        .value_kind:     hidden_global_offset_y
      - .offset:         88
        .size:           8
        .value_kind:     hidden_global_offset_z
      - .offset:         96
        .size:           2
        .value_kind:     hidden_grid_dims
    .group_segment_fixed_size: 128
    .kernarg_segment_align: 8
    .kernarg_segment_size: 288
    .language:       OpenCL C
    .language_version:
      - 2
      - 0
    .max_flat_workgroup_size: 128
    .name:           _ZL25flash_attn_mask_to_KV_maxILi8EEvPK7__half2Piiii
    .private_segment_fixed_size: 0
    .sgpr_count:     29
    .sgpr_spill_count: 0
    .symbol:         _ZL25flash_attn_mask_to_KV_maxILi8EEvPK7__half2Piiii.kd
    .uniform_work_group_size: 1
    .uses_dynamic_stack: false
    .vgpr_count:     9
    .vgpr_spill_count: 0
    .wavefront_size: 32
    .workgroup_processor_mode: 1
  - .args:
      - .address_space:  global
        .offset:         0
        .size:           8
        .value_kind:     global_buffer
      - .address_space:  global
        .offset:         8
        .size:           8
        .value_kind:     global_buffer
      - .offset:         16
        .size:           4
        .value_kind:     by_value
      - .offset:         20
        .size:           4
        .value_kind:     by_value
      - .offset:         24
        .size:           4
        .value_kind:     by_value
      - .offset:         28
        .size:           4
        .value_kind:     by_value
      - .offset:         32
        .size:           4
        .value_kind:     by_value
      - .offset:         36
        .size:           4
        .value_kind:     by_value
      - .offset:         40
        .size:           12
        .value_kind:     by_value
      - .offset:         52
        .size:           12
        .value_kind:     by_value
      - .offset:         64
        .size:           12
        .value_kind:     by_value
    .group_segment_fixed_size: 0
    .kernarg_segment_align: 8
    .kernarg_segment_size: 76
    .language:       OpenCL C
    .language_version:
      - 2
      - 0
    .max_flat_workgroup_size: 40
    .name:           _ZL33flash_attn_stream_k_fixup_uniformILi40ELi8ELi8EEvPfPK15HIP_vector_typeIfLj2EEiiiiiiS1_IjLj3EES5_S5_
    .private_segment_fixed_size: 0
    .sgpr_count:     22
    .sgpr_spill_count: 0
    .symbol:         _ZL33flash_attn_stream_k_fixup_uniformILi40ELi8ELi8EEvPfPK15HIP_vector_typeIfLj2EEiiiiiiS1_IjLj3EES5_S5_.kd
    .uniform_work_group_size: 1
    .uses_dynamic_stack: false
    .vgpr_count:     15
    .vgpr_spill_count: 0
    .wavefront_size: 32
    .workgroup_processor_mode: 1
  - .args:
      - .address_space:  global
        .offset:         0
        .size:           8
        .value_kind:     global_buffer
      - .address_space:  global
        .offset:         8
        .size:           8
        .value_kind:     global_buffer
      - .offset:         16
        .size:           4
        .value_kind:     by_value
      - .offset:         20
        .size:           4
        .value_kind:     by_value
      - .offset:         24
        .size:           4
        .value_kind:     by_value
      - .offset:         28
        .size:           4
        .value_kind:     by_value
      - .offset:         32
        .size:           12
        .value_kind:     by_value
      - .offset:         44
        .size:           12
        .value_kind:     by_value
      - .offset:         56
        .size:           12
        .value_kind:     by_value
      - .offset:         68
        .size:           12
        .value_kind:     by_value
      - .offset:         80
        .size:           4
        .value_kind:     hidden_block_count_x
      - .offset:         84
        .size:           4
        .value_kind:     hidden_block_count_y
      - .offset:         88
        .size:           4
        .value_kind:     hidden_block_count_z
      - .offset:         92
        .size:           2
        .value_kind:     hidden_group_size_x
      - .offset:         94
        .size:           2
        .value_kind:     hidden_group_size_y
      - .offset:         96
        .size:           2
        .value_kind:     hidden_group_size_z
      - .offset:         98
        .size:           2
        .value_kind:     hidden_remainder_x
      - .offset:         100
        .size:           2
        .value_kind:     hidden_remainder_y
      - .offset:         102
        .size:           2
        .value_kind:     hidden_remainder_z
      - .offset:         120
        .size:           8
        .value_kind:     hidden_global_offset_x
      - .offset:         128
        .size:           8
        .value_kind:     hidden_global_offset_y
      - .offset:         136
        .size:           8
        .value_kind:     hidden_global_offset_z
      - .offset:         144
        .size:           2
        .value_kind:     hidden_grid_dims
    .group_segment_fixed_size: 0
    .kernarg_segment_align: 8
    .kernarg_segment_size: 336
    .language:       OpenCL C
    .language_version:
      - 2
      - 0
    .max_flat_workgroup_size: 40
    .name:           _ZL33flash_attn_stream_k_fixup_generalILi40ELi8ELi8EEvPfPK15HIP_vector_typeIfLj2EEiiiiS1_IjLj3EES5_S5_S5_
    .private_segment_fixed_size: 0
    .sgpr_count:     34
    .sgpr_spill_count: 0
    .symbol:         _ZL33flash_attn_stream_k_fixup_generalILi40ELi8ELi8EEvPfPK15HIP_vector_typeIfLj2EEiiiiS1_IjLj3EES5_S5_S5_.kd
    .uniform_work_group_size: 1
    .uses_dynamic_stack: false
    .vgpr_count:     19
    .vgpr_spill_count: 0
    .wavefront_size: 32
    .workgroup_processor_mode: 1
  - .args:
      - .address_space:  global
        .offset:         0
        .size:           8
        .value_kind:     global_buffer
      - .address_space:  global
        .offset:         8
        .size:           8
        .value_kind:     global_buffer
      - .address_space:  global
        .offset:         16
        .size:           8
        .value_kind:     global_buffer
      - .offset:         24
        .size:           4
        .value_kind:     by_value
      - .offset:         32
        .size:           4
        .value_kind:     hidden_block_count_x
      - .offset:         36
        .size:           4
        .value_kind:     hidden_block_count_y
      - .offset:         40
        .size:           4
        .value_kind:     hidden_block_count_z
      - .offset:         44
        .size:           2
        .value_kind:     hidden_group_size_x
      - .offset:         46
        .size:           2
        .value_kind:     hidden_group_size_y
      - .offset:         48
        .size:           2
        .value_kind:     hidden_group_size_z
      - .offset:         50
        .size:           2
        .value_kind:     hidden_remainder_x
      - .offset:         52
        .size:           2
        .value_kind:     hidden_remainder_y
      - .offset:         54
        .size:           2
        .value_kind:     hidden_remainder_z
      - .offset:         72
        .size:           8
        .value_kind:     hidden_global_offset_x
      - .offset:         80
        .size:           8
        .value_kind:     hidden_global_offset_y
      - .offset:         88
        .size:           8
        .value_kind:     hidden_global_offset_z
      - .offset:         96
        .size:           2
        .value_kind:     hidden_grid_dims
      - .offset:         152
        .size:           4
        .value_kind:     hidden_dynamic_lds_size
    .group_segment_fixed_size: 0
    .kernarg_segment_align: 8
    .kernarg_segment_size: 288
    .language:       OpenCL C
    .language_version:
      - 2
      - 0
    .max_flat_workgroup_size: 40
    .name:           _ZL26flash_attn_combine_resultsILi40EEvPKfPK15HIP_vector_typeIfLj2EEPfi
    .private_segment_fixed_size: 0
    .sgpr_count:     22
    .sgpr_spill_count: 0
    .symbol:         _ZL26flash_attn_combine_resultsILi40EEvPKfPK15HIP_vector_typeIfLj2EEPfi.kd
    .uniform_work_group_size: 1
    .uses_dynamic_stack: false
    .vgpr_count:     57
    .vgpr_spill_count: 0
    .wavefront_size: 32
    .workgroup_processor_mode: 1
  - .args:
      - .address_space:  global
        .offset:         0
        .size:           8
        .value_kind:     global_buffer
      - .address_space:  global
        .offset:         8
        .size:           8
        .value_kind:     global_buffer
      - .address_space:  global
        .offset:         16
        .size:           8
        .value_kind:     global_buffer
      - .address_space:  global
        .offset:         24
        .size:           8
        .value_kind:     global_buffer
      - .address_space:  global
        .offset:         32
        .size:           8
        .value_kind:     global_buffer
      - .address_space:  global
        .offset:         40
        .size:           8
        .value_kind:     global_buffer
      - .address_space:  global
        .offset:         48
        .size:           8
        .value_kind:     global_buffer
      - .address_space:  global
        .offset:         56
        .size:           8
        .value_kind:     global_buffer
      - .offset:         64
        .size:           4
        .value_kind:     by_value
      - .offset:         68
        .size:           4
        .value_kind:     by_value
      - .offset:         72
        .size:           4
        .value_kind:     by_value
      - .offset:         76
        .size:           4
        .value_kind:     by_value
      - .offset:         80
        .size:           4
        .value_kind:     by_value
      - .offset:         84
        .size:           4
        .value_kind:     by_value
      - .offset:         88
        .size:           4
        .value_kind:     by_value
      - .offset:         92
        .size:           12
        .value_kind:     by_value
      - .offset:         104
        .size:           4
        .value_kind:     by_value
      - .offset:         108
        .size:           4
        .value_kind:     by_value
      - .offset:         112
        .size:           4
        .value_kind:     by_value
      - .offset:         116
        .size:           4
        .value_kind:     by_value
      - .offset:         120
        .size:           4
        .value_kind:     by_value
      - .offset:         124
        .size:           4
        .value_kind:     by_value
      - .offset:         128
        .size:           4
        .value_kind:     by_value
      - .offset:         132
        .size:           4
        .value_kind:     by_value
      - .offset:         136
        .size:           4
        .value_kind:     by_value
      - .offset:         140
        .size:           4
        .value_kind:     by_value
      - .offset:         144
        .size:           4
        .value_kind:     by_value
      - .offset:         152
        .size:           8
        .value_kind:     by_value
      - .offset:         160
        .size:           4
        .value_kind:     by_value
      - .offset:         164
        .size:           4
        .value_kind:     by_value
      - .offset:         168
        .size:           8
        .value_kind:     by_value
      - .offset:         176
        .size:           4
        .value_kind:     by_value
      - .offset:         180
        .size:           4
        .value_kind:     by_value
      - .offset:         184
        .size:           4
        .value_kind:     by_value
      - .offset:         188
        .size:           4
        .value_kind:     by_value
      - .offset:         192
        .size:           4
        .value_kind:     by_value
      - .offset:         200
        .size:           8
        .value_kind:     by_value
      - .offset:         208
        .size:           4
        .value_kind:     hidden_block_count_x
      - .offset:         212
        .size:           4
        .value_kind:     hidden_block_count_y
      - .offset:         216
        .size:           4
        .value_kind:     hidden_block_count_z
      - .offset:         220
        .size:           2
        .value_kind:     hidden_group_size_x
      - .offset:         222
        .size:           2
        .value_kind:     hidden_group_size_y
      - .offset:         224
        .size:           2
        .value_kind:     hidden_group_size_z
      - .offset:         226
        .size:           2
        .value_kind:     hidden_remainder_x
      - .offset:         228
        .size:           2
        .value_kind:     hidden_remainder_y
      - .offset:         230
        .size:           2
        .value_kind:     hidden_remainder_z
      - .offset:         248
        .size:           8
        .value_kind:     hidden_global_offset_x
      - .offset:         256
        .size:           8
        .value_kind:     hidden_global_offset_y
      - .offset:         264
        .size:           8
        .value_kind:     hidden_global_offset_z
      - .offset:         272
        .size:           2
        .value_kind:     hidden_grid_dims
    .group_segment_fixed_size: 7776
    .kernarg_segment_align: 8
    .kernarg_segment_size: 464
    .language:       OpenCL C
    .language_version:
      - 2
      - 0
    .max_flat_workgroup_size: 256
    .name:           _ZL15flash_attn_tileILi40ELi40ELi4ELi8ELb0EEvPKcS1_S1_S1_S1_PKiPfP15HIP_vector_typeIfLj2EEffffjfiS5_IjLj3EEiiiiiiiiiiiliiliiiiil
    .private_segment_fixed_size: 0
    .sgpr_count:     44
    .sgpr_spill_count: 0
    .symbol:         _ZL15flash_attn_tileILi40ELi40ELi4ELi8ELb0EEvPKcS1_S1_S1_S1_PKiPfP15HIP_vector_typeIfLj2EEffffjfiS5_IjLj3EEiiiiiiiiiiiliiliiiiil.kd
    .uniform_work_group_size: 1
    .uses_dynamic_stack: false
    .vgpr_count:     70
    .vgpr_spill_count: 0
    .wavefront_size: 32
    .workgroup_processor_mode: 1
  - .args:
      - .actual_access:  read_only
        .address_space:  global
        .offset:         0
        .size:           8
        .value_kind:     global_buffer
      - .actual_access:  write_only
        .address_space:  global
        .offset:         8
        .size:           8
        .value_kind:     global_buffer
      - .offset:         16
        .size:           4
        .value_kind:     by_value
      - .offset:         20
        .size:           4
        .value_kind:     by_value
      - .offset:         24
        .size:           4
        .value_kind:     by_value
      - .offset:         32
        .size:           4
        .value_kind:     hidden_block_count_x
      - .offset:         36
        .size:           4
        .value_kind:     hidden_block_count_y
      - .offset:         40
        .size:           4
        .value_kind:     hidden_block_count_z
      - .offset:         44
        .size:           2
        .value_kind:     hidden_group_size_x
      - .offset:         46
        .size:           2
        .value_kind:     hidden_group_size_y
      - .offset:         48
        .size:           2
        .value_kind:     hidden_group_size_z
      - .offset:         50
        .size:           2
        .value_kind:     hidden_remainder_x
      - .offset:         52
        .size:           2
        .value_kind:     hidden_remainder_y
      - .offset:         54
        .size:           2
        .value_kind:     hidden_remainder_z
      - .offset:         72
        .size:           8
        .value_kind:     hidden_global_offset_x
      - .offset:         80
        .size:           8
        .value_kind:     hidden_global_offset_y
      - .offset:         88
        .size:           8
        .value_kind:     hidden_global_offset_z
      - .offset:         96
        .size:           2
        .value_kind:     hidden_grid_dims
    .group_segment_fixed_size: 128
    .kernarg_segment_align: 8
    .kernarg_segment_size: 288
    .language:       OpenCL C
    .language_version:
      - 2
      - 0
    .max_flat_workgroup_size: 128
    .name:           _ZL25flash_attn_mask_to_KV_maxILi4EEvPK7__half2Piiii
    .private_segment_fixed_size: 0
    .sgpr_count:     21
    .sgpr_spill_count: 0
    .symbol:         _ZL25flash_attn_mask_to_KV_maxILi4EEvPK7__half2Piiii.kd
    .uniform_work_group_size: 1
    .uses_dynamic_stack: false
    .vgpr_count:     9
    .vgpr_spill_count: 0
    .wavefront_size: 32
    .workgroup_processor_mode: 1
  - .args:
      - .address_space:  global
        .offset:         0
        .size:           8
        .value_kind:     global_buffer
      - .address_space:  global
        .offset:         8
        .size:           8
        .value_kind:     global_buffer
      - .offset:         16
        .size:           4
        .value_kind:     by_value
      - .offset:         20
        .size:           4
        .value_kind:     by_value
      - .offset:         24
        .size:           4
        .value_kind:     by_value
      - .offset:         28
        .size:           4
        .value_kind:     by_value
      - .offset:         32
        .size:           4
        .value_kind:     by_value
      - .offset:         36
        .size:           4
        .value_kind:     by_value
      - .offset:         40
        .size:           12
        .value_kind:     by_value
      - .offset:         52
        .size:           12
        .value_kind:     by_value
      - .offset:         64
        .size:           12
        .value_kind:     by_value
    .group_segment_fixed_size: 0
    .kernarg_segment_align: 8
    .kernarg_segment_size: 76
    .language:       OpenCL C
    .language_version:
      - 2
      - 0
    .max_flat_workgroup_size: 40
    .name:           _ZL33flash_attn_stream_k_fixup_uniformILi40ELi4ELi8EEvPfPK15HIP_vector_typeIfLj2EEiiiiiiS1_IjLj3EES5_S5_
    .private_segment_fixed_size: 0
    .sgpr_count:     22
    .sgpr_spill_count: 0
    .symbol:         _ZL33flash_attn_stream_k_fixup_uniformILi40ELi4ELi8EEvPfPK15HIP_vector_typeIfLj2EEiiiiiiS1_IjLj3EES5_S5_.kd
    .uniform_work_group_size: 1
    .uses_dynamic_stack: false
    .vgpr_count:     15
    .vgpr_spill_count: 0
    .wavefront_size: 32
    .workgroup_processor_mode: 1
  - .args:
      - .address_space:  global
        .offset:         0
        .size:           8
        .value_kind:     global_buffer
      - .address_space:  global
        .offset:         8
        .size:           8
        .value_kind:     global_buffer
      - .offset:         16
        .size:           4
        .value_kind:     by_value
      - .offset:         20
        .size:           4
        .value_kind:     by_value
      - .offset:         24
        .size:           4
        .value_kind:     by_value
      - .offset:         28
        .size:           4
        .value_kind:     by_value
      - .offset:         32
        .size:           12
        .value_kind:     by_value
      - .offset:         44
        .size:           12
        .value_kind:     by_value
      - .offset:         56
        .size:           12
        .value_kind:     by_value
      - .offset:         68
        .size:           12
        .value_kind:     by_value
      - .offset:         80
        .size:           4
        .value_kind:     hidden_block_count_x
      - .offset:         84
        .size:           4
        .value_kind:     hidden_block_count_y
      - .offset:         88
        .size:           4
        .value_kind:     hidden_block_count_z
      - .offset:         92
        .size:           2
        .value_kind:     hidden_group_size_x
      - .offset:         94
        .size:           2
        .value_kind:     hidden_group_size_y
      - .offset:         96
        .size:           2
        .value_kind:     hidden_group_size_z
      - .offset:         98
        .size:           2
        .value_kind:     hidden_remainder_x
      - .offset:         100
        .size:           2
        .value_kind:     hidden_remainder_y
      - .offset:         102
        .size:           2
        .value_kind:     hidden_remainder_z
      - .offset:         120
        .size:           8
        .value_kind:     hidden_global_offset_x
      - .offset:         128
        .size:           8
        .value_kind:     hidden_global_offset_y
      - .offset:         136
        .size:           8
        .value_kind:     hidden_global_offset_z
      - .offset:         144
        .size:           2
        .value_kind:     hidden_grid_dims
    .group_segment_fixed_size: 0
    .kernarg_segment_align: 8
    .kernarg_segment_size: 336
    .language:       OpenCL C
    .language_version:
      - 2
      - 0
    .max_flat_workgroup_size: 40
    .name:           _ZL33flash_attn_stream_k_fixup_generalILi40ELi4ELi8EEvPfPK15HIP_vector_typeIfLj2EEiiiiS1_IjLj3EES5_S5_S5_
    .private_segment_fixed_size: 0
    .sgpr_count:     34
    .sgpr_spill_count: 0
    .symbol:         _ZL33flash_attn_stream_k_fixup_generalILi40ELi4ELi8EEvPfPK15HIP_vector_typeIfLj2EEiiiiS1_IjLj3EES5_S5_S5_.kd
    .uniform_work_group_size: 1
    .uses_dynamic_stack: false
    .vgpr_count:     19
    .vgpr_spill_count: 0
    .wavefront_size: 32
    .workgroup_processor_mode: 1
  - .args:
      - .address_space:  global
        .offset:         0
        .size:           8
        .value_kind:     global_buffer
      - .address_space:  global
        .offset:         8
        .size:           8
        .value_kind:     global_buffer
      - .address_space:  global
        .offset:         16
        .size:           8
        .value_kind:     global_buffer
      - .address_space:  global
        .offset:         24
        .size:           8
        .value_kind:     global_buffer
      - .address_space:  global
        .offset:         32
        .size:           8
        .value_kind:     global_buffer
      - .address_space:  global
        .offset:         40
        .size:           8
        .value_kind:     global_buffer
      - .address_space:  global
        .offset:         48
        .size:           8
        .value_kind:     global_buffer
      - .address_space:  global
        .offset:         56
        .size:           8
        .value_kind:     global_buffer
      - .offset:         64
        .size:           4
        .value_kind:     by_value
      - .offset:         68
        .size:           4
        .value_kind:     by_value
      - .offset:         72
        .size:           4
        .value_kind:     by_value
      - .offset:         76
        .size:           4
        .value_kind:     by_value
      - .offset:         80
        .size:           4
        .value_kind:     by_value
      - .offset:         84
        .size:           4
        .value_kind:     by_value
      - .offset:         88
        .size:           4
        .value_kind:     by_value
      - .offset:         92
        .size:           12
        .value_kind:     by_value
      - .offset:         104
        .size:           4
        .value_kind:     by_value
      - .offset:         108
        .size:           4
        .value_kind:     by_value
      - .offset:         112
        .size:           4
        .value_kind:     by_value
      - .offset:         116
        .size:           4
        .value_kind:     by_value
      - .offset:         120
        .size:           4
        .value_kind:     by_value
      - .offset:         124
        .size:           4
        .value_kind:     by_value
      - .offset:         128
        .size:           4
        .value_kind:     by_value
      - .offset:         132
        .size:           4
        .value_kind:     by_value
      - .offset:         136
        .size:           4
        .value_kind:     by_value
      - .offset:         140
        .size:           4
        .value_kind:     by_value
      - .offset:         144
        .size:           4
        .value_kind:     by_value
      - .offset:         152
        .size:           8
        .value_kind:     by_value
      - .offset:         160
        .size:           4
        .value_kind:     by_value
      - .offset:         164
        .size:           4
        .value_kind:     by_value
      - .offset:         168
        .size:           8
        .value_kind:     by_value
      - .offset:         176
        .size:           4
        .value_kind:     by_value
      - .offset:         180
        .size:           4
        .value_kind:     by_value
      - .offset:         184
        .size:           4
        .value_kind:     by_value
      - .offset:         188
        .size:           4
        .value_kind:     by_value
      - .offset:         192
        .size:           4
        .value_kind:     by_value
      - .offset:         200
        .size:           8
        .value_kind:     by_value
      - .offset:         208
        .size:           4
        .value_kind:     hidden_block_count_x
      - .offset:         212
        .size:           4
        .value_kind:     hidden_block_count_y
      - .offset:         216
        .size:           4
        .value_kind:     hidden_block_count_z
      - .offset:         220
        .size:           2
        .value_kind:     hidden_group_size_x
      - .offset:         222
        .size:           2
        .value_kind:     hidden_group_size_y
      - .offset:         224
        .size:           2
        .value_kind:     hidden_group_size_z
      - .offset:         226
        .size:           2
        .value_kind:     hidden_remainder_x
      - .offset:         228
        .size:           2
        .value_kind:     hidden_remainder_y
      - .offset:         230
        .size:           2
        .value_kind:     hidden_remainder_z
      - .offset:         248
        .size:           8
        .value_kind:     hidden_global_offset_x
      - .offset:         256
        .size:           8
        .value_kind:     hidden_global_offset_y
      - .offset:         264
        .size:           8
        .value_kind:     hidden_global_offset_z
      - .offset:         272
        .size:           2
        .value_kind:     hidden_grid_dims
    .group_segment_fixed_size: 5472
    .kernarg_segment_align: 8
    .kernarg_segment_size: 464
    .language:       OpenCL C
    .language_version:
      - 2
      - 0
    .max_flat_workgroup_size: 256
    .name:           _ZL15flash_attn_tileILi40ELi40ELi2ELi8ELb0EEvPKcS1_S1_S1_S1_PKiPfP15HIP_vector_typeIfLj2EEffffjfiS5_IjLj3EEiiiiiiiiiiiliiliiiiil
    .private_segment_fixed_size: 0
    .sgpr_count:     46
    .sgpr_spill_count: 0
    .symbol:         _ZL15flash_attn_tileILi40ELi40ELi2ELi8ELb0EEvPKcS1_S1_S1_S1_PKiPfP15HIP_vector_typeIfLj2EEffffjfiS5_IjLj3EEiiiiiiiiiiiliiliiiiil.kd
    .uniform_work_group_size: 1
    .uses_dynamic_stack: false
    .vgpr_count:     57
    .vgpr_spill_count: 0
    .wavefront_size: 32
    .workgroup_processor_mode: 1
  - .args:
      - .actual_access:  read_only
        .address_space:  global
        .offset:         0
        .size:           8
        .value_kind:     global_buffer
      - .actual_access:  write_only
        .address_space:  global
        .offset:         8
        .size:           8
        .value_kind:     global_buffer
      - .offset:         16
        .size:           4
        .value_kind:     by_value
      - .offset:         20
        .size:           4
        .value_kind:     by_value
      - .offset:         24
        .size:           4
        .value_kind:     by_value
      - .offset:         32
        .size:           4
        .value_kind:     hidden_block_count_x
      - .offset:         36
        .size:           4
        .value_kind:     hidden_block_count_y
      - .offset:         40
        .size:           4
        .value_kind:     hidden_block_count_z
      - .offset:         44
        .size:           2
        .value_kind:     hidden_group_size_x
      - .offset:         46
        .size:           2
        .value_kind:     hidden_group_size_y
      - .offset:         48
        .size:           2
        .value_kind:     hidden_group_size_z
      - .offset:         50
        .size:           2
        .value_kind:     hidden_remainder_x
      - .offset:         52
        .size:           2
        .value_kind:     hidden_remainder_y
      - .offset:         54
        .size:           2
        .value_kind:     hidden_remainder_z
      - .offset:         72
        .size:           8
        .value_kind:     hidden_global_offset_x
      - .offset:         80
        .size:           8
        .value_kind:     hidden_global_offset_y
      - .offset:         88
        .size:           8
        .value_kind:     hidden_global_offset_z
      - .offset:         96
        .size:           2
        .value_kind:     hidden_grid_dims
    .group_segment_fixed_size: 128
    .kernarg_segment_align: 8
    .kernarg_segment_size: 288
    .language:       OpenCL C
    .language_version:
      - 2
      - 0
    .max_flat_workgroup_size: 128
    .name:           _ZL25flash_attn_mask_to_KV_maxILi2EEvPK7__half2Piiii
    .private_segment_fixed_size: 0
    .sgpr_count:     18
    .sgpr_spill_count: 0
    .symbol:         _ZL25flash_attn_mask_to_KV_maxILi2EEvPK7__half2Piiii.kd
    .uniform_work_group_size: 1
    .uses_dynamic_stack: false
    .vgpr_count:     7
    .vgpr_spill_count: 0
    .wavefront_size: 32
    .workgroup_processor_mode: 1
  - .args:
      - .address_space:  global
        .offset:         0
        .size:           8
        .value_kind:     global_buffer
      - .address_space:  global
        .offset:         8
        .size:           8
        .value_kind:     global_buffer
      - .offset:         16
        .size:           4
        .value_kind:     by_value
      - .offset:         20
        .size:           4
        .value_kind:     by_value
      - .offset:         24
        .size:           4
        .value_kind:     by_value
      - .offset:         28
        .size:           4
        .value_kind:     by_value
      - .offset:         32
        .size:           4
        .value_kind:     by_value
      - .offset:         36
        .size:           4
        .value_kind:     by_value
      - .offset:         40
        .size:           12
        .value_kind:     by_value
      - .offset:         52
        .size:           12
        .value_kind:     by_value
      - .offset:         64
        .size:           12
        .value_kind:     by_value
    .group_segment_fixed_size: 0
    .kernarg_segment_align: 8
    .kernarg_segment_size: 76
    .language:       OpenCL C
    .language_version:
      - 2
      - 0
    .max_flat_workgroup_size: 40
    .name:           _ZL33flash_attn_stream_k_fixup_uniformILi40ELi2ELi8EEvPfPK15HIP_vector_typeIfLj2EEiiiiiiS1_IjLj3EES5_S5_
    .private_segment_fixed_size: 0
    .sgpr_count:     22
    .sgpr_spill_count: 0
    .symbol:         _ZL33flash_attn_stream_k_fixup_uniformILi40ELi2ELi8EEvPfPK15HIP_vector_typeIfLj2EEiiiiiiS1_IjLj3EES5_S5_.kd
    .uniform_work_group_size: 1
    .uses_dynamic_stack: false
    .vgpr_count:     15
    .vgpr_spill_count: 0
    .wavefront_size: 32
    .workgroup_processor_mode: 1
  - .args:
      - .address_space:  global
        .offset:         0
        .size:           8
        .value_kind:     global_buffer
      - .address_space:  global
        .offset:         8
        .size:           8
        .value_kind:     global_buffer
      - .offset:         16
        .size:           4
        .value_kind:     by_value
      - .offset:         20
        .size:           4
        .value_kind:     by_value
      - .offset:         24
        .size:           4
        .value_kind:     by_value
      - .offset:         28
        .size:           4
        .value_kind:     by_value
      - .offset:         32
        .size:           12
        .value_kind:     by_value
      - .offset:         44
        .size:           12
        .value_kind:     by_value
      - .offset:         56
        .size:           12
        .value_kind:     by_value
      - .offset:         68
        .size:           12
        .value_kind:     by_value
      - .offset:         80
        .size:           4
        .value_kind:     hidden_block_count_x
      - .offset:         84
        .size:           4
        .value_kind:     hidden_block_count_y
      - .offset:         88
        .size:           4
        .value_kind:     hidden_block_count_z
      - .offset:         92
        .size:           2
        .value_kind:     hidden_group_size_x
      - .offset:         94
        .size:           2
        .value_kind:     hidden_group_size_y
      - .offset:         96
        .size:           2
        .value_kind:     hidden_group_size_z
      - .offset:         98
        .size:           2
        .value_kind:     hidden_remainder_x
      - .offset:         100
        .size:           2
        .value_kind:     hidden_remainder_y
      - .offset:         102
        .size:           2
        .value_kind:     hidden_remainder_z
      - .offset:         120
        .size:           8
        .value_kind:     hidden_global_offset_x
      - .offset:         128
        .size:           8
        .value_kind:     hidden_global_offset_y
      - .offset:         136
        .size:           8
        .value_kind:     hidden_global_offset_z
      - .offset:         144
        .size:           2
        .value_kind:     hidden_grid_dims
    .group_segment_fixed_size: 0
    .kernarg_segment_align: 8
    .kernarg_segment_size: 336
    .language:       OpenCL C
    .language_version:
      - 2
      - 0
    .max_flat_workgroup_size: 40
    .name:           _ZL33flash_attn_stream_k_fixup_generalILi40ELi2ELi8EEvPfPK15HIP_vector_typeIfLj2EEiiiiS1_IjLj3EES5_S5_S5_
    .private_segment_fixed_size: 0
    .sgpr_count:     34
    .sgpr_spill_count: 0
    .symbol:         _ZL33flash_attn_stream_k_fixup_generalILi40ELi2ELi8EEvPfPK15HIP_vector_typeIfLj2EEiiiiS1_IjLj3EES5_S5_S5_.kd
    .uniform_work_group_size: 1
    .uses_dynamic_stack: false
    .vgpr_count:     19
    .vgpr_spill_count: 0
    .wavefront_size: 32
    .workgroup_processor_mode: 1
  - .args:
      - .address_space:  global
        .offset:         0
        .size:           8
        .value_kind:     global_buffer
      - .address_space:  global
        .offset:         8
        .size:           8
        .value_kind:     global_buffer
      - .address_space:  global
        .offset:         16
        .size:           8
        .value_kind:     global_buffer
      - .address_space:  global
        .offset:         24
        .size:           8
        .value_kind:     global_buffer
      - .address_space:  global
        .offset:         32
        .size:           8
        .value_kind:     global_buffer
      - .address_space:  global
        .offset:         40
        .size:           8
        .value_kind:     global_buffer
      - .address_space:  global
        .offset:         48
        .size:           8
        .value_kind:     global_buffer
      - .address_space:  global
        .offset:         56
        .size:           8
        .value_kind:     global_buffer
      - .offset:         64
        .size:           4
        .value_kind:     by_value
      - .offset:         68
        .size:           4
        .value_kind:     by_value
      - .offset:         72
        .size:           4
        .value_kind:     by_value
      - .offset:         76
        .size:           4
        .value_kind:     by_value
      - .offset:         80
        .size:           4
        .value_kind:     by_value
      - .offset:         84
        .size:           4
        .value_kind:     by_value
      - .offset:         88
        .size:           4
        .value_kind:     by_value
      - .offset:         92
        .size:           12
        .value_kind:     by_value
      - .offset:         104
        .size:           4
        .value_kind:     by_value
      - .offset:         108
        .size:           4
        .value_kind:     by_value
      - .offset:         112
        .size:           4
        .value_kind:     by_value
      - .offset:         116
        .size:           4
        .value_kind:     by_value
      - .offset:         120
        .size:           4
        .value_kind:     by_value
      - .offset:         124
        .size:           4
        .value_kind:     by_value
      - .offset:         128
        .size:           4
        .value_kind:     by_value
      - .offset:         132
        .size:           4
        .value_kind:     by_value
      - .offset:         136
        .size:           4
        .value_kind:     by_value
      - .offset:         140
        .size:           4
        .value_kind:     by_value
      - .offset:         144
        .size:           4
        .value_kind:     by_value
      - .offset:         152
        .size:           8
        .value_kind:     by_value
      - .offset:         160
        .size:           4
        .value_kind:     by_value
      - .offset:         164
        .size:           4
        .value_kind:     by_value
      - .offset:         168
        .size:           8
        .value_kind:     by_value
      - .offset:         176
        .size:           4
        .value_kind:     by_value
      - .offset:         180
        .size:           4
        .value_kind:     by_value
      - .offset:         184
        .size:           4
        .value_kind:     by_value
      - .offset:         188
        .size:           4
        .value_kind:     by_value
      - .offset:         192
        .size:           4
        .value_kind:     by_value
      - .offset:         200
        .size:           8
        .value_kind:     by_value
      - .offset:         208
        .size:           4
        .value_kind:     hidden_block_count_x
      - .offset:         212
        .size:           4
        .value_kind:     hidden_block_count_y
      - .offset:         216
        .size:           4
        .value_kind:     hidden_block_count_z
      - .offset:         220
        .size:           2
        .value_kind:     hidden_group_size_x
      - .offset:         222
        .size:           2
        .value_kind:     hidden_group_size_y
      - .offset:         224
        .size:           2
        .value_kind:     hidden_group_size_z
      - .offset:         226
        .size:           2
        .value_kind:     hidden_remainder_x
      - .offset:         228
        .size:           2
        .value_kind:     hidden_remainder_y
      - .offset:         230
        .size:           2
        .value_kind:     hidden_remainder_z
      - .offset:         248
        .size:           8
        .value_kind:     hidden_global_offset_x
      - .offset:         256
        .size:           8
        .value_kind:     hidden_global_offset_y
      - .offset:         264
        .size:           8
        .value_kind:     hidden_global_offset_z
      - .offset:         272
        .size:           2
        .value_kind:     hidden_grid_dims
    .group_segment_fixed_size: 4320
    .kernarg_segment_align: 8
    .kernarg_segment_size: 464
    .language:       OpenCL C
    .language_version:
      - 2
      - 0
    .max_flat_workgroup_size: 256
    .name:           _ZL15flash_attn_tileILi40ELi40ELi1ELi8ELb0EEvPKcS1_S1_S1_S1_PKiPfP15HIP_vector_typeIfLj2EEffffjfiS5_IjLj3EEiiiiiiiiiiiliiliiiiil
    .private_segment_fixed_size: 0
    .sgpr_count:     45
    .sgpr_spill_count: 0
    .symbol:         _ZL15flash_attn_tileILi40ELi40ELi1ELi8ELb0EEvPKcS1_S1_S1_S1_PKiPfP15HIP_vector_typeIfLj2EEffffjfiS5_IjLj3EEiiiiiiiiiiiliiliiiiil.kd
    .uniform_work_group_size: 1
    .uses_dynamic_stack: false
    .vgpr_count:     49
    .vgpr_spill_count: 0
    .wavefront_size: 32
    .workgroup_processor_mode: 1
  - .args:
      - .actual_access:  read_only
        .address_space:  global
        .offset:         0
        .size:           8
        .value_kind:     global_buffer
      - .actual_access:  write_only
        .address_space:  global
        .offset:         8
        .size:           8
        .value_kind:     global_buffer
      - .offset:         16
        .size:           4
        .value_kind:     by_value
      - .offset:         20
        .size:           4
        .value_kind:     by_value
      - .offset:         24
        .size:           4
        .value_kind:     by_value
      - .offset:         32
        .size:           4
        .value_kind:     hidden_block_count_x
      - .offset:         36
        .size:           4
        .value_kind:     hidden_block_count_y
      - .offset:         40
        .size:           4
        .value_kind:     hidden_block_count_z
      - .offset:         44
        .size:           2
        .value_kind:     hidden_group_size_x
      - .offset:         46
        .size:           2
        .value_kind:     hidden_group_size_y
      - .offset:         48
        .size:           2
        .value_kind:     hidden_group_size_z
      - .offset:         50
        .size:           2
        .value_kind:     hidden_remainder_x
      - .offset:         52
        .size:           2
        .value_kind:     hidden_remainder_y
      - .offset:         54
        .size:           2
        .value_kind:     hidden_remainder_z
      - .offset:         72
        .size:           8
        .value_kind:     hidden_global_offset_x
      - .offset:         80
        .size:           8
        .value_kind:     hidden_global_offset_y
      - .offset:         88
        .size:           8
        .value_kind:     hidden_global_offset_z
      - .offset:         96
        .size:           2
        .value_kind:     hidden_grid_dims
    .group_segment_fixed_size: 128
    .kernarg_segment_align: 8
    .kernarg_segment_size: 288
    .language:       OpenCL C
    .language_version:
      - 2
      - 0
    .max_flat_workgroup_size: 128
    .name:           _ZL25flash_attn_mask_to_KV_maxILi1EEvPK7__half2Piiii
    .private_segment_fixed_size: 0
    .sgpr_count:     18
    .sgpr_spill_count: 0
    .symbol:         _ZL25flash_attn_mask_to_KV_maxILi1EEvPK7__half2Piiii.kd
    .uniform_work_group_size: 1
    .uses_dynamic_stack: false
    .vgpr_count:     7
    .vgpr_spill_count: 0
    .wavefront_size: 32
    .workgroup_processor_mode: 1
  - .args:
      - .address_space:  global
        .offset:         0
        .size:           8
        .value_kind:     global_buffer
      - .address_space:  global
        .offset:         8
        .size:           8
        .value_kind:     global_buffer
      - .offset:         16
        .size:           4
        .value_kind:     by_value
      - .offset:         20
        .size:           4
        .value_kind:     by_value
      - .offset:         24
        .size:           4
        .value_kind:     by_value
      - .offset:         28
        .size:           4
        .value_kind:     by_value
      - .offset:         32
        .size:           4
        .value_kind:     by_value
      - .offset:         36
        .size:           4
        .value_kind:     by_value
      - .offset:         40
        .size:           12
        .value_kind:     by_value
      - .offset:         52
        .size:           12
        .value_kind:     by_value
      - .offset:         64
        .size:           12
        .value_kind:     by_value
    .group_segment_fixed_size: 0
    .kernarg_segment_align: 8
    .kernarg_segment_size: 76
    .language:       OpenCL C
    .language_version:
      - 2
      - 0
    .max_flat_workgroup_size: 40
    .name:           _ZL33flash_attn_stream_k_fixup_uniformILi40ELi1ELi8EEvPfPK15HIP_vector_typeIfLj2EEiiiiiiS1_IjLj3EES5_S5_
    .private_segment_fixed_size: 0
    .sgpr_count:     22
    .sgpr_spill_count: 0
    .symbol:         _ZL33flash_attn_stream_k_fixup_uniformILi40ELi1ELi8EEvPfPK15HIP_vector_typeIfLj2EEiiiiiiS1_IjLj3EES5_S5_.kd
    .uniform_work_group_size: 1
    .uses_dynamic_stack: false
    .vgpr_count:     15
    .vgpr_spill_count: 0
    .wavefront_size: 32
    .workgroup_processor_mode: 1
  - .args:
      - .address_space:  global
        .offset:         0
        .size:           8
        .value_kind:     global_buffer
      - .address_space:  global
        .offset:         8
        .size:           8
        .value_kind:     global_buffer
      - .offset:         16
        .size:           4
        .value_kind:     by_value
      - .offset:         20
        .size:           4
        .value_kind:     by_value
      - .offset:         24
        .size:           4
        .value_kind:     by_value
      - .offset:         28
        .size:           4
        .value_kind:     by_value
      - .offset:         32
        .size:           12
        .value_kind:     by_value
      - .offset:         44
        .size:           12
        .value_kind:     by_value
      - .offset:         56
        .size:           12
        .value_kind:     by_value
      - .offset:         68
        .size:           12
        .value_kind:     by_value
      - .offset:         80
        .size:           4
        .value_kind:     hidden_block_count_x
      - .offset:         84
        .size:           4
        .value_kind:     hidden_block_count_y
      - .offset:         88
        .size:           4
        .value_kind:     hidden_block_count_z
      - .offset:         92
        .size:           2
        .value_kind:     hidden_group_size_x
      - .offset:         94
        .size:           2
        .value_kind:     hidden_group_size_y
      - .offset:         96
        .size:           2
        .value_kind:     hidden_group_size_z
      - .offset:         98
        .size:           2
        .value_kind:     hidden_remainder_x
      - .offset:         100
        .size:           2
        .value_kind:     hidden_remainder_y
      - .offset:         102
        .size:           2
        .value_kind:     hidden_remainder_z
      - .offset:         120
        .size:           8
        .value_kind:     hidden_global_offset_x
      - .offset:         128
        .size:           8
        .value_kind:     hidden_global_offset_y
      - .offset:         136
        .size:           8
        .value_kind:     hidden_global_offset_z
      - .offset:         144
        .size:           2
        .value_kind:     hidden_grid_dims
    .group_segment_fixed_size: 0
    .kernarg_segment_align: 8
    .kernarg_segment_size: 336
    .language:       OpenCL C
    .language_version:
      - 2
      - 0
    .max_flat_workgroup_size: 40
    .name:           _ZL33flash_attn_stream_k_fixup_generalILi40ELi1ELi8EEvPfPK15HIP_vector_typeIfLj2EEiiiiS1_IjLj3EES5_S5_S5_
    .private_segment_fixed_size: 0
    .sgpr_count:     34
    .sgpr_spill_count: 0
    .symbol:         _ZL33flash_attn_stream_k_fixup_generalILi40ELi1ELi8EEvPfPK15HIP_vector_typeIfLj2EEiiiiS1_IjLj3EES5_S5_S5_.kd
    .uniform_work_group_size: 1
    .uses_dynamic_stack: false
    .vgpr_count:     19
    .vgpr_spill_count: 0
    .wavefront_size: 32
    .workgroup_processor_mode: 1
  - .args:
      - .address_space:  global
        .offset:         0
        .size:           8
        .value_kind:     global_buffer
      - .address_space:  global
        .offset:         8
        .size:           8
        .value_kind:     global_buffer
      - .address_space:  global
        .offset:         16
        .size:           8
        .value_kind:     global_buffer
      - .address_space:  global
        .offset:         24
        .size:           8
        .value_kind:     global_buffer
      - .address_space:  global
        .offset:         32
        .size:           8
        .value_kind:     global_buffer
      - .address_space:  global
        .offset:         40
        .size:           8
        .value_kind:     global_buffer
      - .address_space:  global
        .offset:         48
        .size:           8
        .value_kind:     global_buffer
      - .address_space:  global
        .offset:         56
        .size:           8
        .value_kind:     global_buffer
      - .offset:         64
        .size:           4
        .value_kind:     by_value
      - .offset:         68
        .size:           4
        .value_kind:     by_value
      - .offset:         72
        .size:           4
        .value_kind:     by_value
      - .offset:         76
        .size:           4
        .value_kind:     by_value
      - .offset:         80
        .size:           4
        .value_kind:     by_value
      - .offset:         84
        .size:           4
        .value_kind:     by_value
      - .offset:         88
        .size:           4
        .value_kind:     by_value
      - .offset:         92
        .size:           12
        .value_kind:     by_value
      - .offset:         104
        .size:           4
        .value_kind:     by_value
      - .offset:         108
        .size:           4
        .value_kind:     by_value
      - .offset:         112
        .size:           4
        .value_kind:     by_value
      - .offset:         116
        .size:           4
        .value_kind:     by_value
      - .offset:         120
        .size:           4
        .value_kind:     by_value
      - .offset:         124
        .size:           4
        .value_kind:     by_value
      - .offset:         128
        .size:           4
        .value_kind:     by_value
      - .offset:         132
        .size:           4
        .value_kind:     by_value
      - .offset:         136
        .size:           4
        .value_kind:     by_value
      - .offset:         140
        .size:           4
        .value_kind:     by_value
      - .offset:         144
        .size:           4
        .value_kind:     by_value
      - .offset:         152
        .size:           8
        .value_kind:     by_value
      - .offset:         160
        .size:           4
        .value_kind:     by_value
      - .offset:         164
        .size:           4
        .value_kind:     by_value
      - .offset:         168
        .size:           8
        .value_kind:     by_value
      - .offset:         176
        .size:           4
        .value_kind:     by_value
      - .offset:         180
        .size:           4
        .value_kind:     by_value
      - .offset:         184
        .size:           4
        .value_kind:     by_value
      - .offset:         188
        .size:           4
        .value_kind:     by_value
      - .offset:         192
        .size:           4
        .value_kind:     by_value
      - .offset:         200
        .size:           8
        .value_kind:     by_value
      - .offset:         208
        .size:           4
        .value_kind:     hidden_block_count_x
      - .offset:         212
        .size:           4
        .value_kind:     hidden_block_count_y
      - .offset:         216
        .size:           4
        .value_kind:     hidden_block_count_z
      - .offset:         220
        .size:           2
        .value_kind:     hidden_group_size_x
      - .offset:         222
        .size:           2
        .value_kind:     hidden_group_size_y
      - .offset:         224
        .size:           2
        .value_kind:     hidden_group_size_z
      - .offset:         226
        .size:           2
        .value_kind:     hidden_remainder_x
      - .offset:         228
        .size:           2
        .value_kind:     hidden_remainder_y
      - .offset:         230
        .size:           2
        .value_kind:     hidden_remainder_z
      - .offset:         248
        .size:           8
        .value_kind:     hidden_global_offset_x
      - .offset:         256
        .size:           8
        .value_kind:     hidden_global_offset_y
      - .offset:         264
        .size:           8
        .value_kind:     hidden_global_offset_z
      - .offset:         272
        .size:           2
        .value_kind:     hidden_grid_dims
    .group_segment_fixed_size: 12384
    .kernarg_segment_align: 8
    .kernarg_segment_size: 464
    .language:       OpenCL C
    .language_version:
      - 2
      - 0
    .max_flat_workgroup_size: 256
    .name:           _ZL15flash_attn_tileILi40ELi40ELi16ELi4ELb0EEvPKcS1_S1_S1_S1_PKiPfP15HIP_vector_typeIfLj2EEffffjfiS5_IjLj3EEiiiiiiiiiiiliiliiiiil
    .private_segment_fixed_size: 0
    .sgpr_count:     51
    .sgpr_spill_count: 0
    .symbol:         _ZL15flash_attn_tileILi40ELi40ELi16ELi4ELb0EEvPKcS1_S1_S1_S1_PKiPfP15HIP_vector_typeIfLj2EEffffjfiS5_IjLj3EEiiiiiiiiiiiliiliiiiil.kd
    .uniform_work_group_size: 1
    .uses_dynamic_stack: false
    .vgpr_count:     106
    .vgpr_spill_count: 0
    .wavefront_size: 32
    .workgroup_processor_mode: 1
  - .args:
      - .actual_access:  read_only
        .address_space:  global
        .offset:         0
        .size:           8
        .value_kind:     global_buffer
      - .actual_access:  write_only
        .address_space:  global
        .offset:         8
        .size:           8
        .value_kind:     global_buffer
      - .offset:         16
        .size:           4
        .value_kind:     by_value
      - .offset:         20
        .size:           4
        .value_kind:     by_value
      - .offset:         24
        .size:           4
        .value_kind:     by_value
      - .offset:         32
        .size:           4
        .value_kind:     hidden_block_count_x
      - .offset:         36
        .size:           4
        .value_kind:     hidden_block_count_y
      - .offset:         40
        .size:           4
        .value_kind:     hidden_block_count_z
      - .offset:         44
        .size:           2
        .value_kind:     hidden_group_size_x
      - .offset:         46
        .size:           2
        .value_kind:     hidden_group_size_y
      - .offset:         48
        .size:           2
        .value_kind:     hidden_group_size_z
      - .offset:         50
        .size:           2
        .value_kind:     hidden_remainder_x
      - .offset:         52
        .size:           2
        .value_kind:     hidden_remainder_y
      - .offset:         54
        .size:           2
        .value_kind:     hidden_remainder_z
      - .offset:         72
        .size:           8
        .value_kind:     hidden_global_offset_x
      - .offset:         80
        .size:           8
        .value_kind:     hidden_global_offset_y
      - .offset:         88
        .size:           8
        .value_kind:     hidden_global_offset_z
      - .offset:         96
        .size:           2
        .value_kind:     hidden_grid_dims
    .group_segment_fixed_size: 128
    .kernarg_segment_align: 8
    .kernarg_segment_size: 288
    .language:       OpenCL C
    .language_version:
      - 2
      - 0
    .max_flat_workgroup_size: 128
    .name:           _ZL25flash_attn_mask_to_KV_maxILi16EEvPK7__half2Piiii
    .private_segment_fixed_size: 0
    .sgpr_count:     46
    .sgpr_spill_count: 0
    .symbol:         _ZL25flash_attn_mask_to_KV_maxILi16EEvPK7__half2Piiii.kd
    .uniform_work_group_size: 1
    .uses_dynamic_stack: false
    .vgpr_count:     9
    .vgpr_spill_count: 0
    .wavefront_size: 32
    .workgroup_processor_mode: 1
  - .args:
      - .address_space:  global
        .offset:         0
        .size:           8
        .value_kind:     global_buffer
      - .address_space:  global
        .offset:         8
        .size:           8
        .value_kind:     global_buffer
      - .offset:         16
        .size:           4
        .value_kind:     by_value
      - .offset:         20
        .size:           4
        .value_kind:     by_value
      - .offset:         24
        .size:           4
        .value_kind:     by_value
      - .offset:         28
        .size:           4
        .value_kind:     by_value
      - .offset:         32
        .size:           4
        .value_kind:     by_value
      - .offset:         36
        .size:           4
        .value_kind:     by_value
      - .offset:         40
        .size:           12
        .value_kind:     by_value
      - .offset:         52
        .size:           12
        .value_kind:     by_value
      - .offset:         64
        .size:           12
        .value_kind:     by_value
    .group_segment_fixed_size: 0
    .kernarg_segment_align: 8
    .kernarg_segment_size: 76
    .language:       OpenCL C
    .language_version:
      - 2
      - 0
    .max_flat_workgroup_size: 40
    .name:           _ZL33flash_attn_stream_k_fixup_uniformILi40ELi16ELi4EEvPfPK15HIP_vector_typeIfLj2EEiiiiiiS1_IjLj3EES5_S5_
    .private_segment_fixed_size: 0
    .sgpr_count:     22
    .sgpr_spill_count: 0
    .symbol:         _ZL33flash_attn_stream_k_fixup_uniformILi40ELi16ELi4EEvPfPK15HIP_vector_typeIfLj2EEiiiiiiS1_IjLj3EES5_S5_.kd
    .uniform_work_group_size: 1
    .uses_dynamic_stack: false
    .vgpr_count:     15
    .vgpr_spill_count: 0
    .wavefront_size: 32
    .workgroup_processor_mode: 1
  - .args:
      - .address_space:  global
        .offset:         0
        .size:           8
        .value_kind:     global_buffer
      - .address_space:  global
        .offset:         8
        .size:           8
        .value_kind:     global_buffer
      - .offset:         16
        .size:           4
        .value_kind:     by_value
      - .offset:         20
        .size:           4
        .value_kind:     by_value
      - .offset:         24
        .size:           4
        .value_kind:     by_value
      - .offset:         28
        .size:           4
        .value_kind:     by_value
      - .offset:         32
        .size:           12
        .value_kind:     by_value
      - .offset:         44
        .size:           12
        .value_kind:     by_value
      - .offset:         56
        .size:           12
        .value_kind:     by_value
      - .offset:         68
        .size:           12
        .value_kind:     by_value
      - .offset:         80
        .size:           4
        .value_kind:     hidden_block_count_x
      - .offset:         84
        .size:           4
        .value_kind:     hidden_block_count_y
      - .offset:         88
        .size:           4
        .value_kind:     hidden_block_count_z
      - .offset:         92
        .size:           2
        .value_kind:     hidden_group_size_x
      - .offset:         94
        .size:           2
        .value_kind:     hidden_group_size_y
      - .offset:         96
        .size:           2
        .value_kind:     hidden_group_size_z
      - .offset:         98
        .size:           2
        .value_kind:     hidden_remainder_x
      - .offset:         100
        .size:           2
        .value_kind:     hidden_remainder_y
      - .offset:         102
        .size:           2
        .value_kind:     hidden_remainder_z
      - .offset:         120
        .size:           8
        .value_kind:     hidden_global_offset_x
      - .offset:         128
        .size:           8
        .value_kind:     hidden_global_offset_y
      - .offset:         136
        .size:           8
        .value_kind:     hidden_global_offset_z
      - .offset:         144
        .size:           2
        .value_kind:     hidden_grid_dims
    .group_segment_fixed_size: 0
    .kernarg_segment_align: 8
    .kernarg_segment_size: 336
    .language:       OpenCL C
    .language_version:
      - 2
      - 0
    .max_flat_workgroup_size: 40
    .name:           _ZL33flash_attn_stream_k_fixup_generalILi40ELi16ELi4EEvPfPK15HIP_vector_typeIfLj2EEiiiiS1_IjLj3EES5_S5_S5_
    .private_segment_fixed_size: 0
    .sgpr_count:     34
    .sgpr_spill_count: 0
    .symbol:         _ZL33flash_attn_stream_k_fixup_generalILi40ELi16ELi4EEvPfPK15HIP_vector_typeIfLj2EEiiiiS1_IjLj3EES5_S5_S5_.kd
    .uniform_work_group_size: 1
    .uses_dynamic_stack: false
    .vgpr_count:     19
    .vgpr_spill_count: 0
    .wavefront_size: 32
    .workgroup_processor_mode: 1
  - .args:
      - .address_space:  global
        .offset:         0
        .size:           8
        .value_kind:     global_buffer
      - .address_space:  global
        .offset:         8
        .size:           8
        .value_kind:     global_buffer
      - .address_space:  global
        .offset:         16
        .size:           8
        .value_kind:     global_buffer
      - .address_space:  global
        .offset:         24
        .size:           8
        .value_kind:     global_buffer
      - .address_space:  global
        .offset:         32
        .size:           8
        .value_kind:     global_buffer
      - .address_space:  global
        .offset:         40
        .size:           8
        .value_kind:     global_buffer
      - .address_space:  global
        .offset:         48
        .size:           8
        .value_kind:     global_buffer
      - .address_space:  global
        .offset:         56
        .size:           8
        .value_kind:     global_buffer
      - .offset:         64
        .size:           4
        .value_kind:     by_value
      - .offset:         68
        .size:           4
        .value_kind:     by_value
      - .offset:         72
        .size:           4
        .value_kind:     by_value
      - .offset:         76
        .size:           4
        .value_kind:     by_value
      - .offset:         80
        .size:           4
        .value_kind:     by_value
      - .offset:         84
        .size:           4
        .value_kind:     by_value
      - .offset:         88
        .size:           4
        .value_kind:     by_value
      - .offset:         92
        .size:           12
        .value_kind:     by_value
      - .offset:         104
        .size:           4
        .value_kind:     by_value
      - .offset:         108
        .size:           4
        .value_kind:     by_value
      - .offset:         112
        .size:           4
        .value_kind:     by_value
      - .offset:         116
        .size:           4
        .value_kind:     by_value
      - .offset:         120
        .size:           4
        .value_kind:     by_value
      - .offset:         124
        .size:           4
        .value_kind:     by_value
      - .offset:         128
        .size:           4
        .value_kind:     by_value
      - .offset:         132
        .size:           4
        .value_kind:     by_value
      - .offset:         136
        .size:           4
        .value_kind:     by_value
      - .offset:         140
        .size:           4
        .value_kind:     by_value
      - .offset:         144
        .size:           4
        .value_kind:     by_value
      - .offset:         152
        .size:           8
        .value_kind:     by_value
      - .offset:         160
        .size:           4
        .value_kind:     by_value
      - .offset:         164
        .size:           4
        .value_kind:     by_value
      - .offset:         168
        .size:           8
        .value_kind:     by_value
      - .offset:         176
        .size:           4
        .value_kind:     by_value
      - .offset:         180
        .size:           4
        .value_kind:     by_value
      - .offset:         184
        .size:           4
        .value_kind:     by_value
      - .offset:         188
        .size:           4
        .value_kind:     by_value
      - .offset:         192
        .size:           4
        .value_kind:     by_value
      - .offset:         200
        .size:           8
        .value_kind:     by_value
      - .offset:         208
        .size:           4
        .value_kind:     hidden_block_count_x
      - .offset:         212
        .size:           4
        .value_kind:     hidden_block_count_y
      - .offset:         216
        .size:           4
        .value_kind:     hidden_block_count_z
      - .offset:         220
        .size:           2
        .value_kind:     hidden_group_size_x
      - .offset:         222
        .size:           2
        .value_kind:     hidden_group_size_y
      - .offset:         224
        .size:           2
        .value_kind:     hidden_group_size_z
      - .offset:         226
        .size:           2
        .value_kind:     hidden_remainder_x
      - .offset:         228
        .size:           2
        .value_kind:     hidden_remainder_y
      - .offset:         230
        .size:           2
        .value_kind:     hidden_remainder_z
      - .offset:         248
        .size:           8
        .value_kind:     hidden_global_offset_x
      - .offset:         256
        .size:           8
        .value_kind:     hidden_global_offset_y
      - .offset:         264
        .size:           8
        .value_kind:     hidden_global_offset_z
      - .offset:         272
        .size:           2
        .value_kind:     hidden_grid_dims
    .group_segment_fixed_size: 7776
    .kernarg_segment_align: 8
    .kernarg_segment_size: 464
    .language:       OpenCL C
    .language_version:
      - 2
      - 0
    .max_flat_workgroup_size: 256
    .name:           _ZL15flash_attn_tileILi40ELi40ELi8ELi4ELb0EEvPKcS1_S1_S1_S1_PKiPfP15HIP_vector_typeIfLj2EEffffjfiS5_IjLj3EEiiiiiiiiiiiliiliiiiil
    .private_segment_fixed_size: 0
    .sgpr_count:     44
    .sgpr_spill_count: 0
    .symbol:         _ZL15flash_attn_tileILi40ELi40ELi8ELi4ELb0EEvPKcS1_S1_S1_S1_PKiPfP15HIP_vector_typeIfLj2EEffffjfiS5_IjLj3EEiiiiiiiiiiiliiliiiiil.kd
    .uniform_work_group_size: 1
    .uses_dynamic_stack: false
    .vgpr_count:     69
    .vgpr_spill_count: 0
    .wavefront_size: 32
    .workgroup_processor_mode: 1
  - .args:
      - .address_space:  global
        .offset:         0
        .size:           8
        .value_kind:     global_buffer
      - .address_space:  global
        .offset:         8
        .size:           8
        .value_kind:     global_buffer
      - .offset:         16
        .size:           4
        .value_kind:     by_value
      - .offset:         20
        .size:           4
        .value_kind:     by_value
      - .offset:         24
        .size:           4
        .value_kind:     by_value
      - .offset:         28
        .size:           4
        .value_kind:     by_value
      - .offset:         32
        .size:           4
        .value_kind:     by_value
      - .offset:         36
        .size:           4
        .value_kind:     by_value
      - .offset:         40
        .size:           12
        .value_kind:     by_value
      - .offset:         52
        .size:           12
        .value_kind:     by_value
      - .offset:         64
        .size:           12
        .value_kind:     by_value
    .group_segment_fixed_size: 0
    .kernarg_segment_align: 8
    .kernarg_segment_size: 76
    .language:       OpenCL C
    .language_version:
      - 2
      - 0
    .max_flat_workgroup_size: 40
    .name:           _ZL33flash_attn_stream_k_fixup_uniformILi40ELi8ELi4EEvPfPK15HIP_vector_typeIfLj2EEiiiiiiS1_IjLj3EES5_S5_
    .private_segment_fixed_size: 0
    .sgpr_count:     22
    .sgpr_spill_count: 0
    .symbol:         _ZL33flash_attn_stream_k_fixup_uniformILi40ELi8ELi4EEvPfPK15HIP_vector_typeIfLj2EEiiiiiiS1_IjLj3EES5_S5_.kd
    .uniform_work_group_size: 1
    .uses_dynamic_stack: false
    .vgpr_count:     15
    .vgpr_spill_count: 0
    .wavefront_size: 32
    .workgroup_processor_mode: 1
  - .args:
      - .address_space:  global
        .offset:         0
        .size:           8
        .value_kind:     global_buffer
      - .address_space:  global
        .offset:         8
        .size:           8
        .value_kind:     global_buffer
      - .offset:         16
        .size:           4
        .value_kind:     by_value
      - .offset:         20
        .size:           4
        .value_kind:     by_value
      - .offset:         24
        .size:           4
        .value_kind:     by_value
      - .offset:         28
        .size:           4
        .value_kind:     by_value
      - .offset:         32
        .size:           12
        .value_kind:     by_value
      - .offset:         44
        .size:           12
        .value_kind:     by_value
      - .offset:         56
        .size:           12
        .value_kind:     by_value
      - .offset:         68
        .size:           12
        .value_kind:     by_value
      - .offset:         80
        .size:           4
        .value_kind:     hidden_block_count_x
      - .offset:         84
        .size:           4
        .value_kind:     hidden_block_count_y
      - .offset:         88
        .size:           4
        .value_kind:     hidden_block_count_z
      - .offset:         92
        .size:           2
        .value_kind:     hidden_group_size_x
      - .offset:         94
        .size:           2
        .value_kind:     hidden_group_size_y
      - .offset:         96
        .size:           2
        .value_kind:     hidden_group_size_z
      - .offset:         98
        .size:           2
        .value_kind:     hidden_remainder_x
      - .offset:         100
        .size:           2
        .value_kind:     hidden_remainder_y
      - .offset:         102
        .size:           2
        .value_kind:     hidden_remainder_z
      - .offset:         120
        .size:           8
        .value_kind:     hidden_global_offset_x
      - .offset:         128
        .size:           8
        .value_kind:     hidden_global_offset_y
      - .offset:         136
        .size:           8
        .value_kind:     hidden_global_offset_z
      - .offset:         144
        .size:           2
        .value_kind:     hidden_grid_dims
    .group_segment_fixed_size: 0
    .kernarg_segment_align: 8
    .kernarg_segment_size: 336
    .language:       OpenCL C
    .language_version:
      - 2
      - 0
    .max_flat_workgroup_size: 40
    .name:           _ZL33flash_attn_stream_k_fixup_generalILi40ELi8ELi4EEvPfPK15HIP_vector_typeIfLj2EEiiiiS1_IjLj3EES5_S5_S5_
    .private_segment_fixed_size: 0
    .sgpr_count:     34
    .sgpr_spill_count: 0
    .symbol:         _ZL33flash_attn_stream_k_fixup_generalILi40ELi8ELi4EEvPfPK15HIP_vector_typeIfLj2EEiiiiS1_IjLj3EES5_S5_S5_.kd
    .uniform_work_group_size: 1
    .uses_dynamic_stack: false
    .vgpr_count:     19
    .vgpr_spill_count: 0
    .wavefront_size: 32
    .workgroup_processor_mode: 1
  - .args:
      - .address_space:  global
        .offset:         0
        .size:           8
        .value_kind:     global_buffer
      - .address_space:  global
        .offset:         8
        .size:           8
        .value_kind:     global_buffer
      - .address_space:  global
        .offset:         16
        .size:           8
        .value_kind:     global_buffer
      - .address_space:  global
        .offset:         24
        .size:           8
        .value_kind:     global_buffer
      - .address_space:  global
        .offset:         32
        .size:           8
        .value_kind:     global_buffer
      - .address_space:  global
        .offset:         40
        .size:           8
        .value_kind:     global_buffer
      - .address_space:  global
        .offset:         48
        .size:           8
        .value_kind:     global_buffer
      - .address_space:  global
        .offset:         56
        .size:           8
        .value_kind:     global_buffer
      - .offset:         64
        .size:           4
        .value_kind:     by_value
      - .offset:         68
        .size:           4
        .value_kind:     by_value
      - .offset:         72
        .size:           4
        .value_kind:     by_value
      - .offset:         76
        .size:           4
        .value_kind:     by_value
      - .offset:         80
        .size:           4
        .value_kind:     by_value
      - .offset:         84
        .size:           4
        .value_kind:     by_value
      - .offset:         88
        .size:           4
        .value_kind:     by_value
      - .offset:         92
        .size:           12
        .value_kind:     by_value
      - .offset:         104
        .size:           4
        .value_kind:     by_value
      - .offset:         108
        .size:           4
        .value_kind:     by_value
      - .offset:         112
        .size:           4
        .value_kind:     by_value
      - .offset:         116
        .size:           4
        .value_kind:     by_value
      - .offset:         120
        .size:           4
        .value_kind:     by_value
      - .offset:         124
        .size:           4
        .value_kind:     by_value
      - .offset:         128
        .size:           4
        .value_kind:     by_value
      - .offset:         132
        .size:           4
        .value_kind:     by_value
      - .offset:         136
        .size:           4
        .value_kind:     by_value
      - .offset:         140
        .size:           4
        .value_kind:     by_value
      - .offset:         144
        .size:           4
        .value_kind:     by_value
      - .offset:         152
        .size:           8
        .value_kind:     by_value
      - .offset:         160
        .size:           4
        .value_kind:     by_value
      - .offset:         164
        .size:           4
        .value_kind:     by_value
      - .offset:         168
        .size:           8
        .value_kind:     by_value
      - .offset:         176
        .size:           4
        .value_kind:     by_value
      - .offset:         180
        .size:           4
        .value_kind:     by_value
      - .offset:         184
        .size:           4
        .value_kind:     by_value
      - .offset:         188
        .size:           4
        .value_kind:     by_value
      - .offset:         192
        .size:           4
        .value_kind:     by_value
      - .offset:         200
        .size:           8
        .value_kind:     by_value
      - .offset:         208
        .size:           4
        .value_kind:     hidden_block_count_x
      - .offset:         212
        .size:           4
        .value_kind:     hidden_block_count_y
      - .offset:         216
        .size:           4
        .value_kind:     hidden_block_count_z
      - .offset:         220
        .size:           2
        .value_kind:     hidden_group_size_x
      - .offset:         222
        .size:           2
        .value_kind:     hidden_group_size_y
      - .offset:         224
        .size:           2
        .value_kind:     hidden_group_size_z
      - .offset:         226
        .size:           2
        .value_kind:     hidden_remainder_x
      - .offset:         228
        .size:           2
        .value_kind:     hidden_remainder_y
      - .offset:         230
        .size:           2
        .value_kind:     hidden_remainder_z
      - .offset:         248
        .size:           8
        .value_kind:     hidden_global_offset_x
      - .offset:         256
        .size:           8
        .value_kind:     hidden_global_offset_y
      - .offset:         264
        .size:           8
        .value_kind:     hidden_global_offset_z
      - .offset:         272
        .size:           2
        .value_kind:     hidden_grid_dims
    .group_segment_fixed_size: 5472
    .kernarg_segment_align: 8
    .kernarg_segment_size: 464
    .language:       OpenCL C
    .language_version:
      - 2
      - 0
    .max_flat_workgroup_size: 256
    .name:           _ZL15flash_attn_tileILi40ELi40ELi4ELi4ELb0EEvPKcS1_S1_S1_S1_PKiPfP15HIP_vector_typeIfLj2EEffffjfiS5_IjLj3EEiiiiiiiiiiiliiliiiiil
    .private_segment_fixed_size: 0
    .sgpr_count:     43
    .sgpr_spill_count: 0
    .symbol:         _ZL15flash_attn_tileILi40ELi40ELi4ELi4ELb0EEvPKcS1_S1_S1_S1_PKiPfP15HIP_vector_typeIfLj2EEffffjfiS5_IjLj3EEiiiiiiiiiiiliiliiiiil.kd
    .uniform_work_group_size: 1
    .uses_dynamic_stack: false
    .vgpr_count:     57
    .vgpr_spill_count: 0
    .wavefront_size: 32
    .workgroup_processor_mode: 1
  - .args:
      - .address_space:  global
        .offset:         0
        .size:           8
        .value_kind:     global_buffer
      - .address_space:  global
        .offset:         8
        .size:           8
        .value_kind:     global_buffer
      - .offset:         16
        .size:           4
        .value_kind:     by_value
      - .offset:         20
        .size:           4
        .value_kind:     by_value
      - .offset:         24
        .size:           4
        .value_kind:     by_value
      - .offset:         28
        .size:           4
        .value_kind:     by_value
      - .offset:         32
        .size:           4
        .value_kind:     by_value
      - .offset:         36
        .size:           4
        .value_kind:     by_value
      - .offset:         40
        .size:           12
        .value_kind:     by_value
      - .offset:         52
        .size:           12
        .value_kind:     by_value
      - .offset:         64
        .size:           12
        .value_kind:     by_value
    .group_segment_fixed_size: 0
    .kernarg_segment_align: 8
    .kernarg_segment_size: 76
    .language:       OpenCL C
    .language_version:
      - 2
      - 0
    .max_flat_workgroup_size: 40
    .name:           _ZL33flash_attn_stream_k_fixup_uniformILi40ELi4ELi4EEvPfPK15HIP_vector_typeIfLj2EEiiiiiiS1_IjLj3EES5_S5_
    .private_segment_fixed_size: 0
    .sgpr_count:     22
    .sgpr_spill_count: 0
    .symbol:         _ZL33flash_attn_stream_k_fixup_uniformILi40ELi4ELi4EEvPfPK15HIP_vector_typeIfLj2EEiiiiiiS1_IjLj3EES5_S5_.kd
    .uniform_work_group_size: 1
    .uses_dynamic_stack: false
    .vgpr_count:     15
    .vgpr_spill_count: 0
    .wavefront_size: 32
    .workgroup_processor_mode: 1
  - .args:
      - .address_space:  global
        .offset:         0
        .size:           8
        .value_kind:     global_buffer
      - .address_space:  global
        .offset:         8
        .size:           8
        .value_kind:     global_buffer
      - .offset:         16
        .size:           4
        .value_kind:     by_value
      - .offset:         20
        .size:           4
        .value_kind:     by_value
      - .offset:         24
        .size:           4
        .value_kind:     by_value
      - .offset:         28
        .size:           4
        .value_kind:     by_value
      - .offset:         32
        .size:           12
        .value_kind:     by_value
      - .offset:         44
        .size:           12
        .value_kind:     by_value
      - .offset:         56
        .size:           12
        .value_kind:     by_value
      - .offset:         68
        .size:           12
        .value_kind:     by_value
      - .offset:         80
        .size:           4
        .value_kind:     hidden_block_count_x
      - .offset:         84
        .size:           4
        .value_kind:     hidden_block_count_y
      - .offset:         88
        .size:           4
        .value_kind:     hidden_block_count_z
      - .offset:         92
        .size:           2
        .value_kind:     hidden_group_size_x
      - .offset:         94
        .size:           2
        .value_kind:     hidden_group_size_y
      - .offset:         96
        .size:           2
        .value_kind:     hidden_group_size_z
      - .offset:         98
        .size:           2
        .value_kind:     hidden_remainder_x
      - .offset:         100
        .size:           2
        .value_kind:     hidden_remainder_y
      - .offset:         102
        .size:           2
        .value_kind:     hidden_remainder_z
      - .offset:         120
        .size:           8
        .value_kind:     hidden_global_offset_x
      - .offset:         128
        .size:           8
        .value_kind:     hidden_global_offset_y
      - .offset:         136
        .size:           8
        .value_kind:     hidden_global_offset_z
      - .offset:         144
        .size:           2
        .value_kind:     hidden_grid_dims
    .group_segment_fixed_size: 0
    .kernarg_segment_align: 8
    .kernarg_segment_size: 336
    .language:       OpenCL C
    .language_version:
      - 2
      - 0
    .max_flat_workgroup_size: 40
    .name:           _ZL33flash_attn_stream_k_fixup_generalILi40ELi4ELi4EEvPfPK15HIP_vector_typeIfLj2EEiiiiS1_IjLj3EES5_S5_S5_
    .private_segment_fixed_size: 0
    .sgpr_count:     34
    .sgpr_spill_count: 0
    .symbol:         _ZL33flash_attn_stream_k_fixup_generalILi40ELi4ELi4EEvPfPK15HIP_vector_typeIfLj2EEiiiiS1_IjLj3EES5_S5_S5_.kd
    .uniform_work_group_size: 1
    .uses_dynamic_stack: false
    .vgpr_count:     19
    .vgpr_spill_count: 0
    .wavefront_size: 32
    .workgroup_processor_mode: 1
  - .args:
      - .address_space:  global
        .offset:         0
        .size:           8
        .value_kind:     global_buffer
      - .address_space:  global
        .offset:         8
        .size:           8
        .value_kind:     global_buffer
      - .address_space:  global
        .offset:         16
        .size:           8
        .value_kind:     global_buffer
      - .address_space:  global
        .offset:         24
        .size:           8
        .value_kind:     global_buffer
      - .address_space:  global
        .offset:         32
        .size:           8
        .value_kind:     global_buffer
      - .address_space:  global
        .offset:         40
        .size:           8
        .value_kind:     global_buffer
      - .address_space:  global
        .offset:         48
        .size:           8
        .value_kind:     global_buffer
      - .address_space:  global
        .offset:         56
        .size:           8
        .value_kind:     global_buffer
      - .offset:         64
        .size:           4
        .value_kind:     by_value
      - .offset:         68
        .size:           4
        .value_kind:     by_value
      - .offset:         72
        .size:           4
        .value_kind:     by_value
      - .offset:         76
        .size:           4
        .value_kind:     by_value
      - .offset:         80
        .size:           4
        .value_kind:     by_value
      - .offset:         84
        .size:           4
        .value_kind:     by_value
      - .offset:         88
        .size:           4
        .value_kind:     by_value
      - .offset:         92
        .size:           12
        .value_kind:     by_value
      - .offset:         104
        .size:           4
        .value_kind:     by_value
      - .offset:         108
        .size:           4
        .value_kind:     by_value
      - .offset:         112
        .size:           4
        .value_kind:     by_value
      - .offset:         116
        .size:           4
        .value_kind:     by_value
      - .offset:         120
        .size:           4
        .value_kind:     by_value
      - .offset:         124
        .size:           4
        .value_kind:     by_value
      - .offset:         128
        .size:           4
        .value_kind:     by_value
      - .offset:         132
        .size:           4
        .value_kind:     by_value
      - .offset:         136
        .size:           4
        .value_kind:     by_value
      - .offset:         140
        .size:           4
        .value_kind:     by_value
      - .offset:         144
        .size:           4
        .value_kind:     by_value
      - .offset:         152
        .size:           8
        .value_kind:     by_value
      - .offset:         160
        .size:           4
        .value_kind:     by_value
      - .offset:         164
        .size:           4
        .value_kind:     by_value
      - .offset:         168
        .size:           8
        .value_kind:     by_value
      - .offset:         176
        .size:           4
        .value_kind:     by_value
      - .offset:         180
        .size:           4
        .value_kind:     by_value
      - .offset:         184
        .size:           4
        .value_kind:     by_value
      - .offset:         188
        .size:           4
        .value_kind:     by_value
      - .offset:         192
        .size:           4
        .value_kind:     by_value
      - .offset:         200
        .size:           8
        .value_kind:     by_value
      - .offset:         208
        .size:           4
        .value_kind:     hidden_block_count_x
      - .offset:         212
        .size:           4
        .value_kind:     hidden_block_count_y
      - .offset:         216
        .size:           4
        .value_kind:     hidden_block_count_z
      - .offset:         220
        .size:           2
        .value_kind:     hidden_group_size_x
      - .offset:         222
        .size:           2
        .value_kind:     hidden_group_size_y
      - .offset:         224
        .size:           2
        .value_kind:     hidden_group_size_z
      - .offset:         226
        .size:           2
        .value_kind:     hidden_remainder_x
      - .offset:         228
        .size:           2
        .value_kind:     hidden_remainder_y
      - .offset:         230
        .size:           2
        .value_kind:     hidden_remainder_z
      - .offset:         248
        .size:           8
        .value_kind:     hidden_global_offset_x
      - .offset:         256
        .size:           8
        .value_kind:     hidden_global_offset_y
      - .offset:         264
        .size:           8
        .value_kind:     hidden_global_offset_z
      - .offset:         272
        .size:           2
        .value_kind:     hidden_grid_dims
    .group_segment_fixed_size: 4320
    .kernarg_segment_align: 8
    .kernarg_segment_size: 464
    .language:       OpenCL C
    .language_version:
      - 2
      - 0
    .max_flat_workgroup_size: 256
    .name:           _ZL15flash_attn_tileILi40ELi40ELi2ELi4ELb0EEvPKcS1_S1_S1_S1_PKiPfP15HIP_vector_typeIfLj2EEffffjfiS5_IjLj3EEiiiiiiiiiiiliiliiiiil
    .private_segment_fixed_size: 0
    .sgpr_count:     44
    .sgpr_spill_count: 0
    .symbol:         _ZL15flash_attn_tileILi40ELi40ELi2ELi4ELb0EEvPKcS1_S1_S1_S1_PKiPfP15HIP_vector_typeIfLj2EEffffjfiS5_IjLj3EEiiiiiiiiiiiliiliiiiil.kd
    .uniform_work_group_size: 1
    .uses_dynamic_stack: false
    .vgpr_count:     49
    .vgpr_spill_count: 0
    .wavefront_size: 32
    .workgroup_processor_mode: 1
  - .args:
      - .address_space:  global
        .offset:         0
        .size:           8
        .value_kind:     global_buffer
      - .address_space:  global
        .offset:         8
        .size:           8
        .value_kind:     global_buffer
      - .offset:         16
        .size:           4
        .value_kind:     by_value
      - .offset:         20
        .size:           4
        .value_kind:     by_value
      - .offset:         24
        .size:           4
        .value_kind:     by_value
      - .offset:         28
        .size:           4
        .value_kind:     by_value
      - .offset:         32
        .size:           4
        .value_kind:     by_value
      - .offset:         36
        .size:           4
        .value_kind:     by_value
      - .offset:         40
        .size:           12
        .value_kind:     by_value
      - .offset:         52
        .size:           12
        .value_kind:     by_value
      - .offset:         64
        .size:           12
        .value_kind:     by_value
    .group_segment_fixed_size: 0
    .kernarg_segment_align: 8
    .kernarg_segment_size: 76
    .language:       OpenCL C
    .language_version:
      - 2
      - 0
    .max_flat_workgroup_size: 40
    .name:           _ZL33flash_attn_stream_k_fixup_uniformILi40ELi2ELi4EEvPfPK15HIP_vector_typeIfLj2EEiiiiiiS1_IjLj3EES5_S5_
    .private_segment_fixed_size: 0
    .sgpr_count:     22
    .sgpr_spill_count: 0
    .symbol:         _ZL33flash_attn_stream_k_fixup_uniformILi40ELi2ELi4EEvPfPK15HIP_vector_typeIfLj2EEiiiiiiS1_IjLj3EES5_S5_.kd
    .uniform_work_group_size: 1
    .uses_dynamic_stack: false
    .vgpr_count:     15
    .vgpr_spill_count: 0
    .wavefront_size: 32
    .workgroup_processor_mode: 1
  - .args:
      - .address_space:  global
        .offset:         0
        .size:           8
        .value_kind:     global_buffer
      - .address_space:  global
        .offset:         8
        .size:           8
        .value_kind:     global_buffer
      - .offset:         16
        .size:           4
        .value_kind:     by_value
      - .offset:         20
        .size:           4
        .value_kind:     by_value
      - .offset:         24
        .size:           4
        .value_kind:     by_value
      - .offset:         28
        .size:           4
        .value_kind:     by_value
      - .offset:         32
        .size:           12
        .value_kind:     by_value
      - .offset:         44
        .size:           12
        .value_kind:     by_value
      - .offset:         56
        .size:           12
        .value_kind:     by_value
      - .offset:         68
        .size:           12
        .value_kind:     by_value
      - .offset:         80
        .size:           4
        .value_kind:     hidden_block_count_x
      - .offset:         84
        .size:           4
        .value_kind:     hidden_block_count_y
      - .offset:         88
        .size:           4
        .value_kind:     hidden_block_count_z
      - .offset:         92
        .size:           2
        .value_kind:     hidden_group_size_x
      - .offset:         94
        .size:           2
        .value_kind:     hidden_group_size_y
      - .offset:         96
        .size:           2
        .value_kind:     hidden_group_size_z
      - .offset:         98
        .size:           2
        .value_kind:     hidden_remainder_x
      - .offset:         100
        .size:           2
        .value_kind:     hidden_remainder_y
      - .offset:         102
        .size:           2
        .value_kind:     hidden_remainder_z
      - .offset:         120
        .size:           8
        .value_kind:     hidden_global_offset_x
      - .offset:         128
        .size:           8
        .value_kind:     hidden_global_offset_y
      - .offset:         136
        .size:           8
        .value_kind:     hidden_global_offset_z
      - .offset:         144
        .size:           2
        .value_kind:     hidden_grid_dims
    .group_segment_fixed_size: 0
    .kernarg_segment_align: 8
    .kernarg_segment_size: 336
    .language:       OpenCL C
    .language_version:
      - 2
      - 0
    .max_flat_workgroup_size: 40
    .name:           _ZL33flash_attn_stream_k_fixup_generalILi40ELi2ELi4EEvPfPK15HIP_vector_typeIfLj2EEiiiiS1_IjLj3EES5_S5_S5_
    .private_segment_fixed_size: 0
    .sgpr_count:     34
    .sgpr_spill_count: 0
    .symbol:         _ZL33flash_attn_stream_k_fixup_generalILi40ELi2ELi4EEvPfPK15HIP_vector_typeIfLj2EEiiiiS1_IjLj3EES5_S5_S5_.kd
    .uniform_work_group_size: 1
    .uses_dynamic_stack: false
    .vgpr_count:     19
    .vgpr_spill_count: 0
    .wavefront_size: 32
    .workgroup_processor_mode: 1
  - .args:
      - .address_space:  global
        .offset:         0
        .size:           8
        .value_kind:     global_buffer
      - .address_space:  global
        .offset:         8
        .size:           8
        .value_kind:     global_buffer
      - .address_space:  global
        .offset:         16
        .size:           8
        .value_kind:     global_buffer
      - .address_space:  global
        .offset:         24
        .size:           8
        .value_kind:     global_buffer
      - .address_space:  global
        .offset:         32
        .size:           8
        .value_kind:     global_buffer
      - .address_space:  global
        .offset:         40
        .size:           8
        .value_kind:     global_buffer
      - .address_space:  global
        .offset:         48
        .size:           8
        .value_kind:     global_buffer
      - .address_space:  global
        .offset:         56
        .size:           8
        .value_kind:     global_buffer
      - .offset:         64
        .size:           4
        .value_kind:     by_value
      - .offset:         68
        .size:           4
        .value_kind:     by_value
      - .offset:         72
        .size:           4
        .value_kind:     by_value
      - .offset:         76
        .size:           4
        .value_kind:     by_value
      - .offset:         80
        .size:           4
        .value_kind:     by_value
      - .offset:         84
        .size:           4
        .value_kind:     by_value
      - .offset:         88
        .size:           4
        .value_kind:     by_value
      - .offset:         92
        .size:           12
        .value_kind:     by_value
      - .offset:         104
        .size:           4
        .value_kind:     by_value
      - .offset:         108
        .size:           4
        .value_kind:     by_value
      - .offset:         112
        .size:           4
        .value_kind:     by_value
      - .offset:         116
        .size:           4
        .value_kind:     by_value
      - .offset:         120
        .size:           4
        .value_kind:     by_value
      - .offset:         124
        .size:           4
        .value_kind:     by_value
      - .offset:         128
        .size:           4
        .value_kind:     by_value
      - .offset:         132
        .size:           4
        .value_kind:     by_value
      - .offset:         136
        .size:           4
        .value_kind:     by_value
      - .offset:         140
        .size:           4
        .value_kind:     by_value
      - .offset:         144
        .size:           4
        .value_kind:     by_value
      - .offset:         152
        .size:           8
        .value_kind:     by_value
      - .offset:         160
        .size:           4
        .value_kind:     by_value
      - .offset:         164
        .size:           4
        .value_kind:     by_value
      - .offset:         168
        .size:           8
        .value_kind:     by_value
      - .offset:         176
        .size:           4
        .value_kind:     by_value
      - .offset:         180
        .size:           4
        .value_kind:     by_value
      - .offset:         184
        .size:           4
        .value_kind:     by_value
      - .offset:         188
        .size:           4
        .value_kind:     by_value
      - .offset:         192
        .size:           4
        .value_kind:     by_value
      - .offset:         200
        .size:           8
        .value_kind:     by_value
      - .offset:         208
        .size:           4
        .value_kind:     hidden_block_count_x
      - .offset:         212
        .size:           4
        .value_kind:     hidden_block_count_y
      - .offset:         216
        .size:           4
        .value_kind:     hidden_block_count_z
      - .offset:         220
        .size:           2
        .value_kind:     hidden_group_size_x
      - .offset:         222
        .size:           2
        .value_kind:     hidden_group_size_y
      - .offset:         224
        .size:           2
        .value_kind:     hidden_group_size_z
      - .offset:         226
        .size:           2
        .value_kind:     hidden_remainder_x
      - .offset:         228
        .size:           2
        .value_kind:     hidden_remainder_y
      - .offset:         230
        .size:           2
        .value_kind:     hidden_remainder_z
      - .offset:         248
        .size:           8
        .value_kind:     hidden_global_offset_x
      - .offset:         256
        .size:           8
        .value_kind:     hidden_global_offset_y
      - .offset:         264
        .size:           8
        .value_kind:     hidden_global_offset_z
      - .offset:         272
        .size:           2
        .value_kind:     hidden_grid_dims
    .group_segment_fixed_size: 3744
    .kernarg_segment_align: 8
    .kernarg_segment_size: 464
    .language:       OpenCL C
    .language_version:
      - 2
      - 0
    .max_flat_workgroup_size: 128
    .name:           _ZL15flash_attn_tileILi40ELi40ELi1ELi4ELb0EEvPKcS1_S1_S1_S1_PKiPfP15HIP_vector_typeIfLj2EEffffjfiS5_IjLj3EEiiiiiiiiiiiliiliiiiil
    .private_segment_fixed_size: 0
    .sgpr_count:     45
    .sgpr_spill_count: 0
    .symbol:         _ZL15flash_attn_tileILi40ELi40ELi1ELi4ELb0EEvPKcS1_S1_S1_S1_PKiPfP15HIP_vector_typeIfLj2EEffffjfiS5_IjLj3EEiiiiiiiiiiiliiliiiiil.kd
    .uniform_work_group_size: 1
    .uses_dynamic_stack: false
    .vgpr_count:     49
    .vgpr_spill_count: 0
    .wavefront_size: 32
    .workgroup_processor_mode: 1
  - .args:
      - .address_space:  global
        .offset:         0
        .size:           8
        .value_kind:     global_buffer
      - .address_space:  global
        .offset:         8
        .size:           8
        .value_kind:     global_buffer
      - .offset:         16
        .size:           4
        .value_kind:     by_value
      - .offset:         20
        .size:           4
        .value_kind:     by_value
      - .offset:         24
        .size:           4
        .value_kind:     by_value
      - .offset:         28
        .size:           4
        .value_kind:     by_value
      - .offset:         32
        .size:           4
        .value_kind:     by_value
      - .offset:         36
        .size:           4
        .value_kind:     by_value
      - .offset:         40
        .size:           12
        .value_kind:     by_value
      - .offset:         52
        .size:           12
        .value_kind:     by_value
      - .offset:         64
        .size:           12
        .value_kind:     by_value
    .group_segment_fixed_size: 0
    .kernarg_segment_align: 8
    .kernarg_segment_size: 76
    .language:       OpenCL C
    .language_version:
      - 2
      - 0
    .max_flat_workgroup_size: 40
    .name:           _ZL33flash_attn_stream_k_fixup_uniformILi40ELi1ELi4EEvPfPK15HIP_vector_typeIfLj2EEiiiiiiS1_IjLj3EES5_S5_
    .private_segment_fixed_size: 0
    .sgpr_count:     22
    .sgpr_spill_count: 0
    .symbol:         _ZL33flash_attn_stream_k_fixup_uniformILi40ELi1ELi4EEvPfPK15HIP_vector_typeIfLj2EEiiiiiiS1_IjLj3EES5_S5_.kd
    .uniform_work_group_size: 1
    .uses_dynamic_stack: false
    .vgpr_count:     15
    .vgpr_spill_count: 0
    .wavefront_size: 32
    .workgroup_processor_mode: 1
  - .args:
      - .address_space:  global
        .offset:         0
        .size:           8
        .value_kind:     global_buffer
      - .address_space:  global
        .offset:         8
        .size:           8
        .value_kind:     global_buffer
      - .offset:         16
        .size:           4
        .value_kind:     by_value
      - .offset:         20
        .size:           4
        .value_kind:     by_value
      - .offset:         24
        .size:           4
        .value_kind:     by_value
      - .offset:         28
        .size:           4
        .value_kind:     by_value
      - .offset:         32
        .size:           12
        .value_kind:     by_value
      - .offset:         44
        .size:           12
        .value_kind:     by_value
      - .offset:         56
        .size:           12
        .value_kind:     by_value
      - .offset:         68
        .size:           12
        .value_kind:     by_value
      - .offset:         80
        .size:           4
        .value_kind:     hidden_block_count_x
      - .offset:         84
        .size:           4
        .value_kind:     hidden_block_count_y
      - .offset:         88
        .size:           4
        .value_kind:     hidden_block_count_z
      - .offset:         92
        .size:           2
        .value_kind:     hidden_group_size_x
      - .offset:         94
        .size:           2
        .value_kind:     hidden_group_size_y
      - .offset:         96
        .size:           2
        .value_kind:     hidden_group_size_z
      - .offset:         98
        .size:           2
        .value_kind:     hidden_remainder_x
      - .offset:         100
        .size:           2
        .value_kind:     hidden_remainder_y
      - .offset:         102
        .size:           2
        .value_kind:     hidden_remainder_z
      - .offset:         120
        .size:           8
        .value_kind:     hidden_global_offset_x
      - .offset:         128
        .size:           8
        .value_kind:     hidden_global_offset_y
      - .offset:         136
        .size:           8
        .value_kind:     hidden_global_offset_z
      - .offset:         144
        .size:           2
        .value_kind:     hidden_grid_dims
    .group_segment_fixed_size: 0
    .kernarg_segment_align: 8
    .kernarg_segment_size: 336
    .language:       OpenCL C
    .language_version:
      - 2
      - 0
    .max_flat_workgroup_size: 40
    .name:           _ZL33flash_attn_stream_k_fixup_generalILi40ELi1ELi4EEvPfPK15HIP_vector_typeIfLj2EEiiiiS1_IjLj3EES5_S5_S5_
    .private_segment_fixed_size: 0
    .sgpr_count:     34
    .sgpr_spill_count: 0
    .symbol:         _ZL33flash_attn_stream_k_fixup_generalILi40ELi1ELi4EEvPfPK15HIP_vector_typeIfLj2EEiiiiS1_IjLj3EES5_S5_S5_.kd
    .uniform_work_group_size: 1
    .uses_dynamic_stack: false
    .vgpr_count:     19
    .vgpr_spill_count: 0
    .wavefront_size: 32
    .workgroup_processor_mode: 1
  - .args:
      - .address_space:  global
        .offset:         0
        .size:           8
        .value_kind:     global_buffer
      - .address_space:  global
        .offset:         8
        .size:           8
        .value_kind:     global_buffer
      - .address_space:  global
        .offset:         16
        .size:           8
        .value_kind:     global_buffer
      - .address_space:  global
        .offset:         24
        .size:           8
        .value_kind:     global_buffer
      - .address_space:  global
        .offset:         32
        .size:           8
        .value_kind:     global_buffer
      - .address_space:  global
        .offset:         40
        .size:           8
        .value_kind:     global_buffer
      - .address_space:  global
        .offset:         48
        .size:           8
        .value_kind:     global_buffer
      - .address_space:  global
        .offset:         56
        .size:           8
        .value_kind:     global_buffer
      - .offset:         64
        .size:           4
        .value_kind:     by_value
      - .offset:         68
        .size:           4
        .value_kind:     by_value
      - .offset:         72
        .size:           4
        .value_kind:     by_value
      - .offset:         76
        .size:           4
        .value_kind:     by_value
      - .offset:         80
        .size:           4
        .value_kind:     by_value
      - .offset:         84
        .size:           4
        .value_kind:     by_value
      - .offset:         88
        .size:           4
        .value_kind:     by_value
      - .offset:         92
        .size:           12
        .value_kind:     by_value
      - .offset:         104
        .size:           4
        .value_kind:     by_value
      - .offset:         108
        .size:           4
        .value_kind:     by_value
      - .offset:         112
        .size:           4
        .value_kind:     by_value
      - .offset:         116
        .size:           4
        .value_kind:     by_value
      - .offset:         120
        .size:           4
        .value_kind:     by_value
      - .offset:         124
        .size:           4
        .value_kind:     by_value
      - .offset:         128
        .size:           4
        .value_kind:     by_value
      - .offset:         132
        .size:           4
        .value_kind:     by_value
      - .offset:         136
        .size:           4
        .value_kind:     by_value
      - .offset:         140
        .size:           4
        .value_kind:     by_value
      - .offset:         144
        .size:           4
        .value_kind:     by_value
      - .offset:         152
        .size:           8
        .value_kind:     by_value
      - .offset:         160
        .size:           4
        .value_kind:     by_value
      - .offset:         164
        .size:           4
        .value_kind:     by_value
      - .offset:         168
        .size:           8
        .value_kind:     by_value
      - .offset:         176
        .size:           4
        .value_kind:     by_value
      - .offset:         180
        .size:           4
        .value_kind:     by_value
      - .offset:         184
        .size:           4
        .value_kind:     by_value
      - .offset:         188
        .size:           4
        .value_kind:     by_value
      - .offset:         192
        .size:           4
        .value_kind:     by_value
      - .offset:         200
        .size:           8
        .value_kind:     by_value
      - .offset:         208
        .size:           4
        .value_kind:     hidden_block_count_x
      - .offset:         212
        .size:           4
        .value_kind:     hidden_block_count_y
      - .offset:         216
        .size:           4
        .value_kind:     hidden_block_count_z
      - .offset:         220
        .size:           2
        .value_kind:     hidden_group_size_x
      - .offset:         222
        .size:           2
        .value_kind:     hidden_group_size_y
      - .offset:         224
        .size:           2
        .value_kind:     hidden_group_size_z
      - .offset:         226
        .size:           2
        .value_kind:     hidden_remainder_x
      - .offset:         228
        .size:           2
        .value_kind:     hidden_remainder_y
      - .offset:         230
        .size:           2
        .value_kind:     hidden_remainder_z
      - .offset:         248
        .size:           8
        .value_kind:     hidden_global_offset_x
      - .offset:         256
        .size:           8
        .value_kind:     hidden_global_offset_y
      - .offset:         264
        .size:           8
        .value_kind:     hidden_global_offset_z
      - .offset:         272
        .size:           2
        .value_kind:     hidden_grid_dims
    .group_segment_fixed_size: 12384
    .kernarg_segment_align: 8
    .kernarg_segment_size: 464
    .language:       OpenCL C
    .language_version:
      - 2
      - 0
    .max_flat_workgroup_size: 256
    .name:           _ZL15flash_attn_tileILi40ELi40ELi32ELi2ELb0EEvPKcS1_S1_S1_S1_PKiPfP15HIP_vector_typeIfLj2EEffffjfiS5_IjLj3EEiiiiiiiiiiiliiliiiiil
    .private_segment_fixed_size: 0
    .sgpr_count:     54
    .sgpr_spill_count: 0
    .symbol:         _ZL15flash_attn_tileILi40ELi40ELi32ELi2ELb0EEvPKcS1_S1_S1_S1_PKiPfP15HIP_vector_typeIfLj2EEffffjfiS5_IjLj3EEiiiiiiiiiiiliiliiiiil.kd
    .uniform_work_group_size: 1
    .uses_dynamic_stack: false
    .vgpr_count:     111
    .vgpr_spill_count: 0
    .wavefront_size: 32
    .workgroup_processor_mode: 1
  - .args:
      - .actual_access:  read_only
        .address_space:  global
        .offset:         0
        .size:           8
        .value_kind:     global_buffer
      - .actual_access:  write_only
        .address_space:  global
        .offset:         8
        .size:           8
        .value_kind:     global_buffer
      - .offset:         16
        .size:           4
        .value_kind:     by_value
      - .offset:         20
        .size:           4
        .value_kind:     by_value
      - .offset:         24
        .size:           4
        .value_kind:     by_value
      - .offset:         32
        .size:           4
        .value_kind:     hidden_block_count_x
      - .offset:         36
        .size:           4
        .value_kind:     hidden_block_count_y
      - .offset:         40
        .size:           4
        .value_kind:     hidden_block_count_z
      - .offset:         44
        .size:           2
        .value_kind:     hidden_group_size_x
      - .offset:         46
        .size:           2
        .value_kind:     hidden_group_size_y
      - .offset:         48
        .size:           2
        .value_kind:     hidden_group_size_z
      - .offset:         50
        .size:           2
        .value_kind:     hidden_remainder_x
      - .offset:         52
        .size:           2
        .value_kind:     hidden_remainder_y
      - .offset:         54
        .size:           2
        .value_kind:     hidden_remainder_z
      - .offset:         72
        .size:           8
        .value_kind:     hidden_global_offset_x
      - .offset:         80
        .size:           8
        .value_kind:     hidden_global_offset_y
      - .offset:         88
        .size:           8
        .value_kind:     hidden_global_offset_z
      - .offset:         96
        .size:           2
        .value_kind:     hidden_grid_dims
    .group_segment_fixed_size: 128
    .kernarg_segment_align: 8
    .kernarg_segment_size: 288
    .language:       OpenCL C
    .language_version:
      - 2
      - 0
    .max_flat_workgroup_size: 128
    .name:           _ZL25flash_attn_mask_to_KV_maxILi32EEvPK7__half2Piiii
    .private_segment_fixed_size: 0
    .sgpr_count:     78
    .sgpr_spill_count: 0
    .symbol:         _ZL25flash_attn_mask_to_KV_maxILi32EEvPK7__half2Piiii.kd
    .uniform_work_group_size: 1
    .uses_dynamic_stack: false
    .vgpr_count:     9
    .vgpr_spill_count: 0
    .wavefront_size: 32
    .workgroup_processor_mode: 1
  - .args:
      - .address_space:  global
        .offset:         0
        .size:           8
        .value_kind:     global_buffer
      - .address_space:  global
        .offset:         8
        .size:           8
        .value_kind:     global_buffer
      - .offset:         16
        .size:           4
        .value_kind:     by_value
      - .offset:         20
        .size:           4
        .value_kind:     by_value
      - .offset:         24
        .size:           4
        .value_kind:     by_value
      - .offset:         28
        .size:           4
        .value_kind:     by_value
      - .offset:         32
        .size:           4
        .value_kind:     by_value
      - .offset:         36
        .size:           4
        .value_kind:     by_value
      - .offset:         40
        .size:           12
        .value_kind:     by_value
      - .offset:         52
        .size:           12
        .value_kind:     by_value
      - .offset:         64
        .size:           12
        .value_kind:     by_value
    .group_segment_fixed_size: 0
    .kernarg_segment_align: 8
    .kernarg_segment_size: 76
    .language:       OpenCL C
    .language_version:
      - 2
      - 0
    .max_flat_workgroup_size: 40
    .name:           _ZL33flash_attn_stream_k_fixup_uniformILi40ELi32ELi2EEvPfPK15HIP_vector_typeIfLj2EEiiiiiiS1_IjLj3EES5_S5_
    .private_segment_fixed_size: 0
    .sgpr_count:     22
    .sgpr_spill_count: 0
    .symbol:         _ZL33flash_attn_stream_k_fixup_uniformILi40ELi32ELi2EEvPfPK15HIP_vector_typeIfLj2EEiiiiiiS1_IjLj3EES5_S5_.kd
    .uniform_work_group_size: 1
    .uses_dynamic_stack: false
    .vgpr_count:     15
    .vgpr_spill_count: 0
    .wavefront_size: 32
    .workgroup_processor_mode: 1
  - .args:
      - .address_space:  global
        .offset:         0
        .size:           8
        .value_kind:     global_buffer
      - .address_space:  global
        .offset:         8
        .size:           8
        .value_kind:     global_buffer
      - .offset:         16
        .size:           4
        .value_kind:     by_value
      - .offset:         20
        .size:           4
        .value_kind:     by_value
      - .offset:         24
        .size:           4
        .value_kind:     by_value
      - .offset:         28
        .size:           4
        .value_kind:     by_value
      - .offset:         32
        .size:           12
        .value_kind:     by_value
      - .offset:         44
        .size:           12
        .value_kind:     by_value
      - .offset:         56
        .size:           12
        .value_kind:     by_value
      - .offset:         68
        .size:           12
        .value_kind:     by_value
      - .offset:         80
        .size:           4
        .value_kind:     hidden_block_count_x
      - .offset:         84
        .size:           4
        .value_kind:     hidden_block_count_y
      - .offset:         88
        .size:           4
        .value_kind:     hidden_block_count_z
      - .offset:         92
        .size:           2
        .value_kind:     hidden_group_size_x
      - .offset:         94
        .size:           2
        .value_kind:     hidden_group_size_y
      - .offset:         96
        .size:           2
        .value_kind:     hidden_group_size_z
      - .offset:         98
        .size:           2
        .value_kind:     hidden_remainder_x
      - .offset:         100
        .size:           2
        .value_kind:     hidden_remainder_y
      - .offset:         102
        .size:           2
        .value_kind:     hidden_remainder_z
      - .offset:         120
        .size:           8
        .value_kind:     hidden_global_offset_x
      - .offset:         128
        .size:           8
        .value_kind:     hidden_global_offset_y
      - .offset:         136
        .size:           8
        .value_kind:     hidden_global_offset_z
      - .offset:         144
        .size:           2
        .value_kind:     hidden_grid_dims
    .group_segment_fixed_size: 0
    .kernarg_segment_align: 8
    .kernarg_segment_size: 336
    .language:       OpenCL C
    .language_version:
      - 2
      - 0
    .max_flat_workgroup_size: 40
    .name:           _ZL33flash_attn_stream_k_fixup_generalILi40ELi32ELi2EEvPfPK15HIP_vector_typeIfLj2EEiiiiS1_IjLj3EES5_S5_S5_
    .private_segment_fixed_size: 0
    .sgpr_count:     34
    .sgpr_spill_count: 0
    .symbol:         _ZL33flash_attn_stream_k_fixup_generalILi40ELi32ELi2EEvPfPK15HIP_vector_typeIfLj2EEiiiiS1_IjLj3EES5_S5_S5_.kd
    .uniform_work_group_size: 1
    .uses_dynamic_stack: false
    .vgpr_count:     19
    .vgpr_spill_count: 0
    .wavefront_size: 32
    .workgroup_processor_mode: 1
  - .args:
      - .address_space:  global
        .offset:         0
        .size:           8
        .value_kind:     global_buffer
      - .address_space:  global
        .offset:         8
        .size:           8
        .value_kind:     global_buffer
      - .address_space:  global
        .offset:         16
        .size:           8
        .value_kind:     global_buffer
      - .address_space:  global
        .offset:         24
        .size:           8
        .value_kind:     global_buffer
      - .address_space:  global
        .offset:         32
        .size:           8
        .value_kind:     global_buffer
      - .address_space:  global
        .offset:         40
        .size:           8
        .value_kind:     global_buffer
      - .address_space:  global
        .offset:         48
        .size:           8
        .value_kind:     global_buffer
      - .address_space:  global
        .offset:         56
        .size:           8
        .value_kind:     global_buffer
      - .offset:         64
        .size:           4
        .value_kind:     by_value
      - .offset:         68
        .size:           4
        .value_kind:     by_value
      - .offset:         72
        .size:           4
        .value_kind:     by_value
      - .offset:         76
        .size:           4
        .value_kind:     by_value
      - .offset:         80
        .size:           4
        .value_kind:     by_value
      - .offset:         84
        .size:           4
        .value_kind:     by_value
      - .offset:         88
        .size:           4
        .value_kind:     by_value
      - .offset:         92
        .size:           12
        .value_kind:     by_value
      - .offset:         104
        .size:           4
        .value_kind:     by_value
      - .offset:         108
        .size:           4
        .value_kind:     by_value
      - .offset:         112
        .size:           4
        .value_kind:     by_value
      - .offset:         116
        .size:           4
        .value_kind:     by_value
      - .offset:         120
        .size:           4
        .value_kind:     by_value
      - .offset:         124
        .size:           4
        .value_kind:     by_value
      - .offset:         128
        .size:           4
        .value_kind:     by_value
      - .offset:         132
        .size:           4
        .value_kind:     by_value
      - .offset:         136
        .size:           4
        .value_kind:     by_value
      - .offset:         140
        .size:           4
        .value_kind:     by_value
      - .offset:         144
        .size:           4
        .value_kind:     by_value
      - .offset:         152
        .size:           8
        .value_kind:     by_value
      - .offset:         160
        .size:           4
        .value_kind:     by_value
      - .offset:         164
        .size:           4
        .value_kind:     by_value
      - .offset:         168
        .size:           8
        .value_kind:     by_value
      - .offset:         176
        .size:           4
        .value_kind:     by_value
      - .offset:         180
        .size:           4
        .value_kind:     by_value
      - .offset:         184
        .size:           4
        .value_kind:     by_value
      - .offset:         188
        .size:           4
        .value_kind:     by_value
      - .offset:         192
        .size:           4
        .value_kind:     by_value
      - .offset:         200
        .size:           8
        .value_kind:     by_value
      - .offset:         208
        .size:           4
        .value_kind:     hidden_block_count_x
      - .offset:         212
        .size:           4
        .value_kind:     hidden_block_count_y
      - .offset:         216
        .size:           4
        .value_kind:     hidden_block_count_z
      - .offset:         220
        .size:           2
        .value_kind:     hidden_group_size_x
      - .offset:         222
        .size:           2
        .value_kind:     hidden_group_size_y
      - .offset:         224
        .size:           2
        .value_kind:     hidden_group_size_z
      - .offset:         226
        .size:           2
        .value_kind:     hidden_remainder_x
      - .offset:         228
        .size:           2
        .value_kind:     hidden_remainder_y
      - .offset:         230
        .size:           2
        .value_kind:     hidden_remainder_z
      - .offset:         248
        .size:           8
        .value_kind:     hidden_global_offset_x
      - .offset:         256
        .size:           8
        .value_kind:     hidden_global_offset_y
      - .offset:         264
        .size:           8
        .value_kind:     hidden_global_offset_z
      - .offset:         272
        .size:           2
        .value_kind:     hidden_grid_dims
    .group_segment_fixed_size: 7776
    .kernarg_segment_align: 8
    .kernarg_segment_size: 464
    .language:       OpenCL C
    .language_version:
      - 2
      - 0
    .max_flat_workgroup_size: 256
    .name:           _ZL15flash_attn_tileILi40ELi40ELi16ELi2ELb0EEvPKcS1_S1_S1_S1_PKiPfP15HIP_vector_typeIfLj2EEffffjfiS5_IjLj3EEiiiiiiiiiiiliiliiiiil
    .private_segment_fixed_size: 0
    .sgpr_count:     50
    .sgpr_spill_count: 0
    .symbol:         _ZL15flash_attn_tileILi40ELi40ELi16ELi2ELb0EEvPKcS1_S1_S1_S1_PKiPfP15HIP_vector_typeIfLj2EEffffjfiS5_IjLj3EEiiiiiiiiiiiliiliiiiil.kd
    .uniform_work_group_size: 1
    .uses_dynamic_stack: false
    .vgpr_count:     72
    .vgpr_spill_count: 0
    .wavefront_size: 32
    .workgroup_processor_mode: 1
  - .args:
      - .address_space:  global
        .offset:         0
        .size:           8
        .value_kind:     global_buffer
      - .address_space:  global
        .offset:         8
        .size:           8
        .value_kind:     global_buffer
      - .offset:         16
        .size:           4
        .value_kind:     by_value
      - .offset:         20
        .size:           4
        .value_kind:     by_value
      - .offset:         24
        .size:           4
        .value_kind:     by_value
      - .offset:         28
        .size:           4
        .value_kind:     by_value
      - .offset:         32
        .size:           4
        .value_kind:     by_value
      - .offset:         36
        .size:           4
        .value_kind:     by_value
      - .offset:         40
        .size:           12
        .value_kind:     by_value
      - .offset:         52
        .size:           12
        .value_kind:     by_value
      - .offset:         64
        .size:           12
        .value_kind:     by_value
    .group_segment_fixed_size: 0
    .kernarg_segment_align: 8
    .kernarg_segment_size: 76
    .language:       OpenCL C
    .language_version:
      - 2
      - 0
    .max_flat_workgroup_size: 40
    .name:           _ZL33flash_attn_stream_k_fixup_uniformILi40ELi16ELi2EEvPfPK15HIP_vector_typeIfLj2EEiiiiiiS1_IjLj3EES5_S5_
    .private_segment_fixed_size: 0
    .sgpr_count:     22
    .sgpr_spill_count: 0
    .symbol:         _ZL33flash_attn_stream_k_fixup_uniformILi40ELi16ELi2EEvPfPK15HIP_vector_typeIfLj2EEiiiiiiS1_IjLj3EES5_S5_.kd
    .uniform_work_group_size: 1
    .uses_dynamic_stack: false
    .vgpr_count:     15
    .vgpr_spill_count: 0
    .wavefront_size: 32
    .workgroup_processor_mode: 1
  - .args:
      - .address_space:  global
        .offset:         0
        .size:           8
        .value_kind:     global_buffer
      - .address_space:  global
        .offset:         8
        .size:           8
        .value_kind:     global_buffer
      - .offset:         16
        .size:           4
        .value_kind:     by_value
      - .offset:         20
        .size:           4
        .value_kind:     by_value
      - .offset:         24
        .size:           4
        .value_kind:     by_value
      - .offset:         28
        .size:           4
        .value_kind:     by_value
      - .offset:         32
        .size:           12
        .value_kind:     by_value
      - .offset:         44
        .size:           12
        .value_kind:     by_value
      - .offset:         56
        .size:           12
        .value_kind:     by_value
      - .offset:         68
        .size:           12
        .value_kind:     by_value
      - .offset:         80
        .size:           4
        .value_kind:     hidden_block_count_x
      - .offset:         84
        .size:           4
        .value_kind:     hidden_block_count_y
      - .offset:         88
        .size:           4
        .value_kind:     hidden_block_count_z
      - .offset:         92
        .size:           2
        .value_kind:     hidden_group_size_x
      - .offset:         94
        .size:           2
        .value_kind:     hidden_group_size_y
      - .offset:         96
        .size:           2
        .value_kind:     hidden_group_size_z
      - .offset:         98
        .size:           2
        .value_kind:     hidden_remainder_x
      - .offset:         100
        .size:           2
        .value_kind:     hidden_remainder_y
      - .offset:         102
        .size:           2
        .value_kind:     hidden_remainder_z
      - .offset:         120
        .size:           8
        .value_kind:     hidden_global_offset_x
      - .offset:         128
        .size:           8
        .value_kind:     hidden_global_offset_y
      - .offset:         136
        .size:           8
        .value_kind:     hidden_global_offset_z
      - .offset:         144
        .size:           2
        .value_kind:     hidden_grid_dims
    .group_segment_fixed_size: 0
    .kernarg_segment_align: 8
    .kernarg_segment_size: 336
    .language:       OpenCL C
    .language_version:
      - 2
      - 0
    .max_flat_workgroup_size: 40
    .name:           _ZL33flash_attn_stream_k_fixup_generalILi40ELi16ELi2EEvPfPK15HIP_vector_typeIfLj2EEiiiiS1_IjLj3EES5_S5_S5_
    .private_segment_fixed_size: 0
    .sgpr_count:     34
    .sgpr_spill_count: 0
    .symbol:         _ZL33flash_attn_stream_k_fixup_generalILi40ELi16ELi2EEvPfPK15HIP_vector_typeIfLj2EEiiiiS1_IjLj3EES5_S5_S5_.kd
    .uniform_work_group_size: 1
    .uses_dynamic_stack: false
    .vgpr_count:     19
    .vgpr_spill_count: 0
    .wavefront_size: 32
    .workgroup_processor_mode: 1
  - .args:
      - .address_space:  global
        .offset:         0
        .size:           8
        .value_kind:     global_buffer
      - .address_space:  global
        .offset:         8
        .size:           8
        .value_kind:     global_buffer
      - .address_space:  global
        .offset:         16
        .size:           8
        .value_kind:     global_buffer
      - .address_space:  global
        .offset:         24
        .size:           8
        .value_kind:     global_buffer
      - .address_space:  global
        .offset:         32
        .size:           8
        .value_kind:     global_buffer
      - .address_space:  global
        .offset:         40
        .size:           8
        .value_kind:     global_buffer
      - .address_space:  global
        .offset:         48
        .size:           8
        .value_kind:     global_buffer
      - .address_space:  global
        .offset:         56
        .size:           8
        .value_kind:     global_buffer
      - .offset:         64
        .size:           4
        .value_kind:     by_value
      - .offset:         68
        .size:           4
        .value_kind:     by_value
      - .offset:         72
        .size:           4
        .value_kind:     by_value
      - .offset:         76
        .size:           4
        .value_kind:     by_value
      - .offset:         80
        .size:           4
        .value_kind:     by_value
      - .offset:         84
        .size:           4
        .value_kind:     by_value
      - .offset:         88
        .size:           4
        .value_kind:     by_value
      - .offset:         92
        .size:           12
        .value_kind:     by_value
      - .offset:         104
        .size:           4
        .value_kind:     by_value
      - .offset:         108
        .size:           4
        .value_kind:     by_value
      - .offset:         112
        .size:           4
        .value_kind:     by_value
      - .offset:         116
        .size:           4
        .value_kind:     by_value
      - .offset:         120
        .size:           4
        .value_kind:     by_value
      - .offset:         124
        .size:           4
        .value_kind:     by_value
      - .offset:         128
        .size:           4
        .value_kind:     by_value
      - .offset:         132
        .size:           4
        .value_kind:     by_value
      - .offset:         136
        .size:           4
        .value_kind:     by_value
      - .offset:         140
        .size:           4
        .value_kind:     by_value
      - .offset:         144
        .size:           4
        .value_kind:     by_value
      - .offset:         152
        .size:           8
        .value_kind:     by_value
      - .offset:         160
        .size:           4
        .value_kind:     by_value
      - .offset:         164
        .size:           4
        .value_kind:     by_value
      - .offset:         168
        .size:           8
        .value_kind:     by_value
      - .offset:         176
        .size:           4
        .value_kind:     by_value
      - .offset:         180
        .size:           4
        .value_kind:     by_value
      - .offset:         184
        .size:           4
        .value_kind:     by_value
      - .offset:         188
        .size:           4
        .value_kind:     by_value
      - .offset:         192
        .size:           4
        .value_kind:     by_value
      - .offset:         200
        .size:           8
        .value_kind:     by_value
      - .offset:         208
        .size:           4
        .value_kind:     hidden_block_count_x
      - .offset:         212
        .size:           4
        .value_kind:     hidden_block_count_y
      - .offset:         216
        .size:           4
        .value_kind:     hidden_block_count_z
      - .offset:         220
        .size:           2
        .value_kind:     hidden_group_size_x
      - .offset:         222
        .size:           2
        .value_kind:     hidden_group_size_y
      - .offset:         224
        .size:           2
        .value_kind:     hidden_group_size_z
      - .offset:         226
        .size:           2
        .value_kind:     hidden_remainder_x
      - .offset:         228
        .size:           2
        .value_kind:     hidden_remainder_y
      - .offset:         230
        .size:           2
        .value_kind:     hidden_remainder_z
      - .offset:         248
        .size:           8
        .value_kind:     hidden_global_offset_x
      - .offset:         256
        .size:           8
        .value_kind:     hidden_global_offset_y
      - .offset:         264
        .size:           8
        .value_kind:     hidden_global_offset_z
      - .offset:         272
        .size:           2
        .value_kind:     hidden_grid_dims
    .group_segment_fixed_size: 5472
    .kernarg_segment_align: 8
    .kernarg_segment_size: 464
    .language:       OpenCL C
    .language_version:
      - 2
      - 0
    .max_flat_workgroup_size: 256
    .name:           _ZL15flash_attn_tileILi40ELi40ELi8ELi2ELb0EEvPKcS1_S1_S1_S1_PKiPfP15HIP_vector_typeIfLj2EEffffjfiS5_IjLj3EEiiiiiiiiiiiliiliiiiil
    .private_segment_fixed_size: 0
    .sgpr_count:     46
    .sgpr_spill_count: 0
    .symbol:         _ZL15flash_attn_tileILi40ELi40ELi8ELi2ELb0EEvPKcS1_S1_S1_S1_PKiPfP15HIP_vector_typeIfLj2EEffffjfiS5_IjLj3EEiiiiiiiiiiiliiliiiiil.kd
    .uniform_work_group_size: 1
    .uses_dynamic_stack: false
    .vgpr_count:     56
    .vgpr_spill_count: 0
    .wavefront_size: 32
    .workgroup_processor_mode: 1
  - .args:
      - .address_space:  global
        .offset:         0
        .size:           8
        .value_kind:     global_buffer
      - .address_space:  global
        .offset:         8
        .size:           8
        .value_kind:     global_buffer
      - .offset:         16
        .size:           4
        .value_kind:     by_value
      - .offset:         20
        .size:           4
        .value_kind:     by_value
      - .offset:         24
        .size:           4
        .value_kind:     by_value
      - .offset:         28
        .size:           4
        .value_kind:     by_value
      - .offset:         32
        .size:           4
        .value_kind:     by_value
      - .offset:         36
        .size:           4
        .value_kind:     by_value
      - .offset:         40
        .size:           12
        .value_kind:     by_value
      - .offset:         52
        .size:           12
        .value_kind:     by_value
      - .offset:         64
        .size:           12
        .value_kind:     by_value
    .group_segment_fixed_size: 0
    .kernarg_segment_align: 8
    .kernarg_segment_size: 76
    .language:       OpenCL C
    .language_version:
      - 2
      - 0
    .max_flat_workgroup_size: 40
    .name:           _ZL33flash_attn_stream_k_fixup_uniformILi40ELi8ELi2EEvPfPK15HIP_vector_typeIfLj2EEiiiiiiS1_IjLj3EES5_S5_
    .private_segment_fixed_size: 0
    .sgpr_count:     22
    .sgpr_spill_count: 0
    .symbol:         _ZL33flash_attn_stream_k_fixup_uniformILi40ELi8ELi2EEvPfPK15HIP_vector_typeIfLj2EEiiiiiiS1_IjLj3EES5_S5_.kd
    .uniform_work_group_size: 1
    .uses_dynamic_stack: false
    .vgpr_count:     15
    .vgpr_spill_count: 0
    .wavefront_size: 32
    .workgroup_processor_mode: 1
  - .args:
      - .address_space:  global
        .offset:         0
        .size:           8
        .value_kind:     global_buffer
      - .address_space:  global
        .offset:         8
        .size:           8
        .value_kind:     global_buffer
      - .offset:         16
        .size:           4
        .value_kind:     by_value
      - .offset:         20
        .size:           4
        .value_kind:     by_value
      - .offset:         24
        .size:           4
        .value_kind:     by_value
      - .offset:         28
        .size:           4
        .value_kind:     by_value
      - .offset:         32
        .size:           12
        .value_kind:     by_value
      - .offset:         44
        .size:           12
        .value_kind:     by_value
      - .offset:         56
        .size:           12
        .value_kind:     by_value
      - .offset:         68
        .size:           12
        .value_kind:     by_value
      - .offset:         80
        .size:           4
        .value_kind:     hidden_block_count_x
      - .offset:         84
        .size:           4
        .value_kind:     hidden_block_count_y
      - .offset:         88
        .size:           4
        .value_kind:     hidden_block_count_z
      - .offset:         92
        .size:           2
        .value_kind:     hidden_group_size_x
      - .offset:         94
        .size:           2
        .value_kind:     hidden_group_size_y
      - .offset:         96
        .size:           2
        .value_kind:     hidden_group_size_z
      - .offset:         98
        .size:           2
        .value_kind:     hidden_remainder_x
      - .offset:         100
        .size:           2
        .value_kind:     hidden_remainder_y
      - .offset:         102
        .size:           2
        .value_kind:     hidden_remainder_z
      - .offset:         120
        .size:           8
        .value_kind:     hidden_global_offset_x
      - .offset:         128
        .size:           8
        .value_kind:     hidden_global_offset_y
      - .offset:         136
        .size:           8
        .value_kind:     hidden_global_offset_z
      - .offset:         144
        .size:           2
        .value_kind:     hidden_grid_dims
    .group_segment_fixed_size: 0
    .kernarg_segment_align: 8
    .kernarg_segment_size: 336
    .language:       OpenCL C
    .language_version:
      - 2
      - 0
    .max_flat_workgroup_size: 40
    .name:           _ZL33flash_attn_stream_k_fixup_generalILi40ELi8ELi2EEvPfPK15HIP_vector_typeIfLj2EEiiiiS1_IjLj3EES5_S5_S5_
    .private_segment_fixed_size: 0
    .sgpr_count:     34
    .sgpr_spill_count: 0
    .symbol:         _ZL33flash_attn_stream_k_fixup_generalILi40ELi8ELi2EEvPfPK15HIP_vector_typeIfLj2EEiiiiS1_IjLj3EES5_S5_S5_.kd
    .uniform_work_group_size: 1
    .uses_dynamic_stack: false
    .vgpr_count:     19
    .vgpr_spill_count: 0
    .wavefront_size: 32
    .workgroup_processor_mode: 1
  - .args:
      - .address_space:  global
        .offset:         0
        .size:           8
        .value_kind:     global_buffer
      - .address_space:  global
        .offset:         8
        .size:           8
        .value_kind:     global_buffer
      - .address_space:  global
        .offset:         16
        .size:           8
        .value_kind:     global_buffer
      - .address_space:  global
        .offset:         24
        .size:           8
        .value_kind:     global_buffer
      - .address_space:  global
        .offset:         32
        .size:           8
        .value_kind:     global_buffer
      - .address_space:  global
        .offset:         40
        .size:           8
        .value_kind:     global_buffer
      - .address_space:  global
        .offset:         48
        .size:           8
        .value_kind:     global_buffer
      - .address_space:  global
        .offset:         56
        .size:           8
        .value_kind:     global_buffer
      - .offset:         64
        .size:           4
        .value_kind:     by_value
      - .offset:         68
        .size:           4
        .value_kind:     by_value
      - .offset:         72
        .size:           4
        .value_kind:     by_value
      - .offset:         76
        .size:           4
        .value_kind:     by_value
      - .offset:         80
        .size:           4
        .value_kind:     by_value
      - .offset:         84
        .size:           4
        .value_kind:     by_value
      - .offset:         88
        .size:           4
        .value_kind:     by_value
      - .offset:         92
        .size:           12
        .value_kind:     by_value
      - .offset:         104
        .size:           4
        .value_kind:     by_value
      - .offset:         108
        .size:           4
        .value_kind:     by_value
      - .offset:         112
        .size:           4
        .value_kind:     by_value
      - .offset:         116
        .size:           4
        .value_kind:     by_value
      - .offset:         120
        .size:           4
        .value_kind:     by_value
      - .offset:         124
        .size:           4
        .value_kind:     by_value
      - .offset:         128
        .size:           4
        .value_kind:     by_value
      - .offset:         132
        .size:           4
        .value_kind:     by_value
      - .offset:         136
        .size:           4
        .value_kind:     by_value
      - .offset:         140
        .size:           4
        .value_kind:     by_value
      - .offset:         144
        .size:           4
        .value_kind:     by_value
      - .offset:         152
        .size:           8
        .value_kind:     by_value
      - .offset:         160
        .size:           4
        .value_kind:     by_value
      - .offset:         164
        .size:           4
        .value_kind:     by_value
      - .offset:         168
        .size:           8
        .value_kind:     by_value
      - .offset:         176
        .size:           4
        .value_kind:     by_value
      - .offset:         180
        .size:           4
        .value_kind:     by_value
      - .offset:         184
        .size:           4
        .value_kind:     by_value
      - .offset:         188
        .size:           4
        .value_kind:     by_value
      - .offset:         192
        .size:           4
        .value_kind:     by_value
      - .offset:         200
        .size:           8
        .value_kind:     by_value
      - .offset:         208
        .size:           4
        .value_kind:     hidden_block_count_x
      - .offset:         212
        .size:           4
        .value_kind:     hidden_block_count_y
      - .offset:         216
        .size:           4
        .value_kind:     hidden_block_count_z
      - .offset:         220
        .size:           2
        .value_kind:     hidden_group_size_x
      - .offset:         222
        .size:           2
        .value_kind:     hidden_group_size_y
      - .offset:         224
        .size:           2
        .value_kind:     hidden_group_size_z
      - .offset:         226
        .size:           2
        .value_kind:     hidden_remainder_x
      - .offset:         228
        .size:           2
        .value_kind:     hidden_remainder_y
      - .offset:         230
        .size:           2
        .value_kind:     hidden_remainder_z
      - .offset:         248
        .size:           8
        .value_kind:     hidden_global_offset_x
      - .offset:         256
        .size:           8
        .value_kind:     hidden_global_offset_y
      - .offset:         264
        .size:           8
        .value_kind:     hidden_global_offset_z
      - .offset:         272
        .size:           2
        .value_kind:     hidden_grid_dims
    .group_segment_fixed_size: 4320
    .kernarg_segment_align: 8
    .kernarg_segment_size: 464
    .language:       OpenCL C
    .language_version:
      - 2
      - 0
    .max_flat_workgroup_size: 256
    .name:           _ZL15flash_attn_tileILi40ELi40ELi4ELi2ELb0EEvPKcS1_S1_S1_S1_PKiPfP15HIP_vector_typeIfLj2EEffffjfiS5_IjLj3EEiiiiiiiiiiiliiliiiiil
    .private_segment_fixed_size: 0
    .sgpr_count:     44
    .sgpr_spill_count: 0
    .symbol:         _ZL15flash_attn_tileILi40ELi40ELi4ELi2ELb0EEvPKcS1_S1_S1_S1_PKiPfP15HIP_vector_typeIfLj2EEffffjfiS5_IjLj3EEiiiiiiiiiiiliiliiiiil.kd
    .uniform_work_group_size: 1
    .uses_dynamic_stack: false
    .vgpr_count:     49
    .vgpr_spill_count: 0
    .wavefront_size: 32
    .workgroup_processor_mode: 1
  - .args:
      - .address_space:  global
        .offset:         0
        .size:           8
        .value_kind:     global_buffer
      - .address_space:  global
        .offset:         8
        .size:           8
        .value_kind:     global_buffer
      - .offset:         16
        .size:           4
        .value_kind:     by_value
      - .offset:         20
        .size:           4
        .value_kind:     by_value
      - .offset:         24
        .size:           4
        .value_kind:     by_value
      - .offset:         28
        .size:           4
        .value_kind:     by_value
      - .offset:         32
        .size:           4
        .value_kind:     by_value
      - .offset:         36
        .size:           4
        .value_kind:     by_value
      - .offset:         40
        .size:           12
        .value_kind:     by_value
      - .offset:         52
        .size:           12
        .value_kind:     by_value
      - .offset:         64
        .size:           12
        .value_kind:     by_value
    .group_segment_fixed_size: 0
    .kernarg_segment_align: 8
    .kernarg_segment_size: 76
    .language:       OpenCL C
    .language_version:
      - 2
      - 0
    .max_flat_workgroup_size: 40
    .name:           _ZL33flash_attn_stream_k_fixup_uniformILi40ELi4ELi2EEvPfPK15HIP_vector_typeIfLj2EEiiiiiiS1_IjLj3EES5_S5_
    .private_segment_fixed_size: 0
    .sgpr_count:     22
    .sgpr_spill_count: 0
    .symbol:         _ZL33flash_attn_stream_k_fixup_uniformILi40ELi4ELi2EEvPfPK15HIP_vector_typeIfLj2EEiiiiiiS1_IjLj3EES5_S5_.kd
    .uniform_work_group_size: 1
    .uses_dynamic_stack: false
    .vgpr_count:     15
    .vgpr_spill_count: 0
    .wavefront_size: 32
    .workgroup_processor_mode: 1
  - .args:
      - .address_space:  global
        .offset:         0
        .size:           8
        .value_kind:     global_buffer
      - .address_space:  global
        .offset:         8
        .size:           8
        .value_kind:     global_buffer
      - .offset:         16
        .size:           4
        .value_kind:     by_value
      - .offset:         20
        .size:           4
        .value_kind:     by_value
      - .offset:         24
        .size:           4
        .value_kind:     by_value
      - .offset:         28
        .size:           4
        .value_kind:     by_value
      - .offset:         32
        .size:           12
        .value_kind:     by_value
      - .offset:         44
        .size:           12
        .value_kind:     by_value
      - .offset:         56
        .size:           12
        .value_kind:     by_value
      - .offset:         68
        .size:           12
        .value_kind:     by_value
      - .offset:         80
        .size:           4
        .value_kind:     hidden_block_count_x
      - .offset:         84
        .size:           4
        .value_kind:     hidden_block_count_y
      - .offset:         88
        .size:           4
        .value_kind:     hidden_block_count_z
      - .offset:         92
        .size:           2
        .value_kind:     hidden_group_size_x
      - .offset:         94
        .size:           2
        .value_kind:     hidden_group_size_y
      - .offset:         96
        .size:           2
        .value_kind:     hidden_group_size_z
      - .offset:         98
        .size:           2
        .value_kind:     hidden_remainder_x
      - .offset:         100
        .size:           2
        .value_kind:     hidden_remainder_y
      - .offset:         102
        .size:           2
        .value_kind:     hidden_remainder_z
      - .offset:         120
        .size:           8
        .value_kind:     hidden_global_offset_x
      - .offset:         128
        .size:           8
        .value_kind:     hidden_global_offset_y
      - .offset:         136
        .size:           8
        .value_kind:     hidden_global_offset_z
      - .offset:         144
        .size:           2
        .value_kind:     hidden_grid_dims
    .group_segment_fixed_size: 0
    .kernarg_segment_align: 8
    .kernarg_segment_size: 336
    .language:       OpenCL C
    .language_version:
      - 2
      - 0
    .max_flat_workgroup_size: 40
    .name:           _ZL33flash_attn_stream_k_fixup_generalILi40ELi4ELi2EEvPfPK15HIP_vector_typeIfLj2EEiiiiS1_IjLj3EES5_S5_S5_
    .private_segment_fixed_size: 0
    .sgpr_count:     34
    .sgpr_spill_count: 0
    .symbol:         _ZL33flash_attn_stream_k_fixup_generalILi40ELi4ELi2EEvPfPK15HIP_vector_typeIfLj2EEiiiiS1_IjLj3EES5_S5_S5_.kd
    .uniform_work_group_size: 1
    .uses_dynamic_stack: false
    .vgpr_count:     19
    .vgpr_spill_count: 0
    .wavefront_size: 32
    .workgroup_processor_mode: 1
  - .args:
      - .address_space:  global
        .offset:         0
        .size:           8
        .value_kind:     global_buffer
      - .address_space:  global
        .offset:         8
        .size:           8
        .value_kind:     global_buffer
      - .address_space:  global
        .offset:         16
        .size:           8
        .value_kind:     global_buffer
      - .address_space:  global
        .offset:         24
        .size:           8
        .value_kind:     global_buffer
      - .address_space:  global
        .offset:         32
        .size:           8
        .value_kind:     global_buffer
      - .address_space:  global
        .offset:         40
        .size:           8
        .value_kind:     global_buffer
      - .address_space:  global
        .offset:         48
        .size:           8
        .value_kind:     global_buffer
      - .address_space:  global
        .offset:         56
        .size:           8
        .value_kind:     global_buffer
      - .offset:         64
        .size:           4
        .value_kind:     by_value
      - .offset:         68
        .size:           4
        .value_kind:     by_value
      - .offset:         72
        .size:           4
        .value_kind:     by_value
      - .offset:         76
        .size:           4
        .value_kind:     by_value
      - .offset:         80
        .size:           4
        .value_kind:     by_value
      - .offset:         84
        .size:           4
        .value_kind:     by_value
      - .offset:         88
        .size:           4
        .value_kind:     by_value
      - .offset:         92
        .size:           12
        .value_kind:     by_value
      - .offset:         104
        .size:           4
        .value_kind:     by_value
      - .offset:         108
        .size:           4
        .value_kind:     by_value
      - .offset:         112
        .size:           4
        .value_kind:     by_value
      - .offset:         116
        .size:           4
        .value_kind:     by_value
      - .offset:         120
        .size:           4
        .value_kind:     by_value
      - .offset:         124
        .size:           4
        .value_kind:     by_value
      - .offset:         128
        .size:           4
        .value_kind:     by_value
      - .offset:         132
        .size:           4
        .value_kind:     by_value
      - .offset:         136
        .size:           4
        .value_kind:     by_value
      - .offset:         140
        .size:           4
        .value_kind:     by_value
      - .offset:         144
        .size:           4
        .value_kind:     by_value
      - .offset:         152
        .size:           8
        .value_kind:     by_value
      - .offset:         160
        .size:           4
        .value_kind:     by_value
      - .offset:         164
        .size:           4
        .value_kind:     by_value
      - .offset:         168
        .size:           8
        .value_kind:     by_value
      - .offset:         176
        .size:           4
        .value_kind:     by_value
      - .offset:         180
        .size:           4
        .value_kind:     by_value
      - .offset:         184
        .size:           4
        .value_kind:     by_value
      - .offset:         188
        .size:           4
        .value_kind:     by_value
      - .offset:         192
        .size:           4
        .value_kind:     by_value
      - .offset:         200
        .size:           8
        .value_kind:     by_value
      - .offset:         208
        .size:           4
        .value_kind:     hidden_block_count_x
      - .offset:         212
        .size:           4
        .value_kind:     hidden_block_count_y
      - .offset:         216
        .size:           4
        .value_kind:     hidden_block_count_z
      - .offset:         220
        .size:           2
        .value_kind:     hidden_group_size_x
      - .offset:         222
        .size:           2
        .value_kind:     hidden_group_size_y
      - .offset:         224
        .size:           2
        .value_kind:     hidden_group_size_z
      - .offset:         226
        .size:           2
        .value_kind:     hidden_remainder_x
      - .offset:         228
        .size:           2
        .value_kind:     hidden_remainder_y
      - .offset:         230
        .size:           2
        .value_kind:     hidden_remainder_z
      - .offset:         248
        .size:           8
        .value_kind:     hidden_global_offset_x
      - .offset:         256
        .size:           8
        .value_kind:     hidden_global_offset_y
      - .offset:         264
        .size:           8
        .value_kind:     hidden_global_offset_z
      - .offset:         272
        .size:           2
        .value_kind:     hidden_grid_dims
    .group_segment_fixed_size: 3744
    .kernarg_segment_align: 8
    .kernarg_segment_size: 464
    .language:       OpenCL C
    .language_version:
      - 2
      - 0
    .max_flat_workgroup_size: 128
    .name:           _ZL15flash_attn_tileILi40ELi40ELi2ELi2ELb0EEvPKcS1_S1_S1_S1_PKiPfP15HIP_vector_typeIfLj2EEffffjfiS5_IjLj3EEiiiiiiiiiiiliiliiiiil
    .private_segment_fixed_size: 0
    .sgpr_count:     44
    .sgpr_spill_count: 0
    .symbol:         _ZL15flash_attn_tileILi40ELi40ELi2ELi2ELb0EEvPKcS1_S1_S1_S1_PKiPfP15HIP_vector_typeIfLj2EEffffjfiS5_IjLj3EEiiiiiiiiiiiliiliiiiil.kd
    .uniform_work_group_size: 1
    .uses_dynamic_stack: false
    .vgpr_count:     49
    .vgpr_spill_count: 0
    .wavefront_size: 32
    .workgroup_processor_mode: 1
  - .args:
      - .address_space:  global
        .offset:         0
        .size:           8
        .value_kind:     global_buffer
      - .address_space:  global
        .offset:         8
        .size:           8
        .value_kind:     global_buffer
      - .offset:         16
        .size:           4
        .value_kind:     by_value
      - .offset:         20
        .size:           4
        .value_kind:     by_value
      - .offset:         24
        .size:           4
        .value_kind:     by_value
      - .offset:         28
        .size:           4
        .value_kind:     by_value
      - .offset:         32
        .size:           4
        .value_kind:     by_value
      - .offset:         36
        .size:           4
        .value_kind:     by_value
      - .offset:         40
        .size:           12
        .value_kind:     by_value
      - .offset:         52
        .size:           12
        .value_kind:     by_value
      - .offset:         64
        .size:           12
        .value_kind:     by_value
    .group_segment_fixed_size: 0
    .kernarg_segment_align: 8
    .kernarg_segment_size: 76
    .language:       OpenCL C
    .language_version:
      - 2
      - 0
    .max_flat_workgroup_size: 40
    .name:           _ZL33flash_attn_stream_k_fixup_uniformILi40ELi2ELi2EEvPfPK15HIP_vector_typeIfLj2EEiiiiiiS1_IjLj3EES5_S5_
    .private_segment_fixed_size: 0
    .sgpr_count:     22
    .sgpr_spill_count: 0
    .symbol:         _ZL33flash_attn_stream_k_fixup_uniformILi40ELi2ELi2EEvPfPK15HIP_vector_typeIfLj2EEiiiiiiS1_IjLj3EES5_S5_.kd
    .uniform_work_group_size: 1
    .uses_dynamic_stack: false
    .vgpr_count:     15
    .vgpr_spill_count: 0
    .wavefront_size: 32
    .workgroup_processor_mode: 1
  - .args:
      - .address_space:  global
        .offset:         0
        .size:           8
        .value_kind:     global_buffer
      - .address_space:  global
        .offset:         8
        .size:           8
        .value_kind:     global_buffer
      - .offset:         16
        .size:           4
        .value_kind:     by_value
      - .offset:         20
        .size:           4
        .value_kind:     by_value
      - .offset:         24
        .size:           4
        .value_kind:     by_value
      - .offset:         28
        .size:           4
        .value_kind:     by_value
      - .offset:         32
        .size:           12
        .value_kind:     by_value
      - .offset:         44
        .size:           12
        .value_kind:     by_value
      - .offset:         56
        .size:           12
        .value_kind:     by_value
      - .offset:         68
        .size:           12
        .value_kind:     by_value
      - .offset:         80
        .size:           4
        .value_kind:     hidden_block_count_x
      - .offset:         84
        .size:           4
        .value_kind:     hidden_block_count_y
      - .offset:         88
        .size:           4
        .value_kind:     hidden_block_count_z
      - .offset:         92
        .size:           2
        .value_kind:     hidden_group_size_x
      - .offset:         94
        .size:           2
        .value_kind:     hidden_group_size_y
      - .offset:         96
        .size:           2
        .value_kind:     hidden_group_size_z
      - .offset:         98
        .size:           2
        .value_kind:     hidden_remainder_x
      - .offset:         100
        .size:           2
        .value_kind:     hidden_remainder_y
      - .offset:         102
        .size:           2
        .value_kind:     hidden_remainder_z
      - .offset:         120
        .size:           8
        .value_kind:     hidden_global_offset_x
      - .offset:         128
        .size:           8
        .value_kind:     hidden_global_offset_y
      - .offset:         136
        .size:           8
        .value_kind:     hidden_global_offset_z
      - .offset:         144
        .size:           2
        .value_kind:     hidden_grid_dims
    .group_segment_fixed_size: 0
    .kernarg_segment_align: 8
    .kernarg_segment_size: 336
    .language:       OpenCL C
    .language_version:
      - 2
      - 0
    .max_flat_workgroup_size: 40
    .name:           _ZL33flash_attn_stream_k_fixup_generalILi40ELi2ELi2EEvPfPK15HIP_vector_typeIfLj2EEiiiiS1_IjLj3EES5_S5_S5_
    .private_segment_fixed_size: 0
    .sgpr_count:     34
    .sgpr_spill_count: 0
    .symbol:         _ZL33flash_attn_stream_k_fixup_generalILi40ELi2ELi2EEvPfPK15HIP_vector_typeIfLj2EEiiiiS1_IjLj3EES5_S5_S5_.kd
    .uniform_work_group_size: 1
    .uses_dynamic_stack: false
    .vgpr_count:     19
    .vgpr_spill_count: 0
    .wavefront_size: 32
    .workgroup_processor_mode: 1
  - .args:
      - .address_space:  global
        .offset:         0
        .size:           8
        .value_kind:     global_buffer
      - .address_space:  global
        .offset:         8
        .size:           8
        .value_kind:     global_buffer
      - .address_space:  global
        .offset:         16
        .size:           8
        .value_kind:     global_buffer
      - .address_space:  global
        .offset:         24
        .size:           8
        .value_kind:     global_buffer
      - .address_space:  global
        .offset:         32
        .size:           8
        .value_kind:     global_buffer
      - .address_space:  global
        .offset:         40
        .size:           8
        .value_kind:     global_buffer
      - .address_space:  global
        .offset:         48
        .size:           8
        .value_kind:     global_buffer
      - .address_space:  global
        .offset:         56
        .size:           8
        .value_kind:     global_buffer
      - .offset:         64
        .size:           4
        .value_kind:     by_value
      - .offset:         68
        .size:           4
        .value_kind:     by_value
      - .offset:         72
        .size:           4
        .value_kind:     by_value
      - .offset:         76
        .size:           4
        .value_kind:     by_value
      - .offset:         80
        .size:           4
        .value_kind:     by_value
      - .offset:         84
        .size:           4
        .value_kind:     by_value
      - .offset:         88
        .size:           4
        .value_kind:     by_value
      - .offset:         92
        .size:           12
        .value_kind:     by_value
      - .offset:         104
        .size:           4
        .value_kind:     by_value
      - .offset:         108
        .size:           4
        .value_kind:     by_value
      - .offset:         112
        .size:           4
        .value_kind:     by_value
      - .offset:         116
        .size:           4
        .value_kind:     by_value
      - .offset:         120
        .size:           4
        .value_kind:     by_value
      - .offset:         124
        .size:           4
        .value_kind:     by_value
      - .offset:         128
        .size:           4
        .value_kind:     by_value
      - .offset:         132
        .size:           4
        .value_kind:     by_value
      - .offset:         136
        .size:           4
        .value_kind:     by_value
      - .offset:         140
        .size:           4
        .value_kind:     by_value
      - .offset:         144
        .size:           4
        .value_kind:     by_value
      - .offset:         152
        .size:           8
        .value_kind:     by_value
      - .offset:         160
        .size:           4
        .value_kind:     by_value
      - .offset:         164
        .size:           4
        .value_kind:     by_value
      - .offset:         168
        .size:           8
        .value_kind:     by_value
      - .offset:         176
        .size:           4
        .value_kind:     by_value
      - .offset:         180
        .size:           4
        .value_kind:     by_value
      - .offset:         184
        .size:           4
        .value_kind:     by_value
      - .offset:         188
        .size:           4
        .value_kind:     by_value
      - .offset:         192
        .size:           4
        .value_kind:     by_value
      - .offset:         200
        .size:           8
        .value_kind:     by_value
      - .offset:         208
        .size:           4
        .value_kind:     hidden_block_count_x
      - .offset:         212
        .size:           4
        .value_kind:     hidden_block_count_y
      - .offset:         216
        .size:           4
        .value_kind:     hidden_block_count_z
      - .offset:         220
        .size:           2
        .value_kind:     hidden_group_size_x
      - .offset:         222
        .size:           2
        .value_kind:     hidden_group_size_y
      - .offset:         224
        .size:           2
        .value_kind:     hidden_group_size_z
      - .offset:         226
        .size:           2
        .value_kind:     hidden_remainder_x
      - .offset:         228
        .size:           2
        .value_kind:     hidden_remainder_y
      - .offset:         230
        .size:           2
        .value_kind:     hidden_remainder_z
      - .offset:         248
        .size:           8
        .value_kind:     hidden_global_offset_x
      - .offset:         256
        .size:           8
        .value_kind:     hidden_global_offset_y
      - .offset:         264
        .size:           8
        .value_kind:     hidden_global_offset_z
      - .offset:         272
        .size:           2
        .value_kind:     hidden_grid_dims
    .group_segment_fixed_size: 3456
    .kernarg_segment_align: 8
    .kernarg_segment_size: 464
    .language:       OpenCL C
    .language_version:
      - 2
      - 0
    .max_flat_workgroup_size: 64
    .name:           _ZL15flash_attn_tileILi40ELi40ELi1ELi2ELb0EEvPKcS1_S1_S1_S1_PKiPfP15HIP_vector_typeIfLj2EEffffjfiS5_IjLj3EEiiiiiiiiiiiliiliiiiil
    .private_segment_fixed_size: 0
    .sgpr_count:     45
    .sgpr_spill_count: 0
    .symbol:         _ZL15flash_attn_tileILi40ELi40ELi1ELi2ELb0EEvPKcS1_S1_S1_S1_PKiPfP15HIP_vector_typeIfLj2EEffffjfiS5_IjLj3EEiiiiiiiiiiiliiliiiiil.kd
    .uniform_work_group_size: 1
    .uses_dynamic_stack: false
    .vgpr_count:     55
    .vgpr_spill_count: 0
    .wavefront_size: 32
    .workgroup_processor_mode: 1
  - .args:
      - .address_space:  global
        .offset:         0
        .size:           8
        .value_kind:     global_buffer
      - .address_space:  global
        .offset:         8
        .size:           8
        .value_kind:     global_buffer
      - .offset:         16
        .size:           4
        .value_kind:     by_value
      - .offset:         20
        .size:           4
        .value_kind:     by_value
      - .offset:         24
        .size:           4
        .value_kind:     by_value
      - .offset:         28
        .size:           4
        .value_kind:     by_value
      - .offset:         32
        .size:           4
        .value_kind:     by_value
      - .offset:         36
        .size:           4
        .value_kind:     by_value
      - .offset:         40
        .size:           12
        .value_kind:     by_value
      - .offset:         52
        .size:           12
        .value_kind:     by_value
      - .offset:         64
        .size:           12
        .value_kind:     by_value
    .group_segment_fixed_size: 0
    .kernarg_segment_align: 8
    .kernarg_segment_size: 76
    .language:       OpenCL C
    .language_version:
      - 2
      - 0
    .max_flat_workgroup_size: 40
    .name:           _ZL33flash_attn_stream_k_fixup_uniformILi40ELi1ELi2EEvPfPK15HIP_vector_typeIfLj2EEiiiiiiS1_IjLj3EES5_S5_
    .private_segment_fixed_size: 0
    .sgpr_count:     22
    .sgpr_spill_count: 0
    .symbol:         _ZL33flash_attn_stream_k_fixup_uniformILi40ELi1ELi2EEvPfPK15HIP_vector_typeIfLj2EEiiiiiiS1_IjLj3EES5_S5_.kd
    .uniform_work_group_size: 1
    .uses_dynamic_stack: false
    .vgpr_count:     15
    .vgpr_spill_count: 0
    .wavefront_size: 32
    .workgroup_processor_mode: 1
  - .args:
      - .address_space:  global
        .offset:         0
        .size:           8
        .value_kind:     global_buffer
      - .address_space:  global
        .offset:         8
        .size:           8
        .value_kind:     global_buffer
      - .offset:         16
        .size:           4
        .value_kind:     by_value
      - .offset:         20
        .size:           4
        .value_kind:     by_value
      - .offset:         24
        .size:           4
        .value_kind:     by_value
      - .offset:         28
        .size:           4
        .value_kind:     by_value
      - .offset:         32
        .size:           12
        .value_kind:     by_value
      - .offset:         44
        .size:           12
        .value_kind:     by_value
      - .offset:         56
        .size:           12
        .value_kind:     by_value
      - .offset:         68
        .size:           12
        .value_kind:     by_value
      - .offset:         80
        .size:           4
        .value_kind:     hidden_block_count_x
      - .offset:         84
        .size:           4
        .value_kind:     hidden_block_count_y
      - .offset:         88
        .size:           4
        .value_kind:     hidden_block_count_z
      - .offset:         92
        .size:           2
        .value_kind:     hidden_group_size_x
      - .offset:         94
        .size:           2
        .value_kind:     hidden_group_size_y
      - .offset:         96
        .size:           2
        .value_kind:     hidden_group_size_z
      - .offset:         98
        .size:           2
        .value_kind:     hidden_remainder_x
      - .offset:         100
        .size:           2
        .value_kind:     hidden_remainder_y
      - .offset:         102
        .size:           2
        .value_kind:     hidden_remainder_z
      - .offset:         120
        .size:           8
        .value_kind:     hidden_global_offset_x
      - .offset:         128
        .size:           8
        .value_kind:     hidden_global_offset_y
      - .offset:         136
        .size:           8
        .value_kind:     hidden_global_offset_z
      - .offset:         144
        .size:           2
        .value_kind:     hidden_grid_dims
    .group_segment_fixed_size: 0
    .kernarg_segment_align: 8
    .kernarg_segment_size: 336
    .language:       OpenCL C
    .language_version:
      - 2
      - 0
    .max_flat_workgroup_size: 40
    .name:           _ZL33flash_attn_stream_k_fixup_generalILi40ELi1ELi2EEvPfPK15HIP_vector_typeIfLj2EEiiiiS1_IjLj3EES5_S5_S5_
    .private_segment_fixed_size: 0
    .sgpr_count:     34
    .sgpr_spill_count: 0
    .symbol:         _ZL33flash_attn_stream_k_fixup_generalILi40ELi1ELi2EEvPfPK15HIP_vector_typeIfLj2EEiiiiS1_IjLj3EES5_S5_S5_.kd
    .uniform_work_group_size: 1
    .uses_dynamic_stack: false
    .vgpr_count:     19
    .vgpr_spill_count: 0
    .wavefront_size: 32
    .workgroup_processor_mode: 1
  - .args:
      - .address_space:  global
        .offset:         0
        .size:           8
        .value_kind:     global_buffer
      - .address_space:  global
        .offset:         8
        .size:           8
        .value_kind:     global_buffer
      - .address_space:  global
        .offset:         16
        .size:           8
        .value_kind:     global_buffer
      - .address_space:  global
        .offset:         24
        .size:           8
        .value_kind:     global_buffer
      - .address_space:  global
        .offset:         32
        .size:           8
        .value_kind:     global_buffer
      - .address_space:  global
        .offset:         40
        .size:           8
        .value_kind:     global_buffer
      - .address_space:  global
        .offset:         48
        .size:           8
        .value_kind:     global_buffer
      - .address_space:  global
        .offset:         56
        .size:           8
        .value_kind:     global_buffer
      - .offset:         64
        .size:           4
        .value_kind:     by_value
      - .offset:         68
        .size:           4
        .value_kind:     by_value
      - .offset:         72
        .size:           4
        .value_kind:     by_value
      - .offset:         76
        .size:           4
        .value_kind:     by_value
      - .offset:         80
        .size:           4
        .value_kind:     by_value
      - .offset:         84
        .size:           4
        .value_kind:     by_value
      - .offset:         88
        .size:           4
        .value_kind:     by_value
      - .offset:         92
        .size:           12
        .value_kind:     by_value
      - .offset:         104
        .size:           4
        .value_kind:     by_value
      - .offset:         108
        .size:           4
        .value_kind:     by_value
      - .offset:         112
        .size:           4
        .value_kind:     by_value
      - .offset:         116
        .size:           4
        .value_kind:     by_value
      - .offset:         120
        .size:           4
        .value_kind:     by_value
      - .offset:         124
        .size:           4
        .value_kind:     by_value
      - .offset:         128
        .size:           4
        .value_kind:     by_value
      - .offset:         132
        .size:           4
        .value_kind:     by_value
      - .offset:         136
        .size:           4
        .value_kind:     by_value
      - .offset:         140
        .size:           4
        .value_kind:     by_value
      - .offset:         144
        .size:           4
        .value_kind:     by_value
      - .offset:         152
        .size:           8
        .value_kind:     by_value
      - .offset:         160
        .size:           4
        .value_kind:     by_value
      - .offset:         164
        .size:           4
        .value_kind:     by_value
      - .offset:         168
        .size:           8
        .value_kind:     by_value
      - .offset:         176
        .size:           4
        .value_kind:     by_value
      - .offset:         180
        .size:           4
        .value_kind:     by_value
      - .offset:         184
        .size:           4
        .value_kind:     by_value
      - .offset:         188
        .size:           4
        .value_kind:     by_value
      - .offset:         192
        .size:           4
        .value_kind:     by_value
      - .offset:         200
        .size:           8
        .value_kind:     by_value
      - .offset:         208
        .size:           4
        .value_kind:     hidden_block_count_x
      - .offset:         212
        .size:           4
        .value_kind:     hidden_block_count_y
      - .offset:         216
        .size:           4
        .value_kind:     hidden_block_count_z
      - .offset:         220
        .size:           2
        .value_kind:     hidden_group_size_x
      - .offset:         222
        .size:           2
        .value_kind:     hidden_group_size_y
      - .offset:         224
        .size:           2
        .value_kind:     hidden_group_size_z
      - .offset:         226
        .size:           2
        .value_kind:     hidden_remainder_x
      - .offset:         228
        .size:           2
        .value_kind:     hidden_remainder_y
      - .offset:         230
        .size:           2
        .value_kind:     hidden_remainder_z
      - .offset:         248
        .size:           8
        .value_kind:     hidden_global_offset_x
      - .offset:         256
        .size:           8
        .value_kind:     hidden_global_offset_y
      - .offset:         264
        .size:           8
        .value_kind:     hidden_global_offset_z
      - .offset:         272
        .size:           2
        .value_kind:     hidden_grid_dims
    .group_segment_fixed_size: 12384
    .kernarg_segment_align: 8
    .kernarg_segment_size: 464
    .language:       OpenCL C
    .language_version:
      - 2
      - 0
    .max_flat_workgroup_size: 256
    .name:           _ZL15flash_attn_tileILi40ELi40ELi64ELi1ELb0EEvPKcS1_S1_S1_S1_PKiPfP15HIP_vector_typeIfLj2EEffffjfiS5_IjLj3EEiiiiiiiiiiiliiliiiiil
    .private_segment_fixed_size: 32
    .sgpr_count:     57
    .sgpr_spill_count: 0
    .symbol:         _ZL15flash_attn_tileILi40ELi40ELi64ELi1ELb0EEvPKcS1_S1_S1_S1_PKiPfP15HIP_vector_typeIfLj2EEffffjfiS5_IjLj3EEiiiiiiiiiiiliiliiiiil.kd
    .uniform_work_group_size: 1
    .uses_dynamic_stack: false
    .vgpr_count:     119
    .vgpr_spill_count: 0
    .wavefront_size: 32
    .workgroup_processor_mode: 1
  - .args:
      - .actual_access:  read_only
        .address_space:  global
        .offset:         0
        .size:           8
        .value_kind:     global_buffer
      - .actual_access:  write_only
        .address_space:  global
        .offset:         8
        .size:           8
        .value_kind:     global_buffer
      - .offset:         16
        .size:           4
        .value_kind:     by_value
      - .offset:         20
        .size:           4
        .value_kind:     by_value
      - .offset:         24
        .size:           4
        .value_kind:     by_value
      - .offset:         32
        .size:           4
        .value_kind:     hidden_block_count_x
      - .offset:         36
        .size:           4
        .value_kind:     hidden_block_count_y
      - .offset:         40
        .size:           4
        .value_kind:     hidden_block_count_z
      - .offset:         44
        .size:           2
        .value_kind:     hidden_group_size_x
      - .offset:         46
        .size:           2
        .value_kind:     hidden_group_size_y
      - .offset:         48
        .size:           2
        .value_kind:     hidden_group_size_z
      - .offset:         50
        .size:           2
        .value_kind:     hidden_remainder_x
      - .offset:         52
        .size:           2
        .value_kind:     hidden_remainder_y
      - .offset:         54
        .size:           2
        .value_kind:     hidden_remainder_z
      - .offset:         72
        .size:           8
        .value_kind:     hidden_global_offset_x
      - .offset:         80
        .size:           8
        .value_kind:     hidden_global_offset_y
      - .offset:         88
        .size:           8
        .value_kind:     hidden_global_offset_z
      - .offset:         96
        .size:           2
        .value_kind:     hidden_grid_dims
    .group_segment_fixed_size: 128
    .kernarg_segment_align: 8
    .kernarg_segment_size: 288
    .language:       OpenCL C
    .language_version:
      - 2
      - 0
    .max_flat_workgroup_size: 128
    .name:           _ZL25flash_attn_mask_to_KV_maxILi64EEvPK7__half2Piiii
    .private_segment_fixed_size: 0
    .sgpr_count:     107
    .sgpr_spill_count: 33
    .symbol:         _ZL25flash_attn_mask_to_KV_maxILi64EEvPK7__half2Piiii.kd
    .uniform_work_group_size: 1
    .uses_dynamic_stack: false
    .vgpr_count:     11
    .vgpr_spill_count: 0
    .wavefront_size: 32
    .workgroup_processor_mode: 1
  - .args:
      - .address_space:  global
        .offset:         0
        .size:           8
        .value_kind:     global_buffer
      - .address_space:  global
        .offset:         8
        .size:           8
        .value_kind:     global_buffer
      - .offset:         16
        .size:           4
        .value_kind:     by_value
      - .offset:         20
        .size:           4
        .value_kind:     by_value
      - .offset:         24
        .size:           4
        .value_kind:     by_value
      - .offset:         28
        .size:           4
        .value_kind:     by_value
      - .offset:         32
        .size:           4
        .value_kind:     by_value
      - .offset:         36
        .size:           4
        .value_kind:     by_value
      - .offset:         40
        .size:           12
        .value_kind:     by_value
      - .offset:         52
        .size:           12
        .value_kind:     by_value
      - .offset:         64
        .size:           12
        .value_kind:     by_value
    .group_segment_fixed_size: 0
    .kernarg_segment_align: 8
    .kernarg_segment_size: 76
    .language:       OpenCL C
    .language_version:
      - 2
      - 0
    .max_flat_workgroup_size: 40
    .name:           _ZL33flash_attn_stream_k_fixup_uniformILi40ELi64ELi1EEvPfPK15HIP_vector_typeIfLj2EEiiiiiiS1_IjLj3EES5_S5_
    .private_segment_fixed_size: 0
    .sgpr_count:     22
    .sgpr_spill_count: 0
    .symbol:         _ZL33flash_attn_stream_k_fixup_uniformILi40ELi64ELi1EEvPfPK15HIP_vector_typeIfLj2EEiiiiiiS1_IjLj3EES5_S5_.kd
    .uniform_work_group_size: 1
    .uses_dynamic_stack: false
    .vgpr_count:     15
    .vgpr_spill_count: 0
    .wavefront_size: 32
    .workgroup_processor_mode: 1
  - .args:
      - .address_space:  global
        .offset:         0
        .size:           8
        .value_kind:     global_buffer
      - .address_space:  global
        .offset:         8
        .size:           8
        .value_kind:     global_buffer
      - .offset:         16
        .size:           4
        .value_kind:     by_value
      - .offset:         20
        .size:           4
        .value_kind:     by_value
      - .offset:         24
        .size:           4
        .value_kind:     by_value
      - .offset:         28
        .size:           4
        .value_kind:     by_value
      - .offset:         32
        .size:           12
        .value_kind:     by_value
      - .offset:         44
        .size:           12
        .value_kind:     by_value
      - .offset:         56
        .size:           12
        .value_kind:     by_value
      - .offset:         68
        .size:           12
        .value_kind:     by_value
      - .offset:         80
        .size:           4
        .value_kind:     hidden_block_count_x
      - .offset:         84
        .size:           4
        .value_kind:     hidden_block_count_y
      - .offset:         88
        .size:           4
        .value_kind:     hidden_block_count_z
      - .offset:         92
        .size:           2
        .value_kind:     hidden_group_size_x
      - .offset:         94
        .size:           2
        .value_kind:     hidden_group_size_y
      - .offset:         96
        .size:           2
        .value_kind:     hidden_group_size_z
      - .offset:         98
        .size:           2
        .value_kind:     hidden_remainder_x
      - .offset:         100
        .size:           2
        .value_kind:     hidden_remainder_y
      - .offset:         102
        .size:           2
        .value_kind:     hidden_remainder_z
      - .offset:         120
        .size:           8
        .value_kind:     hidden_global_offset_x
      - .offset:         128
        .size:           8
        .value_kind:     hidden_global_offset_y
      - .offset:         136
        .size:           8
        .value_kind:     hidden_global_offset_z
      - .offset:         144
        .size:           2
        .value_kind:     hidden_grid_dims
    .group_segment_fixed_size: 0
    .kernarg_segment_align: 8
    .kernarg_segment_size: 336
    .language:       OpenCL C
    .language_version:
      - 2
      - 0
    .max_flat_workgroup_size: 40
    .name:           _ZL33flash_attn_stream_k_fixup_generalILi40ELi64ELi1EEvPfPK15HIP_vector_typeIfLj2EEiiiiS1_IjLj3EES5_S5_S5_
    .private_segment_fixed_size: 0
    .sgpr_count:     34
    .sgpr_spill_count: 0
    .symbol:         _ZL33flash_attn_stream_k_fixup_generalILi40ELi64ELi1EEvPfPK15HIP_vector_typeIfLj2EEiiiiS1_IjLj3EES5_S5_S5_.kd
    .uniform_work_group_size: 1
    .uses_dynamic_stack: false
    .vgpr_count:     19
    .vgpr_spill_count: 0
    .wavefront_size: 32
    .workgroup_processor_mode: 1
  - .args:
      - .address_space:  global
        .offset:         0
        .size:           8
        .value_kind:     global_buffer
      - .address_space:  global
        .offset:         8
        .size:           8
        .value_kind:     global_buffer
      - .address_space:  global
        .offset:         16
        .size:           8
        .value_kind:     global_buffer
      - .address_space:  global
        .offset:         24
        .size:           8
        .value_kind:     global_buffer
      - .address_space:  global
        .offset:         32
        .size:           8
        .value_kind:     global_buffer
      - .address_space:  global
        .offset:         40
        .size:           8
        .value_kind:     global_buffer
      - .address_space:  global
        .offset:         48
        .size:           8
        .value_kind:     global_buffer
      - .address_space:  global
        .offset:         56
        .size:           8
        .value_kind:     global_buffer
      - .offset:         64
        .size:           4
        .value_kind:     by_value
      - .offset:         68
        .size:           4
        .value_kind:     by_value
      - .offset:         72
        .size:           4
        .value_kind:     by_value
      - .offset:         76
        .size:           4
        .value_kind:     by_value
      - .offset:         80
        .size:           4
        .value_kind:     by_value
      - .offset:         84
        .size:           4
        .value_kind:     by_value
      - .offset:         88
        .size:           4
        .value_kind:     by_value
      - .offset:         92
        .size:           12
        .value_kind:     by_value
      - .offset:         104
        .size:           4
        .value_kind:     by_value
      - .offset:         108
        .size:           4
        .value_kind:     by_value
      - .offset:         112
        .size:           4
        .value_kind:     by_value
      - .offset:         116
        .size:           4
        .value_kind:     by_value
      - .offset:         120
        .size:           4
        .value_kind:     by_value
      - .offset:         124
        .size:           4
        .value_kind:     by_value
      - .offset:         128
        .size:           4
        .value_kind:     by_value
      - .offset:         132
        .size:           4
        .value_kind:     by_value
      - .offset:         136
        .size:           4
        .value_kind:     by_value
      - .offset:         140
        .size:           4
        .value_kind:     by_value
      - .offset:         144
        .size:           4
        .value_kind:     by_value
      - .offset:         152
        .size:           8
        .value_kind:     by_value
      - .offset:         160
        .size:           4
        .value_kind:     by_value
      - .offset:         164
        .size:           4
        .value_kind:     by_value
      - .offset:         168
        .size:           8
        .value_kind:     by_value
      - .offset:         176
        .size:           4
        .value_kind:     by_value
      - .offset:         180
        .size:           4
        .value_kind:     by_value
      - .offset:         184
        .size:           4
        .value_kind:     by_value
      - .offset:         188
        .size:           4
        .value_kind:     by_value
      - .offset:         192
        .size:           4
        .value_kind:     by_value
      - .offset:         200
        .size:           8
        .value_kind:     by_value
      - .offset:         208
        .size:           4
        .value_kind:     hidden_block_count_x
      - .offset:         212
        .size:           4
        .value_kind:     hidden_block_count_y
      - .offset:         216
        .size:           4
        .value_kind:     hidden_block_count_z
      - .offset:         220
        .size:           2
        .value_kind:     hidden_group_size_x
      - .offset:         222
        .size:           2
        .value_kind:     hidden_group_size_y
      - .offset:         224
        .size:           2
        .value_kind:     hidden_group_size_z
      - .offset:         226
        .size:           2
        .value_kind:     hidden_remainder_x
      - .offset:         228
        .size:           2
        .value_kind:     hidden_remainder_y
      - .offset:         230
        .size:           2
        .value_kind:     hidden_remainder_z
      - .offset:         248
        .size:           8
        .value_kind:     hidden_global_offset_x
      - .offset:         256
        .size:           8
        .value_kind:     hidden_global_offset_y
      - .offset:         264
        .size:           8
        .value_kind:     hidden_global_offset_z
      - .offset:         272
        .size:           2
        .value_kind:     hidden_grid_dims
    .group_segment_fixed_size: 15968
    .kernarg_segment_align: 8
    .kernarg_segment_size: 464
    .language:       OpenCL C
    .language_version:
      - 2
      - 0
    .max_flat_workgroup_size: 256
    .name:           _ZL15flash_attn_tileILi40ELi40ELi32ELi1ELb0EEvPKcS1_S1_S1_S1_PKiPfP15HIP_vector_typeIfLj2EEffffjfiS5_IjLj3EEiiiiiiiiiiiliiliiiiil
    .private_segment_fixed_size: 32
    .sgpr_count:     52
    .sgpr_spill_count: 0
    .symbol:         _ZL15flash_attn_tileILi40ELi40ELi32ELi1ELb0EEvPKcS1_S1_S1_S1_PKiPfP15HIP_vector_typeIfLj2EEffffjfiS5_IjLj3EEiiiiiiiiiiiliiliiiiil.kd
    .uniform_work_group_size: 1
    .uses_dynamic_stack: false
    .vgpr_count:     77
    .vgpr_spill_count: 0
    .wavefront_size: 32
    .workgroup_processor_mode: 1
  - .args:
      - .address_space:  global
        .offset:         0
        .size:           8
        .value_kind:     global_buffer
      - .address_space:  global
        .offset:         8
        .size:           8
        .value_kind:     global_buffer
      - .offset:         16
        .size:           4
        .value_kind:     by_value
      - .offset:         20
        .size:           4
        .value_kind:     by_value
      - .offset:         24
        .size:           4
        .value_kind:     by_value
      - .offset:         28
        .size:           4
        .value_kind:     by_value
      - .offset:         32
        .size:           4
        .value_kind:     by_value
      - .offset:         36
        .size:           4
        .value_kind:     by_value
      - .offset:         40
        .size:           12
        .value_kind:     by_value
      - .offset:         52
        .size:           12
        .value_kind:     by_value
      - .offset:         64
        .size:           12
        .value_kind:     by_value
    .group_segment_fixed_size: 0
    .kernarg_segment_align: 8
    .kernarg_segment_size: 76
    .language:       OpenCL C
    .language_version:
      - 2
      - 0
    .max_flat_workgroup_size: 40
    .name:           _ZL33flash_attn_stream_k_fixup_uniformILi40ELi32ELi1EEvPfPK15HIP_vector_typeIfLj2EEiiiiiiS1_IjLj3EES5_S5_
    .private_segment_fixed_size: 0
    .sgpr_count:     22
    .sgpr_spill_count: 0
    .symbol:         _ZL33flash_attn_stream_k_fixup_uniformILi40ELi32ELi1EEvPfPK15HIP_vector_typeIfLj2EEiiiiiiS1_IjLj3EES5_S5_.kd
    .uniform_work_group_size: 1
    .uses_dynamic_stack: false
    .vgpr_count:     15
    .vgpr_spill_count: 0
    .wavefront_size: 32
    .workgroup_processor_mode: 1
  - .args:
      - .address_space:  global
        .offset:         0
        .size:           8
        .value_kind:     global_buffer
      - .address_space:  global
        .offset:         8
        .size:           8
        .value_kind:     global_buffer
      - .offset:         16
        .size:           4
        .value_kind:     by_value
      - .offset:         20
        .size:           4
        .value_kind:     by_value
      - .offset:         24
        .size:           4
        .value_kind:     by_value
      - .offset:         28
        .size:           4
        .value_kind:     by_value
      - .offset:         32
        .size:           12
        .value_kind:     by_value
      - .offset:         44
        .size:           12
        .value_kind:     by_value
      - .offset:         56
        .size:           12
        .value_kind:     by_value
      - .offset:         68
        .size:           12
        .value_kind:     by_value
      - .offset:         80
        .size:           4
        .value_kind:     hidden_block_count_x
      - .offset:         84
        .size:           4
        .value_kind:     hidden_block_count_y
      - .offset:         88
        .size:           4
        .value_kind:     hidden_block_count_z
      - .offset:         92
        .size:           2
        .value_kind:     hidden_group_size_x
      - .offset:         94
        .size:           2
        .value_kind:     hidden_group_size_y
      - .offset:         96
        .size:           2
        .value_kind:     hidden_group_size_z
      - .offset:         98
        .size:           2
        .value_kind:     hidden_remainder_x
      - .offset:         100
        .size:           2
        .value_kind:     hidden_remainder_y
      - .offset:         102
        .size:           2
        .value_kind:     hidden_remainder_z
      - .offset:         120
        .size:           8
        .value_kind:     hidden_global_offset_x
      - .offset:         128
        .size:           8
        .value_kind:     hidden_global_offset_y
      - .offset:         136
        .size:           8
        .value_kind:     hidden_global_offset_z
      - .offset:         144
        .size:           2
        .value_kind:     hidden_grid_dims
    .group_segment_fixed_size: 0
    .kernarg_segment_align: 8
    .kernarg_segment_size: 336
    .language:       OpenCL C
    .language_version:
      - 2
      - 0
    .max_flat_workgroup_size: 40
    .name:           _ZL33flash_attn_stream_k_fixup_generalILi40ELi32ELi1EEvPfPK15HIP_vector_typeIfLj2EEiiiiS1_IjLj3EES5_S5_S5_
    .private_segment_fixed_size: 0
    .sgpr_count:     34
    .sgpr_spill_count: 0
    .symbol:         _ZL33flash_attn_stream_k_fixup_generalILi40ELi32ELi1EEvPfPK15HIP_vector_typeIfLj2EEiiiiS1_IjLj3EES5_S5_S5_.kd
    .uniform_work_group_size: 1
    .uses_dynamic_stack: false
    .vgpr_count:     19
    .vgpr_spill_count: 0
    .wavefront_size: 32
    .workgroup_processor_mode: 1
  - .args:
      - .address_space:  global
        .offset:         0
        .size:           8
        .value_kind:     global_buffer
      - .address_space:  global
        .offset:         8
        .size:           8
        .value_kind:     global_buffer
      - .address_space:  global
        .offset:         16
        .size:           8
        .value_kind:     global_buffer
      - .address_space:  global
        .offset:         24
        .size:           8
        .value_kind:     global_buffer
      - .address_space:  global
        .offset:         32
        .size:           8
        .value_kind:     global_buffer
      - .address_space:  global
        .offset:         40
        .size:           8
        .value_kind:     global_buffer
      - .address_space:  global
        .offset:         48
        .size:           8
        .value_kind:     global_buffer
      - .address_space:  global
        .offset:         56
        .size:           8
        .value_kind:     global_buffer
      - .offset:         64
        .size:           4
        .value_kind:     by_value
      - .offset:         68
        .size:           4
        .value_kind:     by_value
      - .offset:         72
        .size:           4
        .value_kind:     by_value
      - .offset:         76
        .size:           4
        .value_kind:     by_value
      - .offset:         80
        .size:           4
        .value_kind:     by_value
      - .offset:         84
        .size:           4
        .value_kind:     by_value
      - .offset:         88
        .size:           4
        .value_kind:     by_value
      - .offset:         92
        .size:           12
        .value_kind:     by_value
      - .offset:         104
        .size:           4
        .value_kind:     by_value
      - .offset:         108
        .size:           4
        .value_kind:     by_value
      - .offset:         112
        .size:           4
        .value_kind:     by_value
      - .offset:         116
        .size:           4
        .value_kind:     by_value
      - .offset:         120
        .size:           4
        .value_kind:     by_value
      - .offset:         124
        .size:           4
        .value_kind:     by_value
      - .offset:         128
        .size:           4
        .value_kind:     by_value
      - .offset:         132
        .size:           4
        .value_kind:     by_value
      - .offset:         136
        .size:           4
        .value_kind:     by_value
      - .offset:         140
        .size:           4
        .value_kind:     by_value
      - .offset:         144
        .size:           4
        .value_kind:     by_value
      - .offset:         152
        .size:           8
        .value_kind:     by_value
      - .offset:         160
        .size:           4
        .value_kind:     by_value
      - .offset:         164
        .size:           4
        .value_kind:     by_value
      - .offset:         168
        .size:           8
        .value_kind:     by_value
      - .offset:         176
        .size:           4
        .value_kind:     by_value
      - .offset:         180
        .size:           4
        .value_kind:     by_value
      - .offset:         184
        .size:           4
        .value_kind:     by_value
      - .offset:         188
        .size:           4
        .value_kind:     by_value
      - .offset:         192
        .size:           4
        .value_kind:     by_value
      - .offset:         200
        .size:           8
        .value_kind:     by_value
      - .offset:         208
        .size:           4
        .value_kind:     hidden_block_count_x
      - .offset:         212
        .size:           4
        .value_kind:     hidden_block_count_y
      - .offset:         216
        .size:           4
        .value_kind:     hidden_block_count_z
      - .offset:         220
        .size:           2
        .value_kind:     hidden_group_size_x
      - .offset:         222
        .size:           2
        .value_kind:     hidden_group_size_y
      - .offset:         224
        .size:           2
        .value_kind:     hidden_group_size_z
      - .offset:         226
        .size:           2
        .value_kind:     hidden_remainder_x
      - .offset:         228
        .size:           2
        .value_kind:     hidden_remainder_y
      - .offset:         230
        .size:           2
        .value_kind:     hidden_remainder_z
      - .offset:         248
        .size:           8
        .value_kind:     hidden_global_offset_x
      - .offset:         256
        .size:           8
        .value_kind:     hidden_global_offset_y
      - .offset:         264
        .size:           8
        .value_kind:     hidden_global_offset_z
      - .offset:         272
        .size:           2
        .value_kind:     hidden_grid_dims
    .group_segment_fixed_size: 13664
    .kernarg_segment_align: 8
    .kernarg_segment_size: 464
    .language:       OpenCL C
    .language_version:
      - 2
      - 0
    .max_flat_workgroup_size: 256
    .name:           _ZL15flash_attn_tileILi40ELi40ELi16ELi1ELb0EEvPKcS1_S1_S1_S1_PKiPfP15HIP_vector_typeIfLj2EEffffjfiS5_IjLj3EEiiiiiiiiiiiliiliiiiil
    .private_segment_fixed_size: 32
    .sgpr_count:     50
    .sgpr_spill_count: 0
    .symbol:         _ZL15flash_attn_tileILi40ELi40ELi16ELi1ELb0EEvPKcS1_S1_S1_S1_PKiPfP15HIP_vector_typeIfLj2EEffffjfiS5_IjLj3EEiiiiiiiiiiiliiliiiiil.kd
    .uniform_work_group_size: 1
    .uses_dynamic_stack: false
    .vgpr_count:     60
    .vgpr_spill_count: 0
    .wavefront_size: 32
    .workgroup_processor_mode: 1
  - .args:
      - .address_space:  global
        .offset:         0
        .size:           8
        .value_kind:     global_buffer
      - .address_space:  global
        .offset:         8
        .size:           8
        .value_kind:     global_buffer
      - .offset:         16
        .size:           4
        .value_kind:     by_value
      - .offset:         20
        .size:           4
        .value_kind:     by_value
      - .offset:         24
        .size:           4
        .value_kind:     by_value
      - .offset:         28
        .size:           4
        .value_kind:     by_value
      - .offset:         32
        .size:           4
        .value_kind:     by_value
      - .offset:         36
        .size:           4
        .value_kind:     by_value
      - .offset:         40
        .size:           12
        .value_kind:     by_value
      - .offset:         52
        .size:           12
        .value_kind:     by_value
      - .offset:         64
        .size:           12
        .value_kind:     by_value
    .group_segment_fixed_size: 0
    .kernarg_segment_align: 8
    .kernarg_segment_size: 76
    .language:       OpenCL C
    .language_version:
      - 2
      - 0
    .max_flat_workgroup_size: 40
    .name:           _ZL33flash_attn_stream_k_fixup_uniformILi40ELi16ELi1EEvPfPK15HIP_vector_typeIfLj2EEiiiiiiS1_IjLj3EES5_S5_
    .private_segment_fixed_size: 0
    .sgpr_count:     22
    .sgpr_spill_count: 0
    .symbol:         _ZL33flash_attn_stream_k_fixup_uniformILi40ELi16ELi1EEvPfPK15HIP_vector_typeIfLj2EEiiiiiiS1_IjLj3EES5_S5_.kd
    .uniform_work_group_size: 1
    .uses_dynamic_stack: false
    .vgpr_count:     15
    .vgpr_spill_count: 0
    .wavefront_size: 32
    .workgroup_processor_mode: 1
  - .args:
      - .address_space:  global
        .offset:         0
        .size:           8
        .value_kind:     global_buffer
      - .address_space:  global
        .offset:         8
        .size:           8
        .value_kind:     global_buffer
      - .offset:         16
        .size:           4
        .value_kind:     by_value
      - .offset:         20
        .size:           4
        .value_kind:     by_value
      - .offset:         24
        .size:           4
        .value_kind:     by_value
      - .offset:         28
        .size:           4
        .value_kind:     by_value
      - .offset:         32
        .size:           12
        .value_kind:     by_value
      - .offset:         44
        .size:           12
        .value_kind:     by_value
      - .offset:         56
        .size:           12
        .value_kind:     by_value
      - .offset:         68
        .size:           12
        .value_kind:     by_value
      - .offset:         80
        .size:           4
        .value_kind:     hidden_block_count_x
      - .offset:         84
        .size:           4
        .value_kind:     hidden_block_count_y
      - .offset:         88
        .size:           4
        .value_kind:     hidden_block_count_z
      - .offset:         92
        .size:           2
        .value_kind:     hidden_group_size_x
      - .offset:         94
        .size:           2
        .value_kind:     hidden_group_size_y
      - .offset:         96
        .size:           2
        .value_kind:     hidden_group_size_z
      - .offset:         98
        .size:           2
        .value_kind:     hidden_remainder_x
      - .offset:         100
        .size:           2
        .value_kind:     hidden_remainder_y
      - .offset:         102
        .size:           2
        .value_kind:     hidden_remainder_z
      - .offset:         120
        .size:           8
        .value_kind:     hidden_global_offset_x
      - .offset:         128
        .size:           8
        .value_kind:     hidden_global_offset_y
      - .offset:         136
        .size:           8
        .value_kind:     hidden_global_offset_z
      - .offset:         144
        .size:           2
        .value_kind:     hidden_grid_dims
    .group_segment_fixed_size: 0
    .kernarg_segment_align: 8
    .kernarg_segment_size: 336
    .language:       OpenCL C
    .language_version:
      - 2
      - 0
    .max_flat_workgroup_size: 40
    .name:           _ZL33flash_attn_stream_k_fixup_generalILi40ELi16ELi1EEvPfPK15HIP_vector_typeIfLj2EEiiiiS1_IjLj3EES5_S5_S5_
    .private_segment_fixed_size: 0
    .sgpr_count:     34
    .sgpr_spill_count: 0
    .symbol:         _ZL33flash_attn_stream_k_fixup_generalILi40ELi16ELi1EEvPfPK15HIP_vector_typeIfLj2EEiiiiS1_IjLj3EES5_S5_S5_.kd
    .uniform_work_group_size: 1
    .uses_dynamic_stack: false
    .vgpr_count:     19
    .vgpr_spill_count: 0
    .wavefront_size: 32
    .workgroup_processor_mode: 1
  - .args:
      - .address_space:  global
        .offset:         0
        .size:           8
        .value_kind:     global_buffer
      - .address_space:  global
        .offset:         8
        .size:           8
        .value_kind:     global_buffer
      - .address_space:  global
        .offset:         16
        .size:           8
        .value_kind:     global_buffer
      - .address_space:  global
        .offset:         24
        .size:           8
        .value_kind:     global_buffer
      - .address_space:  global
        .offset:         32
        .size:           8
        .value_kind:     global_buffer
      - .address_space:  global
        .offset:         40
        .size:           8
        .value_kind:     global_buffer
      - .address_space:  global
        .offset:         48
        .size:           8
        .value_kind:     global_buffer
      - .address_space:  global
        .offset:         56
        .size:           8
        .value_kind:     global_buffer
      - .offset:         64
        .size:           4
        .value_kind:     by_value
      - .offset:         68
        .size:           4
        .value_kind:     by_value
      - .offset:         72
        .size:           4
        .value_kind:     by_value
      - .offset:         76
        .size:           4
        .value_kind:     by_value
      - .offset:         80
        .size:           4
        .value_kind:     by_value
      - .offset:         84
        .size:           4
        .value_kind:     by_value
      - .offset:         88
        .size:           4
        .value_kind:     by_value
      - .offset:         92
        .size:           12
        .value_kind:     by_value
      - .offset:         104
        .size:           4
        .value_kind:     by_value
      - .offset:         108
        .size:           4
        .value_kind:     by_value
      - .offset:         112
        .size:           4
        .value_kind:     by_value
      - .offset:         116
        .size:           4
        .value_kind:     by_value
      - .offset:         120
        .size:           4
        .value_kind:     by_value
      - .offset:         124
        .size:           4
        .value_kind:     by_value
      - .offset:         128
        .size:           4
        .value_kind:     by_value
      - .offset:         132
        .size:           4
        .value_kind:     by_value
      - .offset:         136
        .size:           4
        .value_kind:     by_value
      - .offset:         140
        .size:           4
        .value_kind:     by_value
      - .offset:         144
        .size:           4
        .value_kind:     by_value
      - .offset:         152
        .size:           8
        .value_kind:     by_value
      - .offset:         160
        .size:           4
        .value_kind:     by_value
      - .offset:         164
        .size:           4
        .value_kind:     by_value
      - .offset:         168
        .size:           8
        .value_kind:     by_value
      - .offset:         176
        .size:           4
        .value_kind:     by_value
      - .offset:         180
        .size:           4
        .value_kind:     by_value
      - .offset:         184
        .size:           4
        .value_kind:     by_value
      - .offset:         188
        .size:           4
        .value_kind:     by_value
      - .offset:         192
        .size:           4
        .value_kind:     by_value
      - .offset:         200
        .size:           8
        .value_kind:     by_value
      - .offset:         208
        .size:           4
        .value_kind:     hidden_block_count_x
      - .offset:         212
        .size:           4
        .value_kind:     hidden_block_count_y
      - .offset:         216
        .size:           4
        .value_kind:     hidden_block_count_z
      - .offset:         220
        .size:           2
        .value_kind:     hidden_group_size_x
      - .offset:         222
        .size:           2
        .value_kind:     hidden_group_size_y
      - .offset:         224
        .size:           2
        .value_kind:     hidden_group_size_z
      - .offset:         226
        .size:           2
        .value_kind:     hidden_remainder_x
      - .offset:         228
        .size:           2
        .value_kind:     hidden_remainder_y
      - .offset:         230
        .size:           2
        .value_kind:     hidden_remainder_z
      - .offset:         248
        .size:           8
        .value_kind:     hidden_global_offset_x
      - .offset:         256
        .size:           8
        .value_kind:     hidden_global_offset_y
      - .offset:         264
        .size:           8
        .value_kind:     hidden_global_offset_z
      - .offset:         272
        .size:           2
        .value_kind:     hidden_grid_dims
    .group_segment_fixed_size: 12512
    .kernarg_segment_align: 8
    .kernarg_segment_size: 464
    .language:       OpenCL C
    .language_version:
      - 2
      - 0
    .max_flat_workgroup_size: 256
    .name:           _ZL15flash_attn_tileILi40ELi40ELi8ELi1ELb0EEvPKcS1_S1_S1_S1_PKiPfP15HIP_vector_typeIfLj2EEffffjfiS5_IjLj3EEiiiiiiiiiiiliiliiiiil
    .private_segment_fixed_size: 32
    .sgpr_count:     50
    .sgpr_spill_count: 0
    .symbol:         _ZL15flash_attn_tileILi40ELi40ELi8ELi1ELb0EEvPKcS1_S1_S1_S1_PKiPfP15HIP_vector_typeIfLj2EEffffjfiS5_IjLj3EEiiiiiiiiiiiliiliiiiil.kd
    .uniform_work_group_size: 1
    .uses_dynamic_stack: false
    .vgpr_count:     47
    .vgpr_spill_count: 0
    .wavefront_size: 32
    .workgroup_processor_mode: 1
  - .args:
      - .address_space:  global
        .offset:         0
        .size:           8
        .value_kind:     global_buffer
      - .address_space:  global
        .offset:         8
        .size:           8
        .value_kind:     global_buffer
      - .offset:         16
        .size:           4
        .value_kind:     by_value
      - .offset:         20
        .size:           4
        .value_kind:     by_value
      - .offset:         24
        .size:           4
        .value_kind:     by_value
      - .offset:         28
        .size:           4
        .value_kind:     by_value
      - .offset:         32
        .size:           4
        .value_kind:     by_value
      - .offset:         36
        .size:           4
        .value_kind:     by_value
      - .offset:         40
        .size:           12
        .value_kind:     by_value
      - .offset:         52
        .size:           12
        .value_kind:     by_value
      - .offset:         64
        .size:           12
        .value_kind:     by_value
    .group_segment_fixed_size: 0
    .kernarg_segment_align: 8
    .kernarg_segment_size: 76
    .language:       OpenCL C
    .language_version:
      - 2
      - 0
    .max_flat_workgroup_size: 40
    .name:           _ZL33flash_attn_stream_k_fixup_uniformILi40ELi8ELi1EEvPfPK15HIP_vector_typeIfLj2EEiiiiiiS1_IjLj3EES5_S5_
    .private_segment_fixed_size: 0
    .sgpr_count:     22
    .sgpr_spill_count: 0
    .symbol:         _ZL33flash_attn_stream_k_fixup_uniformILi40ELi8ELi1EEvPfPK15HIP_vector_typeIfLj2EEiiiiiiS1_IjLj3EES5_S5_.kd
    .uniform_work_group_size: 1
    .uses_dynamic_stack: false
    .vgpr_count:     15
    .vgpr_spill_count: 0
    .wavefront_size: 32
    .workgroup_processor_mode: 1
  - .args:
      - .address_space:  global
        .offset:         0
        .size:           8
        .value_kind:     global_buffer
      - .address_space:  global
        .offset:         8
        .size:           8
        .value_kind:     global_buffer
      - .offset:         16
        .size:           4
        .value_kind:     by_value
      - .offset:         20
        .size:           4
        .value_kind:     by_value
      - .offset:         24
        .size:           4
        .value_kind:     by_value
      - .offset:         28
        .size:           4
        .value_kind:     by_value
      - .offset:         32
        .size:           12
        .value_kind:     by_value
      - .offset:         44
        .size:           12
        .value_kind:     by_value
      - .offset:         56
        .size:           12
        .value_kind:     by_value
      - .offset:         68
        .size:           12
        .value_kind:     by_value
      - .offset:         80
        .size:           4
        .value_kind:     hidden_block_count_x
      - .offset:         84
        .size:           4
        .value_kind:     hidden_block_count_y
      - .offset:         88
        .size:           4
        .value_kind:     hidden_block_count_z
      - .offset:         92
        .size:           2
        .value_kind:     hidden_group_size_x
      - .offset:         94
        .size:           2
        .value_kind:     hidden_group_size_y
      - .offset:         96
        .size:           2
        .value_kind:     hidden_group_size_z
      - .offset:         98
        .size:           2
        .value_kind:     hidden_remainder_x
      - .offset:         100
        .size:           2
        .value_kind:     hidden_remainder_y
      - .offset:         102
        .size:           2
        .value_kind:     hidden_remainder_z
      - .offset:         120
        .size:           8
        .value_kind:     hidden_global_offset_x
      - .offset:         128
        .size:           8
        .value_kind:     hidden_global_offset_y
      - .offset:         136
        .size:           8
        .value_kind:     hidden_global_offset_z
      - .offset:         144
        .size:           2
        .value_kind:     hidden_grid_dims
    .group_segment_fixed_size: 0
    .kernarg_segment_align: 8
    .kernarg_segment_size: 336
    .language:       OpenCL C
    .language_version:
      - 2
      - 0
    .max_flat_workgroup_size: 40
    .name:           _ZL33flash_attn_stream_k_fixup_generalILi40ELi8ELi1EEvPfPK15HIP_vector_typeIfLj2EEiiiiS1_IjLj3EES5_S5_S5_
    .private_segment_fixed_size: 0
    .sgpr_count:     34
    .sgpr_spill_count: 0
    .symbol:         _ZL33flash_attn_stream_k_fixup_generalILi40ELi8ELi1EEvPfPK15HIP_vector_typeIfLj2EEiiiiS1_IjLj3EES5_S5_S5_.kd
    .uniform_work_group_size: 1
    .uses_dynamic_stack: false
    .vgpr_count:     19
    .vgpr_spill_count: 0
    .wavefront_size: 32
    .workgroup_processor_mode: 1
  - .args:
      - .address_space:  global
        .offset:         0
        .size:           8
        .value_kind:     global_buffer
      - .address_space:  global
        .offset:         8
        .size:           8
        .value_kind:     global_buffer
      - .address_space:  global
        .offset:         16
        .size:           8
        .value_kind:     global_buffer
      - .address_space:  global
        .offset:         24
        .size:           8
        .value_kind:     global_buffer
      - .address_space:  global
        .offset:         32
        .size:           8
        .value_kind:     global_buffer
      - .address_space:  global
        .offset:         40
        .size:           8
        .value_kind:     global_buffer
      - .address_space:  global
        .offset:         48
        .size:           8
        .value_kind:     global_buffer
      - .address_space:  global
        .offset:         56
        .size:           8
        .value_kind:     global_buffer
      - .offset:         64
        .size:           4
        .value_kind:     by_value
      - .offset:         68
        .size:           4
        .value_kind:     by_value
      - .offset:         72
        .size:           4
        .value_kind:     by_value
      - .offset:         76
        .size:           4
        .value_kind:     by_value
      - .offset:         80
        .size:           4
        .value_kind:     by_value
      - .offset:         84
        .size:           4
        .value_kind:     by_value
      - .offset:         88
        .size:           4
        .value_kind:     by_value
      - .offset:         92
        .size:           12
        .value_kind:     by_value
      - .offset:         104
        .size:           4
        .value_kind:     by_value
      - .offset:         108
        .size:           4
        .value_kind:     by_value
      - .offset:         112
        .size:           4
        .value_kind:     by_value
      - .offset:         116
        .size:           4
        .value_kind:     by_value
      - .offset:         120
        .size:           4
        .value_kind:     by_value
      - .offset:         124
        .size:           4
        .value_kind:     by_value
      - .offset:         128
        .size:           4
        .value_kind:     by_value
      - .offset:         132
        .size:           4
        .value_kind:     by_value
      - .offset:         136
        .size:           4
        .value_kind:     by_value
      - .offset:         140
        .size:           4
        .value_kind:     by_value
      - .offset:         144
        .size:           4
        .value_kind:     by_value
      - .offset:         152
        .size:           8
        .value_kind:     by_value
      - .offset:         160
        .size:           4
        .value_kind:     by_value
      - .offset:         164
        .size:           4
        .value_kind:     by_value
      - .offset:         168
        .size:           8
        .value_kind:     by_value
      - .offset:         176
        .size:           4
        .value_kind:     by_value
      - .offset:         180
        .size:           4
        .value_kind:     by_value
      - .offset:         184
        .size:           4
        .value_kind:     by_value
      - .offset:         188
        .size:           4
        .value_kind:     by_value
      - .offset:         192
        .size:           4
        .value_kind:     by_value
      - .offset:         200
        .size:           8
        .value_kind:     by_value
      - .offset:         208
        .size:           4
        .value_kind:     hidden_block_count_x
      - .offset:         212
        .size:           4
        .value_kind:     hidden_block_count_y
      - .offset:         216
        .size:           4
        .value_kind:     hidden_block_count_z
      - .offset:         220
        .size:           2
        .value_kind:     hidden_group_size_x
      - .offset:         222
        .size:           2
        .value_kind:     hidden_group_size_y
      - .offset:         224
        .size:           2
        .value_kind:     hidden_group_size_z
      - .offset:         226
        .size:           2
        .value_kind:     hidden_remainder_x
      - .offset:         228
        .size:           2
        .value_kind:     hidden_remainder_y
      - .offset:         230
        .size:           2
        .value_kind:     hidden_remainder_z
      - .offset:         248
        .size:           8
        .value_kind:     hidden_global_offset_x
      - .offset:         256
        .size:           8
        .value_kind:     hidden_global_offset_y
      - .offset:         264
        .size:           8
        .value_kind:     hidden_global_offset_z
      - .offset:         272
        .size:           2
        .value_kind:     hidden_grid_dims
    .group_segment_fixed_size: 7840
    .kernarg_segment_align: 8
    .kernarg_segment_size: 464
    .language:       OpenCL C
    .language_version:
      - 2
      - 0
    .max_flat_workgroup_size: 128
    .name:           _ZL15flash_attn_tileILi40ELi40ELi4ELi1ELb0EEvPKcS1_S1_S1_S1_PKiPfP15HIP_vector_typeIfLj2EEffffjfiS5_IjLj3EEiiiiiiiiiiiliiliiiiil
    .private_segment_fixed_size: 32
    .sgpr_count:     50
    .sgpr_spill_count: 0
    .symbol:         _ZL15flash_attn_tileILi40ELi40ELi4ELi1ELb0EEvPKcS1_S1_S1_S1_PKiPfP15HIP_vector_typeIfLj2EEffffjfiS5_IjLj3EEiiiiiiiiiiiliiliiiiil.kd
    .uniform_work_group_size: 1
    .uses_dynamic_stack: false
    .vgpr_count:     47
    .vgpr_spill_count: 0
    .wavefront_size: 32
    .workgroup_processor_mode: 1
  - .args:
      - .address_space:  global
        .offset:         0
        .size:           8
        .value_kind:     global_buffer
      - .address_space:  global
        .offset:         8
        .size:           8
        .value_kind:     global_buffer
      - .offset:         16
        .size:           4
        .value_kind:     by_value
      - .offset:         20
        .size:           4
        .value_kind:     by_value
      - .offset:         24
        .size:           4
        .value_kind:     by_value
      - .offset:         28
        .size:           4
        .value_kind:     by_value
      - .offset:         32
        .size:           4
        .value_kind:     by_value
      - .offset:         36
        .size:           4
        .value_kind:     by_value
      - .offset:         40
        .size:           12
        .value_kind:     by_value
      - .offset:         52
        .size:           12
        .value_kind:     by_value
      - .offset:         64
        .size:           12
        .value_kind:     by_value
    .group_segment_fixed_size: 0
    .kernarg_segment_align: 8
    .kernarg_segment_size: 76
    .language:       OpenCL C
    .language_version:
      - 2
      - 0
    .max_flat_workgroup_size: 40
    .name:           _ZL33flash_attn_stream_k_fixup_uniformILi40ELi4ELi1EEvPfPK15HIP_vector_typeIfLj2EEiiiiiiS1_IjLj3EES5_S5_
    .private_segment_fixed_size: 0
    .sgpr_count:     22
    .sgpr_spill_count: 0
    .symbol:         _ZL33flash_attn_stream_k_fixup_uniformILi40ELi4ELi1EEvPfPK15HIP_vector_typeIfLj2EEiiiiiiS1_IjLj3EES5_S5_.kd
    .uniform_work_group_size: 1
    .uses_dynamic_stack: false
    .vgpr_count:     15
    .vgpr_spill_count: 0
    .wavefront_size: 32
    .workgroup_processor_mode: 1
  - .args:
      - .address_space:  global
        .offset:         0
        .size:           8
        .value_kind:     global_buffer
      - .address_space:  global
        .offset:         8
        .size:           8
        .value_kind:     global_buffer
      - .offset:         16
        .size:           4
        .value_kind:     by_value
      - .offset:         20
        .size:           4
        .value_kind:     by_value
      - .offset:         24
        .size:           4
        .value_kind:     by_value
      - .offset:         28
        .size:           4
        .value_kind:     by_value
      - .offset:         32
        .size:           12
        .value_kind:     by_value
      - .offset:         44
        .size:           12
        .value_kind:     by_value
      - .offset:         56
        .size:           12
        .value_kind:     by_value
      - .offset:         68
        .size:           12
        .value_kind:     by_value
      - .offset:         80
        .size:           4
        .value_kind:     hidden_block_count_x
      - .offset:         84
        .size:           4
        .value_kind:     hidden_block_count_y
      - .offset:         88
        .size:           4
        .value_kind:     hidden_block_count_z
      - .offset:         92
        .size:           2
        .value_kind:     hidden_group_size_x
      - .offset:         94
        .size:           2
        .value_kind:     hidden_group_size_y
      - .offset:         96
        .size:           2
        .value_kind:     hidden_group_size_z
      - .offset:         98
        .size:           2
        .value_kind:     hidden_remainder_x
      - .offset:         100
        .size:           2
        .value_kind:     hidden_remainder_y
      - .offset:         102
        .size:           2
        .value_kind:     hidden_remainder_z
      - .offset:         120
        .size:           8
        .value_kind:     hidden_global_offset_x
      - .offset:         128
        .size:           8
        .value_kind:     hidden_global_offset_y
      - .offset:         136
        .size:           8
        .value_kind:     hidden_global_offset_z
      - .offset:         144
        .size:           2
        .value_kind:     hidden_grid_dims
    .group_segment_fixed_size: 0
    .kernarg_segment_align: 8
    .kernarg_segment_size: 336
    .language:       OpenCL C
    .language_version:
      - 2
      - 0
    .max_flat_workgroup_size: 40
    .name:           _ZL33flash_attn_stream_k_fixup_generalILi40ELi4ELi1EEvPfPK15HIP_vector_typeIfLj2EEiiiiS1_IjLj3EES5_S5_S5_
    .private_segment_fixed_size: 0
    .sgpr_count:     34
    .sgpr_spill_count: 0
    .symbol:         _ZL33flash_attn_stream_k_fixup_generalILi40ELi4ELi1EEvPfPK15HIP_vector_typeIfLj2EEiiiiS1_IjLj3EES5_S5_S5_.kd
    .uniform_work_group_size: 1
    .uses_dynamic_stack: false
    .vgpr_count:     19
    .vgpr_spill_count: 0
    .wavefront_size: 32
    .workgroup_processor_mode: 1
  - .args:
      - .address_space:  global
        .offset:         0
        .size:           8
        .value_kind:     global_buffer
      - .address_space:  global
        .offset:         8
        .size:           8
        .value_kind:     global_buffer
      - .address_space:  global
        .offset:         16
        .size:           8
        .value_kind:     global_buffer
      - .address_space:  global
        .offset:         24
        .size:           8
        .value_kind:     global_buffer
      - .address_space:  global
        .offset:         32
        .size:           8
        .value_kind:     global_buffer
      - .address_space:  global
        .offset:         40
        .size:           8
        .value_kind:     global_buffer
      - .address_space:  global
        .offset:         48
        .size:           8
        .value_kind:     global_buffer
      - .address_space:  global
        .offset:         56
        .size:           8
        .value_kind:     global_buffer
      - .offset:         64
        .size:           4
        .value_kind:     by_value
      - .offset:         68
        .size:           4
        .value_kind:     by_value
      - .offset:         72
        .size:           4
        .value_kind:     by_value
      - .offset:         76
        .size:           4
        .value_kind:     by_value
      - .offset:         80
        .size:           4
        .value_kind:     by_value
      - .offset:         84
        .size:           4
        .value_kind:     by_value
      - .offset:         88
        .size:           4
        .value_kind:     by_value
      - .offset:         92
        .size:           12
        .value_kind:     by_value
      - .offset:         104
        .size:           4
        .value_kind:     by_value
      - .offset:         108
        .size:           4
        .value_kind:     by_value
      - .offset:         112
        .size:           4
        .value_kind:     by_value
      - .offset:         116
        .size:           4
        .value_kind:     by_value
      - .offset:         120
        .size:           4
        .value_kind:     by_value
      - .offset:         124
        .size:           4
        .value_kind:     by_value
      - .offset:         128
        .size:           4
        .value_kind:     by_value
      - .offset:         132
        .size:           4
        .value_kind:     by_value
      - .offset:         136
        .size:           4
        .value_kind:     by_value
      - .offset:         140
        .size:           4
        .value_kind:     by_value
      - .offset:         144
        .size:           4
        .value_kind:     by_value
      - .offset:         152
        .size:           8
        .value_kind:     by_value
      - .offset:         160
        .size:           4
        .value_kind:     by_value
      - .offset:         164
        .size:           4
        .value_kind:     by_value
      - .offset:         168
        .size:           8
        .value_kind:     by_value
      - .offset:         176
        .size:           4
        .value_kind:     by_value
      - .offset:         180
        .size:           4
        .value_kind:     by_value
      - .offset:         184
        .size:           4
        .value_kind:     by_value
      - .offset:         188
        .size:           4
        .value_kind:     by_value
      - .offset:         192
        .size:           4
        .value_kind:     by_value
      - .offset:         200
        .size:           8
        .value_kind:     by_value
      - .offset:         208
        .size:           4
        .value_kind:     hidden_block_count_x
      - .offset:         212
        .size:           4
        .value_kind:     hidden_block_count_y
      - .offset:         216
        .size:           4
        .value_kind:     hidden_block_count_z
      - .offset:         220
        .size:           2
        .value_kind:     hidden_group_size_x
      - .offset:         222
        .size:           2
        .value_kind:     hidden_group_size_y
      - .offset:         224
        .size:           2
        .value_kind:     hidden_group_size_z
      - .offset:         226
        .size:           2
        .value_kind:     hidden_remainder_x
      - .offset:         228
        .size:           2
        .value_kind:     hidden_remainder_y
      - .offset:         230
        .size:           2
        .value_kind:     hidden_remainder_z
      - .offset:         248
        .size:           8
        .value_kind:     hidden_global_offset_x
      - .offset:         256
        .size:           8
        .value_kind:     hidden_global_offset_y
      - .offset:         264
        .size:           8
        .value_kind:     hidden_global_offset_z
      - .offset:         272
        .size:           2
        .value_kind:     hidden_grid_dims
    .group_segment_fixed_size: 3456
    .kernarg_segment_align: 8
    .kernarg_segment_size: 464
    .language:       OpenCL C
    .language_version:
      - 2
      - 0
    .max_flat_workgroup_size: 64
    .name:           _ZL15flash_attn_tileILi40ELi40ELi2ELi1ELb0EEvPKcS1_S1_S1_S1_PKiPfP15HIP_vector_typeIfLj2EEffffjfiS5_IjLj3EEiiiiiiiiiiiliiliiiiil
    .private_segment_fixed_size: 32
    .sgpr_count:     54
    .sgpr_spill_count: 0
    .symbol:         _ZL15flash_attn_tileILi40ELi40ELi2ELi1ELb0EEvPKcS1_S1_S1_S1_PKiPfP15HIP_vector_typeIfLj2EEffffjfiS5_IjLj3EEiiiiiiiiiiiliiliiiiil.kd
    .uniform_work_group_size: 1
    .uses_dynamic_stack: false
    .vgpr_count:     52
    .vgpr_spill_count: 0
    .wavefront_size: 32
    .workgroup_processor_mode: 1
  - .args:
      - .address_space:  global
        .offset:         0
        .size:           8
        .value_kind:     global_buffer
      - .address_space:  global
        .offset:         8
        .size:           8
        .value_kind:     global_buffer
      - .offset:         16
        .size:           4
        .value_kind:     by_value
      - .offset:         20
        .size:           4
        .value_kind:     by_value
      - .offset:         24
        .size:           4
        .value_kind:     by_value
      - .offset:         28
        .size:           4
        .value_kind:     by_value
      - .offset:         32
        .size:           4
        .value_kind:     by_value
      - .offset:         36
        .size:           4
        .value_kind:     by_value
      - .offset:         40
        .size:           12
        .value_kind:     by_value
      - .offset:         52
        .size:           12
        .value_kind:     by_value
      - .offset:         64
        .size:           12
        .value_kind:     by_value
    .group_segment_fixed_size: 0
    .kernarg_segment_align: 8
    .kernarg_segment_size: 76
    .language:       OpenCL C
    .language_version:
      - 2
      - 0
    .max_flat_workgroup_size: 40
    .name:           _ZL33flash_attn_stream_k_fixup_uniformILi40ELi2ELi1EEvPfPK15HIP_vector_typeIfLj2EEiiiiiiS1_IjLj3EES5_S5_
    .private_segment_fixed_size: 0
    .sgpr_count:     22
    .sgpr_spill_count: 0
    .symbol:         _ZL33flash_attn_stream_k_fixup_uniformILi40ELi2ELi1EEvPfPK15HIP_vector_typeIfLj2EEiiiiiiS1_IjLj3EES5_S5_.kd
    .uniform_work_group_size: 1
    .uses_dynamic_stack: false
    .vgpr_count:     15
    .vgpr_spill_count: 0
    .wavefront_size: 32
    .workgroup_processor_mode: 1
  - .args:
      - .address_space:  global
        .offset:         0
        .size:           8
        .value_kind:     global_buffer
      - .address_space:  global
        .offset:         8
        .size:           8
        .value_kind:     global_buffer
      - .offset:         16
        .size:           4
        .value_kind:     by_value
      - .offset:         20
        .size:           4
        .value_kind:     by_value
      - .offset:         24
        .size:           4
        .value_kind:     by_value
      - .offset:         28
        .size:           4
        .value_kind:     by_value
      - .offset:         32
        .size:           12
        .value_kind:     by_value
      - .offset:         44
        .size:           12
        .value_kind:     by_value
      - .offset:         56
        .size:           12
        .value_kind:     by_value
      - .offset:         68
        .size:           12
        .value_kind:     by_value
      - .offset:         80
        .size:           4
        .value_kind:     hidden_block_count_x
      - .offset:         84
        .size:           4
        .value_kind:     hidden_block_count_y
      - .offset:         88
        .size:           4
        .value_kind:     hidden_block_count_z
      - .offset:         92
        .size:           2
        .value_kind:     hidden_group_size_x
      - .offset:         94
        .size:           2
        .value_kind:     hidden_group_size_y
      - .offset:         96
        .size:           2
        .value_kind:     hidden_group_size_z
      - .offset:         98
        .size:           2
        .value_kind:     hidden_remainder_x
      - .offset:         100
        .size:           2
        .value_kind:     hidden_remainder_y
      - .offset:         102
        .size:           2
        .value_kind:     hidden_remainder_z
      - .offset:         120
        .size:           8
        .value_kind:     hidden_global_offset_x
      - .offset:         128
        .size:           8
        .value_kind:     hidden_global_offset_y
      - .offset:         136
        .size:           8
        .value_kind:     hidden_global_offset_z
      - .offset:         144
        .size:           2
        .value_kind:     hidden_grid_dims
    .group_segment_fixed_size: 0
    .kernarg_segment_align: 8
    .kernarg_segment_size: 336
    .language:       OpenCL C
    .language_version:
      - 2
      - 0
    .max_flat_workgroup_size: 40
    .name:           _ZL33flash_attn_stream_k_fixup_generalILi40ELi2ELi1EEvPfPK15HIP_vector_typeIfLj2EEiiiiS1_IjLj3EES5_S5_S5_
    .private_segment_fixed_size: 0
    .sgpr_count:     34
    .sgpr_spill_count: 0
    .symbol:         _ZL33flash_attn_stream_k_fixup_generalILi40ELi2ELi1EEvPfPK15HIP_vector_typeIfLj2EEiiiiS1_IjLj3EES5_S5_S5_.kd
    .uniform_work_group_size: 1
    .uses_dynamic_stack: false
    .vgpr_count:     19
    .vgpr_spill_count: 0
    .wavefront_size: 32
    .workgroup_processor_mode: 1
  - .args:
      - .address_space:  global
        .offset:         0
        .size:           8
        .value_kind:     global_buffer
      - .address_space:  global
        .offset:         8
        .size:           8
        .value_kind:     global_buffer
      - .address_space:  global
        .offset:         16
        .size:           8
        .value_kind:     global_buffer
      - .address_space:  global
        .offset:         24
        .size:           8
        .value_kind:     global_buffer
      - .address_space:  global
        .offset:         32
        .size:           8
        .value_kind:     global_buffer
      - .address_space:  global
        .offset:         40
        .size:           8
        .value_kind:     global_buffer
      - .address_space:  global
        .offset:         48
        .size:           8
        .value_kind:     global_buffer
      - .address_space:  global
        .offset:         56
        .size:           8
        .value_kind:     global_buffer
      - .offset:         64
        .size:           4
        .value_kind:     by_value
      - .offset:         68
        .size:           4
        .value_kind:     by_value
      - .offset:         72
        .size:           4
        .value_kind:     by_value
      - .offset:         76
        .size:           4
        .value_kind:     by_value
      - .offset:         80
        .size:           4
        .value_kind:     by_value
      - .offset:         84
        .size:           4
        .value_kind:     by_value
      - .offset:         88
        .size:           4
        .value_kind:     by_value
      - .offset:         92
        .size:           12
        .value_kind:     by_value
      - .offset:         104
        .size:           4
        .value_kind:     by_value
      - .offset:         108
        .size:           4
        .value_kind:     by_value
      - .offset:         112
        .size:           4
        .value_kind:     by_value
      - .offset:         116
        .size:           4
        .value_kind:     by_value
      - .offset:         120
        .size:           4
        .value_kind:     by_value
      - .offset:         124
        .size:           4
        .value_kind:     by_value
      - .offset:         128
        .size:           4
        .value_kind:     by_value
      - .offset:         132
        .size:           4
        .value_kind:     by_value
      - .offset:         136
        .size:           4
        .value_kind:     by_value
      - .offset:         140
        .size:           4
        .value_kind:     by_value
      - .offset:         144
        .size:           4
        .value_kind:     by_value
      - .offset:         152
        .size:           8
        .value_kind:     by_value
      - .offset:         160
        .size:           4
        .value_kind:     by_value
      - .offset:         164
        .size:           4
        .value_kind:     by_value
      - .offset:         168
        .size:           8
        .value_kind:     by_value
      - .offset:         176
        .size:           4
        .value_kind:     by_value
      - .offset:         180
        .size:           4
        .value_kind:     by_value
      - .offset:         184
        .size:           4
        .value_kind:     by_value
      - .offset:         188
        .size:           4
        .value_kind:     by_value
      - .offset:         192
        .size:           4
        .value_kind:     by_value
      - .offset:         200
        .size:           8
        .value_kind:     by_value
      - .offset:         208
        .size:           4
        .value_kind:     hidden_block_count_x
      - .offset:         212
        .size:           4
        .value_kind:     hidden_block_count_y
      - .offset:         216
        .size:           4
        .value_kind:     hidden_block_count_z
      - .offset:         220
        .size:           2
        .value_kind:     hidden_group_size_x
      - .offset:         222
        .size:           2
        .value_kind:     hidden_group_size_y
      - .offset:         224
        .size:           2
        .value_kind:     hidden_group_size_z
      - .offset:         226
        .size:           2
        .value_kind:     hidden_remainder_x
      - .offset:         228
        .size:           2
        .value_kind:     hidden_remainder_y
      - .offset:         230
        .size:           2
        .value_kind:     hidden_remainder_z
      - .offset:         248
        .size:           8
        .value_kind:     hidden_global_offset_x
      - .offset:         256
        .size:           8
        .value_kind:     hidden_global_offset_y
      - .offset:         264
        .size:           8
        .value_kind:     hidden_global_offset_z
      - .offset:         272
        .size:           2
        .value_kind:     hidden_grid_dims
      - .offset:         288
        .size:           8
        .value_kind:     hidden_hostcall_buffer
    .group_segment_fixed_size: 0
    .kernarg_segment_align: 8
    .kernarg_segment_size: 464
    .language:       OpenCL C
    .language_version:
      - 2
      - 0
    .max_flat_workgroup_size: 256
    .name:           _ZL15flash_attn_tileILi40ELi40ELi8ELi8ELb1EEvPKcS1_S1_S1_S1_PKiPfP15HIP_vector_typeIfLj2EEffffjfiS5_IjLj3EEiiiiiiiiiiiliiliiiiil
    .private_segment_fixed_size: 16
    .sgpr_count:     36
    .sgpr_spill_count: 0
    .symbol:         _ZL15flash_attn_tileILi40ELi40ELi8ELi8ELb1EEvPKcS1_S1_S1_S1_PKiPfP15HIP_vector_typeIfLj2EEffffjfiS5_IjLj3EEiiiiiiiiiiiliiliiiiil.kd
    .uniform_work_group_size: 1
    .uses_dynamic_stack: false
    .vgpr_count:     37
    .vgpr_spill_count: 0
    .wavefront_size: 32
    .workgroup_processor_mode: 1
  - .args:
      - .address_space:  global
        .offset:         0
        .size:           8
        .value_kind:     global_buffer
      - .address_space:  global
        .offset:         8
        .size:           8
        .value_kind:     global_buffer
      - .address_space:  global
        .offset:         16
        .size:           8
        .value_kind:     global_buffer
      - .address_space:  global
        .offset:         24
        .size:           8
        .value_kind:     global_buffer
      - .address_space:  global
        .offset:         32
        .size:           8
        .value_kind:     global_buffer
      - .address_space:  global
        .offset:         40
        .size:           8
        .value_kind:     global_buffer
      - .address_space:  global
        .offset:         48
        .size:           8
        .value_kind:     global_buffer
      - .address_space:  global
        .offset:         56
        .size:           8
        .value_kind:     global_buffer
      - .offset:         64
        .size:           4
        .value_kind:     by_value
      - .offset:         68
        .size:           4
        .value_kind:     by_value
      - .offset:         72
        .size:           4
        .value_kind:     by_value
      - .offset:         76
        .size:           4
        .value_kind:     by_value
      - .offset:         80
        .size:           4
        .value_kind:     by_value
      - .offset:         84
        .size:           4
        .value_kind:     by_value
      - .offset:         88
        .size:           4
        .value_kind:     by_value
      - .offset:         92
        .size:           12
        .value_kind:     by_value
      - .offset:         104
        .size:           4
        .value_kind:     by_value
      - .offset:         108
        .size:           4
        .value_kind:     by_value
      - .offset:         112
        .size:           4
        .value_kind:     by_value
      - .offset:         116
        .size:           4
        .value_kind:     by_value
      - .offset:         120
        .size:           4
        .value_kind:     by_value
      - .offset:         124
        .size:           4
        .value_kind:     by_value
      - .offset:         128
        .size:           4
        .value_kind:     by_value
      - .offset:         132
        .size:           4
        .value_kind:     by_value
      - .offset:         136
        .size:           4
        .value_kind:     by_value
      - .offset:         140
        .size:           4
        .value_kind:     by_value
      - .offset:         144
        .size:           4
        .value_kind:     by_value
      - .offset:         152
        .size:           8
        .value_kind:     by_value
      - .offset:         160
        .size:           4
        .value_kind:     by_value
      - .offset:         164
        .size:           4
        .value_kind:     by_value
      - .offset:         168
        .size:           8
        .value_kind:     by_value
      - .offset:         176
        .size:           4
        .value_kind:     by_value
      - .offset:         180
        .size:           4
        .value_kind:     by_value
      - .offset:         184
        .size:           4
        .value_kind:     by_value
      - .offset:         188
        .size:           4
        .value_kind:     by_value
      - .offset:         192
        .size:           4
        .value_kind:     by_value
      - .offset:         200
        .size:           8
        .value_kind:     by_value
      - .offset:         208
        .size:           4
        .value_kind:     hidden_block_count_x
      - .offset:         212
        .size:           4
        .value_kind:     hidden_block_count_y
      - .offset:         216
        .size:           4
        .value_kind:     hidden_block_count_z
      - .offset:         220
        .size:           2
        .value_kind:     hidden_group_size_x
      - .offset:         222
        .size:           2
        .value_kind:     hidden_group_size_y
      - .offset:         224
        .size:           2
        .value_kind:     hidden_group_size_z
      - .offset:         226
        .size:           2
        .value_kind:     hidden_remainder_x
      - .offset:         228
        .size:           2
        .value_kind:     hidden_remainder_y
      - .offset:         230
        .size:           2
        .value_kind:     hidden_remainder_z
      - .offset:         248
        .size:           8
        .value_kind:     hidden_global_offset_x
      - .offset:         256
        .size:           8
        .value_kind:     hidden_global_offset_y
      - .offset:         264
        .size:           8
        .value_kind:     hidden_global_offset_z
      - .offset:         272
        .size:           2
        .value_kind:     hidden_grid_dims
      - .offset:         288
        .size:           8
        .value_kind:     hidden_hostcall_buffer
    .group_segment_fixed_size: 0
    .kernarg_segment_align: 8
    .kernarg_segment_size: 464
    .language:       OpenCL C
    .language_version:
      - 2
      - 0
    .max_flat_workgroup_size: 256
    .name:           _ZL15flash_attn_tileILi40ELi40ELi4ELi8ELb1EEvPKcS1_S1_S1_S1_PKiPfP15HIP_vector_typeIfLj2EEffffjfiS5_IjLj3EEiiiiiiiiiiiliiliiiiil
    .private_segment_fixed_size: 16
    .sgpr_count:     36
    .sgpr_spill_count: 0
    .symbol:         _ZL15flash_attn_tileILi40ELi40ELi4ELi8ELb1EEvPKcS1_S1_S1_S1_PKiPfP15HIP_vector_typeIfLj2EEffffjfiS5_IjLj3EEiiiiiiiiiiiliiliiiiil.kd
    .uniform_work_group_size: 1
    .uses_dynamic_stack: false
    .vgpr_count:     37
    .vgpr_spill_count: 0
    .wavefront_size: 32
    .workgroup_processor_mode: 1
  - .args:
      - .address_space:  global
        .offset:         0
        .size:           8
        .value_kind:     global_buffer
      - .address_space:  global
        .offset:         8
        .size:           8
        .value_kind:     global_buffer
      - .address_space:  global
        .offset:         16
        .size:           8
        .value_kind:     global_buffer
      - .address_space:  global
        .offset:         24
        .size:           8
        .value_kind:     global_buffer
      - .address_space:  global
        .offset:         32
        .size:           8
        .value_kind:     global_buffer
      - .address_space:  global
        .offset:         40
        .size:           8
        .value_kind:     global_buffer
      - .address_space:  global
        .offset:         48
        .size:           8
        .value_kind:     global_buffer
      - .address_space:  global
        .offset:         56
        .size:           8
        .value_kind:     global_buffer
      - .offset:         64
        .size:           4
        .value_kind:     by_value
      - .offset:         68
        .size:           4
        .value_kind:     by_value
      - .offset:         72
        .size:           4
        .value_kind:     by_value
      - .offset:         76
        .size:           4
        .value_kind:     by_value
      - .offset:         80
        .size:           4
        .value_kind:     by_value
      - .offset:         84
        .size:           4
        .value_kind:     by_value
      - .offset:         88
        .size:           4
        .value_kind:     by_value
      - .offset:         92
        .size:           12
        .value_kind:     by_value
      - .offset:         104
        .size:           4
        .value_kind:     by_value
      - .offset:         108
        .size:           4
        .value_kind:     by_value
      - .offset:         112
        .size:           4
        .value_kind:     by_value
      - .offset:         116
        .size:           4
        .value_kind:     by_value
      - .offset:         120
        .size:           4
        .value_kind:     by_value
      - .offset:         124
        .size:           4
        .value_kind:     by_value
      - .offset:         128
        .size:           4
        .value_kind:     by_value
      - .offset:         132
        .size:           4
        .value_kind:     by_value
      - .offset:         136
        .size:           4
        .value_kind:     by_value
      - .offset:         140
        .size:           4
        .value_kind:     by_value
      - .offset:         144
        .size:           4
        .value_kind:     by_value
      - .offset:         152
        .size:           8
        .value_kind:     by_value
      - .offset:         160
        .size:           4
        .value_kind:     by_value
      - .offset:         164
        .size:           4
        .value_kind:     by_value
      - .offset:         168
        .size:           8
        .value_kind:     by_value
      - .offset:         176
        .size:           4
        .value_kind:     by_value
      - .offset:         180
        .size:           4
        .value_kind:     by_value
      - .offset:         184
        .size:           4
        .value_kind:     by_value
      - .offset:         188
        .size:           4
        .value_kind:     by_value
      - .offset:         192
        .size:           4
        .value_kind:     by_value
      - .offset:         200
        .size:           8
        .value_kind:     by_value
      - .offset:         208
        .size:           4
        .value_kind:     hidden_block_count_x
      - .offset:         212
        .size:           4
        .value_kind:     hidden_block_count_y
      - .offset:         216
        .size:           4
        .value_kind:     hidden_block_count_z
      - .offset:         220
        .size:           2
        .value_kind:     hidden_group_size_x
      - .offset:         222
        .size:           2
        .value_kind:     hidden_group_size_y
      - .offset:         224
        .size:           2
        .value_kind:     hidden_group_size_z
      - .offset:         226
        .size:           2
        .value_kind:     hidden_remainder_x
      - .offset:         228
        .size:           2
        .value_kind:     hidden_remainder_y
      - .offset:         230
        .size:           2
        .value_kind:     hidden_remainder_z
      - .offset:         248
        .size:           8
        .value_kind:     hidden_global_offset_x
      - .offset:         256
        .size:           8
        .value_kind:     hidden_global_offset_y
      - .offset:         264
        .size:           8
        .value_kind:     hidden_global_offset_z
      - .offset:         272
        .size:           2
        .value_kind:     hidden_grid_dims
      - .offset:         288
        .size:           8
        .value_kind:     hidden_hostcall_buffer
    .group_segment_fixed_size: 0
    .kernarg_segment_align: 8
    .kernarg_segment_size: 464
    .language:       OpenCL C
    .language_version:
      - 2
      - 0
    .max_flat_workgroup_size: 256
    .name:           _ZL15flash_attn_tileILi40ELi40ELi2ELi8ELb1EEvPKcS1_S1_S1_S1_PKiPfP15HIP_vector_typeIfLj2EEffffjfiS5_IjLj3EEiiiiiiiiiiiliiliiiiil
    .private_segment_fixed_size: 16
    .sgpr_count:     36
    .sgpr_spill_count: 0
    .symbol:         _ZL15flash_attn_tileILi40ELi40ELi2ELi8ELb1EEvPKcS1_S1_S1_S1_PKiPfP15HIP_vector_typeIfLj2EEffffjfiS5_IjLj3EEiiiiiiiiiiiliiliiiiil.kd
    .uniform_work_group_size: 1
    .uses_dynamic_stack: false
    .vgpr_count:     37
    .vgpr_spill_count: 0
    .wavefront_size: 32
    .workgroup_processor_mode: 1
  - .args:
      - .address_space:  global
        .offset:         0
        .size:           8
        .value_kind:     global_buffer
      - .address_space:  global
        .offset:         8
        .size:           8
        .value_kind:     global_buffer
      - .address_space:  global
        .offset:         16
        .size:           8
        .value_kind:     global_buffer
      - .address_space:  global
        .offset:         24
        .size:           8
        .value_kind:     global_buffer
      - .address_space:  global
        .offset:         32
        .size:           8
        .value_kind:     global_buffer
      - .address_space:  global
        .offset:         40
        .size:           8
        .value_kind:     global_buffer
      - .address_space:  global
        .offset:         48
        .size:           8
        .value_kind:     global_buffer
      - .address_space:  global
        .offset:         56
        .size:           8
        .value_kind:     global_buffer
      - .offset:         64
        .size:           4
        .value_kind:     by_value
      - .offset:         68
        .size:           4
        .value_kind:     by_value
      - .offset:         72
        .size:           4
        .value_kind:     by_value
      - .offset:         76
        .size:           4
        .value_kind:     by_value
      - .offset:         80
        .size:           4
        .value_kind:     by_value
      - .offset:         84
        .size:           4
        .value_kind:     by_value
      - .offset:         88
        .size:           4
        .value_kind:     by_value
      - .offset:         92
        .size:           12
        .value_kind:     by_value
      - .offset:         104
        .size:           4
        .value_kind:     by_value
      - .offset:         108
        .size:           4
        .value_kind:     by_value
      - .offset:         112
        .size:           4
        .value_kind:     by_value
      - .offset:         116
        .size:           4
        .value_kind:     by_value
      - .offset:         120
        .size:           4
        .value_kind:     by_value
      - .offset:         124
        .size:           4
        .value_kind:     by_value
      - .offset:         128
        .size:           4
        .value_kind:     by_value
      - .offset:         132
        .size:           4
        .value_kind:     by_value
      - .offset:         136
        .size:           4
        .value_kind:     by_value
      - .offset:         140
        .size:           4
        .value_kind:     by_value
      - .offset:         144
        .size:           4
        .value_kind:     by_value
      - .offset:         152
        .size:           8
        .value_kind:     by_value
      - .offset:         160
        .size:           4
        .value_kind:     by_value
      - .offset:         164
        .size:           4
        .value_kind:     by_value
      - .offset:         168
        .size:           8
        .value_kind:     by_value
      - .offset:         176
        .size:           4
        .value_kind:     by_value
      - .offset:         180
        .size:           4
        .value_kind:     by_value
      - .offset:         184
        .size:           4
        .value_kind:     by_value
      - .offset:         188
        .size:           4
        .value_kind:     by_value
      - .offset:         192
        .size:           4
        .value_kind:     by_value
      - .offset:         200
        .size:           8
        .value_kind:     by_value
      - .offset:         208
        .size:           4
        .value_kind:     hidden_block_count_x
      - .offset:         212
        .size:           4
        .value_kind:     hidden_block_count_y
      - .offset:         216
        .size:           4
        .value_kind:     hidden_block_count_z
      - .offset:         220
        .size:           2
        .value_kind:     hidden_group_size_x
      - .offset:         222
        .size:           2
        .value_kind:     hidden_group_size_y
      - .offset:         224
        .size:           2
        .value_kind:     hidden_group_size_z
      - .offset:         226
        .size:           2
        .value_kind:     hidden_remainder_x
      - .offset:         228
        .size:           2
        .value_kind:     hidden_remainder_y
      - .offset:         230
        .size:           2
        .value_kind:     hidden_remainder_z
      - .offset:         248
        .size:           8
        .value_kind:     hidden_global_offset_x
      - .offset:         256
        .size:           8
        .value_kind:     hidden_global_offset_y
      - .offset:         264
        .size:           8
        .value_kind:     hidden_global_offset_z
      - .offset:         272
        .size:           2
        .value_kind:     hidden_grid_dims
      - .offset:         288
        .size:           8
        .value_kind:     hidden_hostcall_buffer
    .group_segment_fixed_size: 0
    .kernarg_segment_align: 8
    .kernarg_segment_size: 464
    .language:       OpenCL C
    .language_version:
      - 2
      - 0
    .max_flat_workgroup_size: 256
    .name:           _ZL15flash_attn_tileILi40ELi40ELi1ELi8ELb1EEvPKcS1_S1_S1_S1_PKiPfP15HIP_vector_typeIfLj2EEffffjfiS5_IjLj3EEiiiiiiiiiiiliiliiiiil
    .private_segment_fixed_size: 16
    .sgpr_count:     36
    .sgpr_spill_count: 0
    .symbol:         _ZL15flash_attn_tileILi40ELi40ELi1ELi8ELb1EEvPKcS1_S1_S1_S1_PKiPfP15HIP_vector_typeIfLj2EEffffjfiS5_IjLj3EEiiiiiiiiiiiliiliiiiil.kd
    .uniform_work_group_size: 1
    .uses_dynamic_stack: false
    .vgpr_count:     37
    .vgpr_spill_count: 0
    .wavefront_size: 32
    .workgroup_processor_mode: 1
  - .args:
      - .address_space:  global
        .offset:         0
        .size:           8
        .value_kind:     global_buffer
      - .address_space:  global
        .offset:         8
        .size:           8
        .value_kind:     global_buffer
      - .address_space:  global
        .offset:         16
        .size:           8
        .value_kind:     global_buffer
      - .address_space:  global
        .offset:         24
        .size:           8
        .value_kind:     global_buffer
      - .address_space:  global
        .offset:         32
        .size:           8
        .value_kind:     global_buffer
      - .address_space:  global
        .offset:         40
        .size:           8
        .value_kind:     global_buffer
      - .address_space:  global
        .offset:         48
        .size:           8
        .value_kind:     global_buffer
      - .address_space:  global
        .offset:         56
        .size:           8
        .value_kind:     global_buffer
      - .offset:         64
        .size:           4
        .value_kind:     by_value
      - .offset:         68
        .size:           4
        .value_kind:     by_value
      - .offset:         72
        .size:           4
        .value_kind:     by_value
      - .offset:         76
        .size:           4
        .value_kind:     by_value
      - .offset:         80
        .size:           4
        .value_kind:     by_value
      - .offset:         84
        .size:           4
        .value_kind:     by_value
      - .offset:         88
        .size:           4
        .value_kind:     by_value
      - .offset:         92
        .size:           12
        .value_kind:     by_value
      - .offset:         104
        .size:           4
        .value_kind:     by_value
      - .offset:         108
        .size:           4
        .value_kind:     by_value
      - .offset:         112
        .size:           4
        .value_kind:     by_value
      - .offset:         116
        .size:           4
        .value_kind:     by_value
      - .offset:         120
        .size:           4
        .value_kind:     by_value
      - .offset:         124
        .size:           4
        .value_kind:     by_value
      - .offset:         128
        .size:           4
        .value_kind:     by_value
      - .offset:         132
        .size:           4
        .value_kind:     by_value
      - .offset:         136
        .size:           4
        .value_kind:     by_value
      - .offset:         140
        .size:           4
        .value_kind:     by_value
      - .offset:         144
        .size:           4
        .value_kind:     by_value
      - .offset:         152
        .size:           8
        .value_kind:     by_value
      - .offset:         160
        .size:           4
        .value_kind:     by_value
      - .offset:         164
        .size:           4
        .value_kind:     by_value
      - .offset:         168
        .size:           8
        .value_kind:     by_value
      - .offset:         176
        .size:           4
        .value_kind:     by_value
      - .offset:         180
        .size:           4
        .value_kind:     by_value
      - .offset:         184
        .size:           4
        .value_kind:     by_value
      - .offset:         188
        .size:           4
        .value_kind:     by_value
      - .offset:         192
        .size:           4
        .value_kind:     by_value
      - .offset:         200
        .size:           8
        .value_kind:     by_value
      - .offset:         208
        .size:           4
        .value_kind:     hidden_block_count_x
      - .offset:         212
        .size:           4
        .value_kind:     hidden_block_count_y
      - .offset:         216
        .size:           4
        .value_kind:     hidden_block_count_z
      - .offset:         220
        .size:           2
        .value_kind:     hidden_group_size_x
      - .offset:         222
        .size:           2
        .value_kind:     hidden_group_size_y
      - .offset:         224
        .size:           2
        .value_kind:     hidden_group_size_z
      - .offset:         226
        .size:           2
        .value_kind:     hidden_remainder_x
      - .offset:         228
        .size:           2
        .value_kind:     hidden_remainder_y
      - .offset:         230
        .size:           2
        .value_kind:     hidden_remainder_z
      - .offset:         248
        .size:           8
        .value_kind:     hidden_global_offset_x
      - .offset:         256
        .size:           8
        .value_kind:     hidden_global_offset_y
      - .offset:         264
        .size:           8
        .value_kind:     hidden_global_offset_z
      - .offset:         272
        .size:           2
        .value_kind:     hidden_grid_dims
      - .offset:         288
        .size:           8
        .value_kind:     hidden_hostcall_buffer
    .group_segment_fixed_size: 0
    .kernarg_segment_align: 8
    .kernarg_segment_size: 464
    .language:       OpenCL C
    .language_version:
      - 2
      - 0
    .max_flat_workgroup_size: 256
    .name:           _ZL15flash_attn_tileILi40ELi40ELi16ELi4ELb1EEvPKcS1_S1_S1_S1_PKiPfP15HIP_vector_typeIfLj2EEffffjfiS5_IjLj3EEiiiiiiiiiiiliiliiiiil
    .private_segment_fixed_size: 16
    .sgpr_count:     36
    .sgpr_spill_count: 0
    .symbol:         _ZL15flash_attn_tileILi40ELi40ELi16ELi4ELb1EEvPKcS1_S1_S1_S1_PKiPfP15HIP_vector_typeIfLj2EEffffjfiS5_IjLj3EEiiiiiiiiiiiliiliiiiil.kd
    .uniform_work_group_size: 1
    .uses_dynamic_stack: false
    .vgpr_count:     37
    .vgpr_spill_count: 0
    .wavefront_size: 32
    .workgroup_processor_mode: 1
  - .args:
      - .address_space:  global
        .offset:         0
        .size:           8
        .value_kind:     global_buffer
      - .address_space:  global
        .offset:         8
        .size:           8
        .value_kind:     global_buffer
      - .address_space:  global
        .offset:         16
        .size:           8
        .value_kind:     global_buffer
      - .address_space:  global
        .offset:         24
        .size:           8
        .value_kind:     global_buffer
      - .address_space:  global
        .offset:         32
        .size:           8
        .value_kind:     global_buffer
      - .address_space:  global
        .offset:         40
        .size:           8
        .value_kind:     global_buffer
      - .address_space:  global
        .offset:         48
        .size:           8
        .value_kind:     global_buffer
      - .address_space:  global
        .offset:         56
        .size:           8
        .value_kind:     global_buffer
      - .offset:         64
        .size:           4
        .value_kind:     by_value
      - .offset:         68
        .size:           4
        .value_kind:     by_value
      - .offset:         72
        .size:           4
        .value_kind:     by_value
      - .offset:         76
        .size:           4
        .value_kind:     by_value
      - .offset:         80
        .size:           4
        .value_kind:     by_value
      - .offset:         84
        .size:           4
        .value_kind:     by_value
      - .offset:         88
        .size:           4
        .value_kind:     by_value
      - .offset:         92
        .size:           12
        .value_kind:     by_value
      - .offset:         104
        .size:           4
        .value_kind:     by_value
      - .offset:         108
        .size:           4
        .value_kind:     by_value
      - .offset:         112
        .size:           4
        .value_kind:     by_value
      - .offset:         116
        .size:           4
        .value_kind:     by_value
      - .offset:         120
        .size:           4
        .value_kind:     by_value
      - .offset:         124
        .size:           4
        .value_kind:     by_value
      - .offset:         128
        .size:           4
        .value_kind:     by_value
      - .offset:         132
        .size:           4
        .value_kind:     by_value
      - .offset:         136
        .size:           4
        .value_kind:     by_value
      - .offset:         140
        .size:           4
        .value_kind:     by_value
      - .offset:         144
        .size:           4
        .value_kind:     by_value
      - .offset:         152
        .size:           8
        .value_kind:     by_value
      - .offset:         160
        .size:           4
        .value_kind:     by_value
      - .offset:         164
        .size:           4
        .value_kind:     by_value
      - .offset:         168
        .size:           8
        .value_kind:     by_value
      - .offset:         176
        .size:           4
        .value_kind:     by_value
      - .offset:         180
        .size:           4
        .value_kind:     by_value
      - .offset:         184
        .size:           4
        .value_kind:     by_value
      - .offset:         188
        .size:           4
        .value_kind:     by_value
      - .offset:         192
        .size:           4
        .value_kind:     by_value
      - .offset:         200
        .size:           8
        .value_kind:     by_value
      - .offset:         208
        .size:           4
        .value_kind:     hidden_block_count_x
      - .offset:         212
        .size:           4
        .value_kind:     hidden_block_count_y
      - .offset:         216
        .size:           4
        .value_kind:     hidden_block_count_z
      - .offset:         220
        .size:           2
        .value_kind:     hidden_group_size_x
      - .offset:         222
        .size:           2
        .value_kind:     hidden_group_size_y
      - .offset:         224
        .size:           2
        .value_kind:     hidden_group_size_z
      - .offset:         226
        .size:           2
        .value_kind:     hidden_remainder_x
      - .offset:         228
        .size:           2
        .value_kind:     hidden_remainder_y
      - .offset:         230
        .size:           2
        .value_kind:     hidden_remainder_z
      - .offset:         248
        .size:           8
        .value_kind:     hidden_global_offset_x
      - .offset:         256
        .size:           8
        .value_kind:     hidden_global_offset_y
      - .offset:         264
        .size:           8
        .value_kind:     hidden_global_offset_z
      - .offset:         272
        .size:           2
        .value_kind:     hidden_grid_dims
      - .offset:         288
        .size:           8
        .value_kind:     hidden_hostcall_buffer
    .group_segment_fixed_size: 0
    .kernarg_segment_align: 8
    .kernarg_segment_size: 464
    .language:       OpenCL C
    .language_version:
      - 2
      - 0
    .max_flat_workgroup_size: 256
    .name:           _ZL15flash_attn_tileILi40ELi40ELi8ELi4ELb1EEvPKcS1_S1_S1_S1_PKiPfP15HIP_vector_typeIfLj2EEffffjfiS5_IjLj3EEiiiiiiiiiiiliiliiiiil
    .private_segment_fixed_size: 16
    .sgpr_count:     36
    .sgpr_spill_count: 0
    .symbol:         _ZL15flash_attn_tileILi40ELi40ELi8ELi4ELb1EEvPKcS1_S1_S1_S1_PKiPfP15HIP_vector_typeIfLj2EEffffjfiS5_IjLj3EEiiiiiiiiiiiliiliiiiil.kd
    .uniform_work_group_size: 1
    .uses_dynamic_stack: false
    .vgpr_count:     37
    .vgpr_spill_count: 0
    .wavefront_size: 32
    .workgroup_processor_mode: 1
  - .args:
      - .address_space:  global
        .offset:         0
        .size:           8
        .value_kind:     global_buffer
      - .address_space:  global
        .offset:         8
        .size:           8
        .value_kind:     global_buffer
      - .address_space:  global
        .offset:         16
        .size:           8
        .value_kind:     global_buffer
      - .address_space:  global
        .offset:         24
        .size:           8
        .value_kind:     global_buffer
      - .address_space:  global
        .offset:         32
        .size:           8
        .value_kind:     global_buffer
      - .address_space:  global
        .offset:         40
        .size:           8
        .value_kind:     global_buffer
      - .address_space:  global
        .offset:         48
        .size:           8
        .value_kind:     global_buffer
      - .address_space:  global
        .offset:         56
        .size:           8
        .value_kind:     global_buffer
      - .offset:         64
        .size:           4
        .value_kind:     by_value
      - .offset:         68
        .size:           4
        .value_kind:     by_value
      - .offset:         72
        .size:           4
        .value_kind:     by_value
      - .offset:         76
        .size:           4
        .value_kind:     by_value
      - .offset:         80
        .size:           4
        .value_kind:     by_value
      - .offset:         84
        .size:           4
        .value_kind:     by_value
      - .offset:         88
        .size:           4
        .value_kind:     by_value
      - .offset:         92
        .size:           12
        .value_kind:     by_value
      - .offset:         104
        .size:           4
        .value_kind:     by_value
      - .offset:         108
        .size:           4
        .value_kind:     by_value
      - .offset:         112
        .size:           4
        .value_kind:     by_value
      - .offset:         116
        .size:           4
        .value_kind:     by_value
      - .offset:         120
        .size:           4
        .value_kind:     by_value
      - .offset:         124
        .size:           4
        .value_kind:     by_value
      - .offset:         128
        .size:           4
        .value_kind:     by_value
      - .offset:         132
        .size:           4
        .value_kind:     by_value
      - .offset:         136
        .size:           4
        .value_kind:     by_value
      - .offset:         140
        .size:           4
        .value_kind:     by_value
      - .offset:         144
        .size:           4
        .value_kind:     by_value
      - .offset:         152
        .size:           8
        .value_kind:     by_value
      - .offset:         160
        .size:           4
        .value_kind:     by_value
      - .offset:         164
        .size:           4
        .value_kind:     by_value
      - .offset:         168
        .size:           8
        .value_kind:     by_value
      - .offset:         176
        .size:           4
        .value_kind:     by_value
      - .offset:         180
        .size:           4
        .value_kind:     by_value
      - .offset:         184
        .size:           4
        .value_kind:     by_value
      - .offset:         188
        .size:           4
        .value_kind:     by_value
      - .offset:         192
        .size:           4
        .value_kind:     by_value
      - .offset:         200
        .size:           8
        .value_kind:     by_value
      - .offset:         208
        .size:           4
        .value_kind:     hidden_block_count_x
      - .offset:         212
        .size:           4
        .value_kind:     hidden_block_count_y
      - .offset:         216
        .size:           4
        .value_kind:     hidden_block_count_z
      - .offset:         220
        .size:           2
        .value_kind:     hidden_group_size_x
      - .offset:         222
        .size:           2
        .value_kind:     hidden_group_size_y
      - .offset:         224
        .size:           2
        .value_kind:     hidden_group_size_z
      - .offset:         226
        .size:           2
        .value_kind:     hidden_remainder_x
      - .offset:         228
        .size:           2
        .value_kind:     hidden_remainder_y
      - .offset:         230
        .size:           2
        .value_kind:     hidden_remainder_z
      - .offset:         248
        .size:           8
        .value_kind:     hidden_global_offset_x
      - .offset:         256
        .size:           8
        .value_kind:     hidden_global_offset_y
      - .offset:         264
        .size:           8
        .value_kind:     hidden_global_offset_z
      - .offset:         272
        .size:           2
        .value_kind:     hidden_grid_dims
      - .offset:         288
        .size:           8
        .value_kind:     hidden_hostcall_buffer
    .group_segment_fixed_size: 0
    .kernarg_segment_align: 8
    .kernarg_segment_size: 464
    .language:       OpenCL C
    .language_version:
      - 2
      - 0
    .max_flat_workgroup_size: 256
    .name:           _ZL15flash_attn_tileILi40ELi40ELi4ELi4ELb1EEvPKcS1_S1_S1_S1_PKiPfP15HIP_vector_typeIfLj2EEffffjfiS5_IjLj3EEiiiiiiiiiiiliiliiiiil
    .private_segment_fixed_size: 16
    .sgpr_count:     36
    .sgpr_spill_count: 0
    .symbol:         _ZL15flash_attn_tileILi40ELi40ELi4ELi4ELb1EEvPKcS1_S1_S1_S1_PKiPfP15HIP_vector_typeIfLj2EEffffjfiS5_IjLj3EEiiiiiiiiiiiliiliiiiil.kd
    .uniform_work_group_size: 1
    .uses_dynamic_stack: false
    .vgpr_count:     37
    .vgpr_spill_count: 0
    .wavefront_size: 32
    .workgroup_processor_mode: 1
  - .args:
      - .address_space:  global
        .offset:         0
        .size:           8
        .value_kind:     global_buffer
      - .address_space:  global
        .offset:         8
        .size:           8
        .value_kind:     global_buffer
      - .address_space:  global
        .offset:         16
        .size:           8
        .value_kind:     global_buffer
      - .address_space:  global
        .offset:         24
        .size:           8
        .value_kind:     global_buffer
      - .address_space:  global
        .offset:         32
        .size:           8
        .value_kind:     global_buffer
      - .address_space:  global
        .offset:         40
        .size:           8
        .value_kind:     global_buffer
      - .address_space:  global
        .offset:         48
        .size:           8
        .value_kind:     global_buffer
      - .address_space:  global
        .offset:         56
        .size:           8
        .value_kind:     global_buffer
      - .offset:         64
        .size:           4
        .value_kind:     by_value
      - .offset:         68
        .size:           4
        .value_kind:     by_value
      - .offset:         72
        .size:           4
        .value_kind:     by_value
      - .offset:         76
        .size:           4
        .value_kind:     by_value
      - .offset:         80
        .size:           4
        .value_kind:     by_value
      - .offset:         84
        .size:           4
        .value_kind:     by_value
      - .offset:         88
        .size:           4
        .value_kind:     by_value
      - .offset:         92
        .size:           12
        .value_kind:     by_value
      - .offset:         104
        .size:           4
        .value_kind:     by_value
      - .offset:         108
        .size:           4
        .value_kind:     by_value
      - .offset:         112
        .size:           4
        .value_kind:     by_value
      - .offset:         116
        .size:           4
        .value_kind:     by_value
      - .offset:         120
        .size:           4
        .value_kind:     by_value
      - .offset:         124
        .size:           4
        .value_kind:     by_value
      - .offset:         128
        .size:           4
        .value_kind:     by_value
      - .offset:         132
        .size:           4
        .value_kind:     by_value
      - .offset:         136
        .size:           4
        .value_kind:     by_value
      - .offset:         140
        .size:           4
        .value_kind:     by_value
      - .offset:         144
        .size:           4
        .value_kind:     by_value
      - .offset:         152
        .size:           8
        .value_kind:     by_value
      - .offset:         160
        .size:           4
        .value_kind:     by_value
      - .offset:         164
        .size:           4
        .value_kind:     by_value
      - .offset:         168
        .size:           8
        .value_kind:     by_value
      - .offset:         176
        .size:           4
        .value_kind:     by_value
      - .offset:         180
        .size:           4
        .value_kind:     by_value
      - .offset:         184
        .size:           4
        .value_kind:     by_value
      - .offset:         188
        .size:           4
        .value_kind:     by_value
      - .offset:         192
        .size:           4
        .value_kind:     by_value
      - .offset:         200
        .size:           8
        .value_kind:     by_value
      - .offset:         208
        .size:           4
        .value_kind:     hidden_block_count_x
      - .offset:         212
        .size:           4
        .value_kind:     hidden_block_count_y
      - .offset:         216
        .size:           4
        .value_kind:     hidden_block_count_z
      - .offset:         220
        .size:           2
        .value_kind:     hidden_group_size_x
      - .offset:         222
        .size:           2
        .value_kind:     hidden_group_size_y
      - .offset:         224
        .size:           2
        .value_kind:     hidden_group_size_z
      - .offset:         226
        .size:           2
        .value_kind:     hidden_remainder_x
      - .offset:         228
        .size:           2
        .value_kind:     hidden_remainder_y
      - .offset:         230
        .size:           2
        .value_kind:     hidden_remainder_z
      - .offset:         248
        .size:           8
        .value_kind:     hidden_global_offset_x
      - .offset:         256
        .size:           8
        .value_kind:     hidden_global_offset_y
      - .offset:         264
        .size:           8
        .value_kind:     hidden_global_offset_z
      - .offset:         272
        .size:           2
        .value_kind:     hidden_grid_dims
      - .offset:         288
        .size:           8
        .value_kind:     hidden_hostcall_buffer
    .group_segment_fixed_size: 0
    .kernarg_segment_align: 8
    .kernarg_segment_size: 464
    .language:       OpenCL C
    .language_version:
      - 2
      - 0
    .max_flat_workgroup_size: 256
    .name:           _ZL15flash_attn_tileILi40ELi40ELi2ELi4ELb1EEvPKcS1_S1_S1_S1_PKiPfP15HIP_vector_typeIfLj2EEffffjfiS5_IjLj3EEiiiiiiiiiiiliiliiiiil
    .private_segment_fixed_size: 16
    .sgpr_count:     36
    .sgpr_spill_count: 0
    .symbol:         _ZL15flash_attn_tileILi40ELi40ELi2ELi4ELb1EEvPKcS1_S1_S1_S1_PKiPfP15HIP_vector_typeIfLj2EEffffjfiS5_IjLj3EEiiiiiiiiiiiliiliiiiil.kd
    .uniform_work_group_size: 1
    .uses_dynamic_stack: false
    .vgpr_count:     37
    .vgpr_spill_count: 0
    .wavefront_size: 32
    .workgroup_processor_mode: 1
  - .args:
      - .address_space:  global
        .offset:         0
        .size:           8
        .value_kind:     global_buffer
      - .address_space:  global
        .offset:         8
        .size:           8
        .value_kind:     global_buffer
      - .address_space:  global
        .offset:         16
        .size:           8
        .value_kind:     global_buffer
      - .address_space:  global
        .offset:         24
        .size:           8
        .value_kind:     global_buffer
      - .address_space:  global
        .offset:         32
        .size:           8
        .value_kind:     global_buffer
      - .address_space:  global
        .offset:         40
        .size:           8
        .value_kind:     global_buffer
      - .address_space:  global
        .offset:         48
        .size:           8
        .value_kind:     global_buffer
      - .address_space:  global
        .offset:         56
        .size:           8
        .value_kind:     global_buffer
      - .offset:         64
        .size:           4
        .value_kind:     by_value
      - .offset:         68
        .size:           4
        .value_kind:     by_value
      - .offset:         72
        .size:           4
        .value_kind:     by_value
      - .offset:         76
        .size:           4
        .value_kind:     by_value
      - .offset:         80
        .size:           4
        .value_kind:     by_value
      - .offset:         84
        .size:           4
        .value_kind:     by_value
      - .offset:         88
        .size:           4
        .value_kind:     by_value
      - .offset:         92
        .size:           12
        .value_kind:     by_value
      - .offset:         104
        .size:           4
        .value_kind:     by_value
      - .offset:         108
        .size:           4
        .value_kind:     by_value
      - .offset:         112
        .size:           4
        .value_kind:     by_value
      - .offset:         116
        .size:           4
        .value_kind:     by_value
      - .offset:         120
        .size:           4
        .value_kind:     by_value
      - .offset:         124
        .size:           4
        .value_kind:     by_value
      - .offset:         128
        .size:           4
        .value_kind:     by_value
      - .offset:         132
        .size:           4
        .value_kind:     by_value
      - .offset:         136
        .size:           4
        .value_kind:     by_value
      - .offset:         140
        .size:           4
        .value_kind:     by_value
      - .offset:         144
        .size:           4
        .value_kind:     by_value
      - .offset:         152
        .size:           8
        .value_kind:     by_value
      - .offset:         160
        .size:           4
        .value_kind:     by_value
      - .offset:         164
        .size:           4
        .value_kind:     by_value
      - .offset:         168
        .size:           8
        .value_kind:     by_value
      - .offset:         176
        .size:           4
        .value_kind:     by_value
      - .offset:         180
        .size:           4
        .value_kind:     by_value
      - .offset:         184
        .size:           4
        .value_kind:     by_value
      - .offset:         188
        .size:           4
        .value_kind:     by_value
      - .offset:         192
        .size:           4
        .value_kind:     by_value
      - .offset:         200
        .size:           8
        .value_kind:     by_value
      - .offset:         208
        .size:           4
        .value_kind:     hidden_block_count_x
      - .offset:         212
        .size:           4
        .value_kind:     hidden_block_count_y
      - .offset:         216
        .size:           4
        .value_kind:     hidden_block_count_z
      - .offset:         220
        .size:           2
        .value_kind:     hidden_group_size_x
      - .offset:         222
        .size:           2
        .value_kind:     hidden_group_size_y
      - .offset:         224
        .size:           2
        .value_kind:     hidden_group_size_z
      - .offset:         226
        .size:           2
        .value_kind:     hidden_remainder_x
      - .offset:         228
        .size:           2
        .value_kind:     hidden_remainder_y
      - .offset:         230
        .size:           2
        .value_kind:     hidden_remainder_z
      - .offset:         248
        .size:           8
        .value_kind:     hidden_global_offset_x
      - .offset:         256
        .size:           8
        .value_kind:     hidden_global_offset_y
      - .offset:         264
        .size:           8
        .value_kind:     hidden_global_offset_z
      - .offset:         272
        .size:           2
        .value_kind:     hidden_grid_dims
      - .offset:         288
        .size:           8
        .value_kind:     hidden_hostcall_buffer
    .group_segment_fixed_size: 0
    .kernarg_segment_align: 8
    .kernarg_segment_size: 464
    .language:       OpenCL C
    .language_version:
      - 2
      - 0
    .max_flat_workgroup_size: 128
    .name:           _ZL15flash_attn_tileILi40ELi40ELi1ELi4ELb1EEvPKcS1_S1_S1_S1_PKiPfP15HIP_vector_typeIfLj2EEffffjfiS5_IjLj3EEiiiiiiiiiiiliiliiiiil
    .private_segment_fixed_size: 16
    .sgpr_count:     36
    .sgpr_spill_count: 0
    .symbol:         _ZL15flash_attn_tileILi40ELi40ELi1ELi4ELb1EEvPKcS1_S1_S1_S1_PKiPfP15HIP_vector_typeIfLj2EEffffjfiS5_IjLj3EEiiiiiiiiiiiliiliiiiil.kd
    .uniform_work_group_size: 1
    .uses_dynamic_stack: false
    .vgpr_count:     37
    .vgpr_spill_count: 0
    .wavefront_size: 32
    .workgroup_processor_mode: 1
  - .args:
      - .address_space:  global
        .offset:         0
        .size:           8
        .value_kind:     global_buffer
      - .address_space:  global
        .offset:         8
        .size:           8
        .value_kind:     global_buffer
      - .address_space:  global
        .offset:         16
        .size:           8
        .value_kind:     global_buffer
      - .address_space:  global
        .offset:         24
        .size:           8
        .value_kind:     global_buffer
      - .address_space:  global
        .offset:         32
        .size:           8
        .value_kind:     global_buffer
      - .address_space:  global
        .offset:         40
        .size:           8
        .value_kind:     global_buffer
      - .address_space:  global
        .offset:         48
        .size:           8
        .value_kind:     global_buffer
      - .address_space:  global
        .offset:         56
        .size:           8
        .value_kind:     global_buffer
      - .offset:         64
        .size:           4
        .value_kind:     by_value
      - .offset:         68
        .size:           4
        .value_kind:     by_value
      - .offset:         72
        .size:           4
        .value_kind:     by_value
      - .offset:         76
        .size:           4
        .value_kind:     by_value
      - .offset:         80
        .size:           4
        .value_kind:     by_value
      - .offset:         84
        .size:           4
        .value_kind:     by_value
      - .offset:         88
        .size:           4
        .value_kind:     by_value
      - .offset:         92
        .size:           12
        .value_kind:     by_value
      - .offset:         104
        .size:           4
        .value_kind:     by_value
      - .offset:         108
        .size:           4
        .value_kind:     by_value
      - .offset:         112
        .size:           4
        .value_kind:     by_value
      - .offset:         116
        .size:           4
        .value_kind:     by_value
      - .offset:         120
        .size:           4
        .value_kind:     by_value
      - .offset:         124
        .size:           4
        .value_kind:     by_value
      - .offset:         128
        .size:           4
        .value_kind:     by_value
      - .offset:         132
        .size:           4
        .value_kind:     by_value
      - .offset:         136
        .size:           4
        .value_kind:     by_value
      - .offset:         140
        .size:           4
        .value_kind:     by_value
      - .offset:         144
        .size:           4
        .value_kind:     by_value
      - .offset:         152
        .size:           8
        .value_kind:     by_value
      - .offset:         160
        .size:           4
        .value_kind:     by_value
      - .offset:         164
        .size:           4
        .value_kind:     by_value
      - .offset:         168
        .size:           8
        .value_kind:     by_value
      - .offset:         176
        .size:           4
        .value_kind:     by_value
      - .offset:         180
        .size:           4
        .value_kind:     by_value
      - .offset:         184
        .size:           4
        .value_kind:     by_value
      - .offset:         188
        .size:           4
        .value_kind:     by_value
      - .offset:         192
        .size:           4
        .value_kind:     by_value
      - .offset:         200
        .size:           8
        .value_kind:     by_value
      - .offset:         208
        .size:           4
        .value_kind:     hidden_block_count_x
      - .offset:         212
        .size:           4
        .value_kind:     hidden_block_count_y
      - .offset:         216
        .size:           4
        .value_kind:     hidden_block_count_z
      - .offset:         220
        .size:           2
        .value_kind:     hidden_group_size_x
      - .offset:         222
        .size:           2
        .value_kind:     hidden_group_size_y
      - .offset:         224
        .size:           2
        .value_kind:     hidden_group_size_z
      - .offset:         226
        .size:           2
        .value_kind:     hidden_remainder_x
      - .offset:         228
        .size:           2
        .value_kind:     hidden_remainder_y
      - .offset:         230
        .size:           2
        .value_kind:     hidden_remainder_z
      - .offset:         248
        .size:           8
        .value_kind:     hidden_global_offset_x
      - .offset:         256
        .size:           8
        .value_kind:     hidden_global_offset_y
      - .offset:         264
        .size:           8
        .value_kind:     hidden_global_offset_z
      - .offset:         272
        .size:           2
        .value_kind:     hidden_grid_dims
      - .offset:         288
        .size:           8
        .value_kind:     hidden_hostcall_buffer
    .group_segment_fixed_size: 0
    .kernarg_segment_align: 8
    .kernarg_segment_size: 464
    .language:       OpenCL C
    .language_version:
      - 2
      - 0
    .max_flat_workgroup_size: 256
    .name:           _ZL15flash_attn_tileILi40ELi40ELi32ELi2ELb1EEvPKcS1_S1_S1_S1_PKiPfP15HIP_vector_typeIfLj2EEffffjfiS5_IjLj3EEiiiiiiiiiiiliiliiiiil
    .private_segment_fixed_size: 16
    .sgpr_count:     36
    .sgpr_spill_count: 0
    .symbol:         _ZL15flash_attn_tileILi40ELi40ELi32ELi2ELb1EEvPKcS1_S1_S1_S1_PKiPfP15HIP_vector_typeIfLj2EEffffjfiS5_IjLj3EEiiiiiiiiiiiliiliiiiil.kd
    .uniform_work_group_size: 1
    .uses_dynamic_stack: false
    .vgpr_count:     37
    .vgpr_spill_count: 0
    .wavefront_size: 32
    .workgroup_processor_mode: 1
  - .args:
      - .address_space:  global
        .offset:         0
        .size:           8
        .value_kind:     global_buffer
      - .address_space:  global
        .offset:         8
        .size:           8
        .value_kind:     global_buffer
      - .address_space:  global
        .offset:         16
        .size:           8
        .value_kind:     global_buffer
      - .address_space:  global
        .offset:         24
        .size:           8
        .value_kind:     global_buffer
      - .address_space:  global
        .offset:         32
        .size:           8
        .value_kind:     global_buffer
      - .address_space:  global
        .offset:         40
        .size:           8
        .value_kind:     global_buffer
      - .address_space:  global
        .offset:         48
        .size:           8
        .value_kind:     global_buffer
      - .address_space:  global
        .offset:         56
        .size:           8
        .value_kind:     global_buffer
      - .offset:         64
        .size:           4
        .value_kind:     by_value
      - .offset:         68
        .size:           4
        .value_kind:     by_value
      - .offset:         72
        .size:           4
        .value_kind:     by_value
      - .offset:         76
        .size:           4
        .value_kind:     by_value
      - .offset:         80
        .size:           4
        .value_kind:     by_value
      - .offset:         84
        .size:           4
        .value_kind:     by_value
      - .offset:         88
        .size:           4
        .value_kind:     by_value
      - .offset:         92
        .size:           12
        .value_kind:     by_value
      - .offset:         104
        .size:           4
        .value_kind:     by_value
      - .offset:         108
        .size:           4
        .value_kind:     by_value
      - .offset:         112
        .size:           4
        .value_kind:     by_value
      - .offset:         116
        .size:           4
        .value_kind:     by_value
      - .offset:         120
        .size:           4
        .value_kind:     by_value
      - .offset:         124
        .size:           4
        .value_kind:     by_value
      - .offset:         128
        .size:           4
        .value_kind:     by_value
      - .offset:         132
        .size:           4
        .value_kind:     by_value
      - .offset:         136
        .size:           4
        .value_kind:     by_value
      - .offset:         140
        .size:           4
        .value_kind:     by_value
      - .offset:         144
        .size:           4
        .value_kind:     by_value
      - .offset:         152
        .size:           8
        .value_kind:     by_value
      - .offset:         160
        .size:           4
        .value_kind:     by_value
      - .offset:         164
        .size:           4
        .value_kind:     by_value
      - .offset:         168
        .size:           8
        .value_kind:     by_value
      - .offset:         176
        .size:           4
        .value_kind:     by_value
      - .offset:         180
        .size:           4
        .value_kind:     by_value
      - .offset:         184
        .size:           4
        .value_kind:     by_value
      - .offset:         188
        .size:           4
        .value_kind:     by_value
      - .offset:         192
        .size:           4
        .value_kind:     by_value
      - .offset:         200
        .size:           8
        .value_kind:     by_value
      - .offset:         208
        .size:           4
        .value_kind:     hidden_block_count_x
      - .offset:         212
        .size:           4
        .value_kind:     hidden_block_count_y
      - .offset:         216
        .size:           4
        .value_kind:     hidden_block_count_z
      - .offset:         220
        .size:           2
        .value_kind:     hidden_group_size_x
      - .offset:         222
        .size:           2
        .value_kind:     hidden_group_size_y
      - .offset:         224
        .size:           2
        .value_kind:     hidden_group_size_z
      - .offset:         226
        .size:           2
        .value_kind:     hidden_remainder_x
      - .offset:         228
        .size:           2
        .value_kind:     hidden_remainder_y
      - .offset:         230
        .size:           2
        .value_kind:     hidden_remainder_z
      - .offset:         248
        .size:           8
        .value_kind:     hidden_global_offset_x
      - .offset:         256
        .size:           8
        .value_kind:     hidden_global_offset_y
      - .offset:         264
        .size:           8
        .value_kind:     hidden_global_offset_z
      - .offset:         272
        .size:           2
        .value_kind:     hidden_grid_dims
      - .offset:         288
        .size:           8
        .value_kind:     hidden_hostcall_buffer
    .group_segment_fixed_size: 0
    .kernarg_segment_align: 8
    .kernarg_segment_size: 464
    .language:       OpenCL C
    .language_version:
      - 2
      - 0
    .max_flat_workgroup_size: 256
    .name:           _ZL15flash_attn_tileILi40ELi40ELi16ELi2ELb1EEvPKcS1_S1_S1_S1_PKiPfP15HIP_vector_typeIfLj2EEffffjfiS5_IjLj3EEiiiiiiiiiiiliiliiiiil
    .private_segment_fixed_size: 16
    .sgpr_count:     36
    .sgpr_spill_count: 0
    .symbol:         _ZL15flash_attn_tileILi40ELi40ELi16ELi2ELb1EEvPKcS1_S1_S1_S1_PKiPfP15HIP_vector_typeIfLj2EEffffjfiS5_IjLj3EEiiiiiiiiiiiliiliiiiil.kd
    .uniform_work_group_size: 1
    .uses_dynamic_stack: false
    .vgpr_count:     37
    .vgpr_spill_count: 0
    .wavefront_size: 32
    .workgroup_processor_mode: 1
  - .args:
      - .address_space:  global
        .offset:         0
        .size:           8
        .value_kind:     global_buffer
      - .address_space:  global
        .offset:         8
        .size:           8
        .value_kind:     global_buffer
      - .address_space:  global
        .offset:         16
        .size:           8
        .value_kind:     global_buffer
      - .address_space:  global
        .offset:         24
        .size:           8
        .value_kind:     global_buffer
      - .address_space:  global
        .offset:         32
        .size:           8
        .value_kind:     global_buffer
      - .address_space:  global
        .offset:         40
        .size:           8
        .value_kind:     global_buffer
      - .address_space:  global
        .offset:         48
        .size:           8
        .value_kind:     global_buffer
      - .address_space:  global
        .offset:         56
        .size:           8
        .value_kind:     global_buffer
      - .offset:         64
        .size:           4
        .value_kind:     by_value
      - .offset:         68
        .size:           4
        .value_kind:     by_value
      - .offset:         72
        .size:           4
        .value_kind:     by_value
      - .offset:         76
        .size:           4
        .value_kind:     by_value
      - .offset:         80
        .size:           4
        .value_kind:     by_value
      - .offset:         84
        .size:           4
        .value_kind:     by_value
      - .offset:         88
        .size:           4
        .value_kind:     by_value
      - .offset:         92
        .size:           12
        .value_kind:     by_value
      - .offset:         104
        .size:           4
        .value_kind:     by_value
      - .offset:         108
        .size:           4
        .value_kind:     by_value
      - .offset:         112
        .size:           4
        .value_kind:     by_value
      - .offset:         116
        .size:           4
        .value_kind:     by_value
      - .offset:         120
        .size:           4
        .value_kind:     by_value
      - .offset:         124
        .size:           4
        .value_kind:     by_value
      - .offset:         128
        .size:           4
        .value_kind:     by_value
      - .offset:         132
        .size:           4
        .value_kind:     by_value
      - .offset:         136
        .size:           4
        .value_kind:     by_value
      - .offset:         140
        .size:           4
        .value_kind:     by_value
      - .offset:         144
        .size:           4
        .value_kind:     by_value
      - .offset:         152
        .size:           8
        .value_kind:     by_value
      - .offset:         160
        .size:           4
        .value_kind:     by_value
      - .offset:         164
        .size:           4
        .value_kind:     by_value
      - .offset:         168
        .size:           8
        .value_kind:     by_value
      - .offset:         176
        .size:           4
        .value_kind:     by_value
      - .offset:         180
        .size:           4
        .value_kind:     by_value
      - .offset:         184
        .size:           4
        .value_kind:     by_value
      - .offset:         188
        .size:           4
        .value_kind:     by_value
      - .offset:         192
        .size:           4
        .value_kind:     by_value
      - .offset:         200
        .size:           8
        .value_kind:     by_value
      - .offset:         208
        .size:           4
        .value_kind:     hidden_block_count_x
      - .offset:         212
        .size:           4
        .value_kind:     hidden_block_count_y
      - .offset:         216
        .size:           4
        .value_kind:     hidden_block_count_z
      - .offset:         220
        .size:           2
        .value_kind:     hidden_group_size_x
      - .offset:         222
        .size:           2
        .value_kind:     hidden_group_size_y
      - .offset:         224
        .size:           2
        .value_kind:     hidden_group_size_z
      - .offset:         226
        .size:           2
        .value_kind:     hidden_remainder_x
      - .offset:         228
        .size:           2
        .value_kind:     hidden_remainder_y
      - .offset:         230
        .size:           2
        .value_kind:     hidden_remainder_z
      - .offset:         248
        .size:           8
        .value_kind:     hidden_global_offset_x
      - .offset:         256
        .size:           8
        .value_kind:     hidden_global_offset_y
      - .offset:         264
        .size:           8
        .value_kind:     hidden_global_offset_z
      - .offset:         272
        .size:           2
        .value_kind:     hidden_grid_dims
      - .offset:         288
        .size:           8
        .value_kind:     hidden_hostcall_buffer
    .group_segment_fixed_size: 0
    .kernarg_segment_align: 8
    .kernarg_segment_size: 464
    .language:       OpenCL C
    .language_version:
      - 2
      - 0
    .max_flat_workgroup_size: 256
    .name:           _ZL15flash_attn_tileILi40ELi40ELi8ELi2ELb1EEvPKcS1_S1_S1_S1_PKiPfP15HIP_vector_typeIfLj2EEffffjfiS5_IjLj3EEiiiiiiiiiiiliiliiiiil
    .private_segment_fixed_size: 16
    .sgpr_count:     36
    .sgpr_spill_count: 0
    .symbol:         _ZL15flash_attn_tileILi40ELi40ELi8ELi2ELb1EEvPKcS1_S1_S1_S1_PKiPfP15HIP_vector_typeIfLj2EEffffjfiS5_IjLj3EEiiiiiiiiiiiliiliiiiil.kd
    .uniform_work_group_size: 1
    .uses_dynamic_stack: false
    .vgpr_count:     37
    .vgpr_spill_count: 0
    .wavefront_size: 32
    .workgroup_processor_mode: 1
  - .args:
      - .address_space:  global
        .offset:         0
        .size:           8
        .value_kind:     global_buffer
      - .address_space:  global
        .offset:         8
        .size:           8
        .value_kind:     global_buffer
      - .address_space:  global
        .offset:         16
        .size:           8
        .value_kind:     global_buffer
      - .address_space:  global
        .offset:         24
        .size:           8
        .value_kind:     global_buffer
      - .address_space:  global
        .offset:         32
        .size:           8
        .value_kind:     global_buffer
      - .address_space:  global
        .offset:         40
        .size:           8
        .value_kind:     global_buffer
      - .address_space:  global
        .offset:         48
        .size:           8
        .value_kind:     global_buffer
      - .address_space:  global
        .offset:         56
        .size:           8
        .value_kind:     global_buffer
      - .offset:         64
        .size:           4
        .value_kind:     by_value
      - .offset:         68
        .size:           4
        .value_kind:     by_value
      - .offset:         72
        .size:           4
        .value_kind:     by_value
      - .offset:         76
        .size:           4
        .value_kind:     by_value
      - .offset:         80
        .size:           4
        .value_kind:     by_value
      - .offset:         84
        .size:           4
        .value_kind:     by_value
      - .offset:         88
        .size:           4
        .value_kind:     by_value
      - .offset:         92
        .size:           12
        .value_kind:     by_value
      - .offset:         104
        .size:           4
        .value_kind:     by_value
      - .offset:         108
        .size:           4
        .value_kind:     by_value
      - .offset:         112
        .size:           4
        .value_kind:     by_value
      - .offset:         116
        .size:           4
        .value_kind:     by_value
      - .offset:         120
        .size:           4
        .value_kind:     by_value
      - .offset:         124
        .size:           4
        .value_kind:     by_value
      - .offset:         128
        .size:           4
        .value_kind:     by_value
      - .offset:         132
        .size:           4
        .value_kind:     by_value
      - .offset:         136
        .size:           4
        .value_kind:     by_value
      - .offset:         140
        .size:           4
        .value_kind:     by_value
      - .offset:         144
        .size:           4
        .value_kind:     by_value
      - .offset:         152
        .size:           8
        .value_kind:     by_value
      - .offset:         160
        .size:           4
        .value_kind:     by_value
      - .offset:         164
        .size:           4
        .value_kind:     by_value
      - .offset:         168
        .size:           8
        .value_kind:     by_value
      - .offset:         176
        .size:           4
        .value_kind:     by_value
      - .offset:         180
        .size:           4
        .value_kind:     by_value
      - .offset:         184
        .size:           4
        .value_kind:     by_value
      - .offset:         188
        .size:           4
        .value_kind:     by_value
      - .offset:         192
        .size:           4
        .value_kind:     by_value
      - .offset:         200
        .size:           8
        .value_kind:     by_value
      - .offset:         208
        .size:           4
        .value_kind:     hidden_block_count_x
      - .offset:         212
        .size:           4
        .value_kind:     hidden_block_count_y
      - .offset:         216
        .size:           4
        .value_kind:     hidden_block_count_z
      - .offset:         220
        .size:           2
        .value_kind:     hidden_group_size_x
      - .offset:         222
        .size:           2
        .value_kind:     hidden_group_size_y
      - .offset:         224
        .size:           2
        .value_kind:     hidden_group_size_z
      - .offset:         226
        .size:           2
        .value_kind:     hidden_remainder_x
      - .offset:         228
        .size:           2
        .value_kind:     hidden_remainder_y
      - .offset:         230
        .size:           2
        .value_kind:     hidden_remainder_z
      - .offset:         248
        .size:           8
        .value_kind:     hidden_global_offset_x
      - .offset:         256
        .size:           8
        .value_kind:     hidden_global_offset_y
      - .offset:         264
        .size:           8
        .value_kind:     hidden_global_offset_z
      - .offset:         272
        .size:           2
        .value_kind:     hidden_grid_dims
      - .offset:         288
        .size:           8
        .value_kind:     hidden_hostcall_buffer
    .group_segment_fixed_size: 0
    .kernarg_segment_align: 8
    .kernarg_segment_size: 464
    .language:       OpenCL C
    .language_version:
      - 2
      - 0
    .max_flat_workgroup_size: 256
    .name:           _ZL15flash_attn_tileILi40ELi40ELi4ELi2ELb1EEvPKcS1_S1_S1_S1_PKiPfP15HIP_vector_typeIfLj2EEffffjfiS5_IjLj3EEiiiiiiiiiiiliiliiiiil
    .private_segment_fixed_size: 16
    .sgpr_count:     36
    .sgpr_spill_count: 0
    .symbol:         _ZL15flash_attn_tileILi40ELi40ELi4ELi2ELb1EEvPKcS1_S1_S1_S1_PKiPfP15HIP_vector_typeIfLj2EEffffjfiS5_IjLj3EEiiiiiiiiiiiliiliiiiil.kd
    .uniform_work_group_size: 1
    .uses_dynamic_stack: false
    .vgpr_count:     37
    .vgpr_spill_count: 0
    .wavefront_size: 32
    .workgroup_processor_mode: 1
  - .args:
      - .address_space:  global
        .offset:         0
        .size:           8
        .value_kind:     global_buffer
      - .address_space:  global
        .offset:         8
        .size:           8
        .value_kind:     global_buffer
      - .address_space:  global
        .offset:         16
        .size:           8
        .value_kind:     global_buffer
      - .address_space:  global
        .offset:         24
        .size:           8
        .value_kind:     global_buffer
      - .address_space:  global
        .offset:         32
        .size:           8
        .value_kind:     global_buffer
      - .address_space:  global
        .offset:         40
        .size:           8
        .value_kind:     global_buffer
      - .address_space:  global
        .offset:         48
        .size:           8
        .value_kind:     global_buffer
      - .address_space:  global
        .offset:         56
        .size:           8
        .value_kind:     global_buffer
      - .offset:         64
        .size:           4
        .value_kind:     by_value
      - .offset:         68
        .size:           4
        .value_kind:     by_value
      - .offset:         72
        .size:           4
        .value_kind:     by_value
      - .offset:         76
        .size:           4
        .value_kind:     by_value
      - .offset:         80
        .size:           4
        .value_kind:     by_value
      - .offset:         84
        .size:           4
        .value_kind:     by_value
      - .offset:         88
        .size:           4
        .value_kind:     by_value
      - .offset:         92
        .size:           12
        .value_kind:     by_value
      - .offset:         104
        .size:           4
        .value_kind:     by_value
      - .offset:         108
        .size:           4
        .value_kind:     by_value
      - .offset:         112
        .size:           4
        .value_kind:     by_value
      - .offset:         116
        .size:           4
        .value_kind:     by_value
      - .offset:         120
        .size:           4
        .value_kind:     by_value
      - .offset:         124
        .size:           4
        .value_kind:     by_value
      - .offset:         128
        .size:           4
        .value_kind:     by_value
      - .offset:         132
        .size:           4
        .value_kind:     by_value
      - .offset:         136
        .size:           4
        .value_kind:     by_value
      - .offset:         140
        .size:           4
        .value_kind:     by_value
      - .offset:         144
        .size:           4
        .value_kind:     by_value
      - .offset:         152
        .size:           8
        .value_kind:     by_value
      - .offset:         160
        .size:           4
        .value_kind:     by_value
      - .offset:         164
        .size:           4
        .value_kind:     by_value
      - .offset:         168
        .size:           8
        .value_kind:     by_value
      - .offset:         176
        .size:           4
        .value_kind:     by_value
      - .offset:         180
        .size:           4
        .value_kind:     by_value
      - .offset:         184
        .size:           4
        .value_kind:     by_value
      - .offset:         188
        .size:           4
        .value_kind:     by_value
      - .offset:         192
        .size:           4
        .value_kind:     by_value
      - .offset:         200
        .size:           8
        .value_kind:     by_value
      - .offset:         208
        .size:           4
        .value_kind:     hidden_block_count_x
      - .offset:         212
        .size:           4
        .value_kind:     hidden_block_count_y
      - .offset:         216
        .size:           4
        .value_kind:     hidden_block_count_z
      - .offset:         220
        .size:           2
        .value_kind:     hidden_group_size_x
      - .offset:         222
        .size:           2
        .value_kind:     hidden_group_size_y
      - .offset:         224
        .size:           2
        .value_kind:     hidden_group_size_z
      - .offset:         226
        .size:           2
        .value_kind:     hidden_remainder_x
      - .offset:         228
        .size:           2
        .value_kind:     hidden_remainder_y
      - .offset:         230
        .size:           2
        .value_kind:     hidden_remainder_z
      - .offset:         248
        .size:           8
        .value_kind:     hidden_global_offset_x
      - .offset:         256
        .size:           8
        .value_kind:     hidden_global_offset_y
      - .offset:         264
        .size:           8
        .value_kind:     hidden_global_offset_z
      - .offset:         272
        .size:           2
        .value_kind:     hidden_grid_dims
      - .offset:         288
        .size:           8
        .value_kind:     hidden_hostcall_buffer
    .group_segment_fixed_size: 0
    .kernarg_segment_align: 8
    .kernarg_segment_size: 464
    .language:       OpenCL C
    .language_version:
      - 2
      - 0
    .max_flat_workgroup_size: 128
    .name:           _ZL15flash_attn_tileILi40ELi40ELi2ELi2ELb1EEvPKcS1_S1_S1_S1_PKiPfP15HIP_vector_typeIfLj2EEffffjfiS5_IjLj3EEiiiiiiiiiiiliiliiiiil
    .private_segment_fixed_size: 16
    .sgpr_count:     36
    .sgpr_spill_count: 0
    .symbol:         _ZL15flash_attn_tileILi40ELi40ELi2ELi2ELb1EEvPKcS1_S1_S1_S1_PKiPfP15HIP_vector_typeIfLj2EEffffjfiS5_IjLj3EEiiiiiiiiiiiliiliiiiil.kd
    .uniform_work_group_size: 1
    .uses_dynamic_stack: false
    .vgpr_count:     37
    .vgpr_spill_count: 0
    .wavefront_size: 32
    .workgroup_processor_mode: 1
  - .args:
      - .address_space:  global
        .offset:         0
        .size:           8
        .value_kind:     global_buffer
      - .address_space:  global
        .offset:         8
        .size:           8
        .value_kind:     global_buffer
      - .address_space:  global
        .offset:         16
        .size:           8
        .value_kind:     global_buffer
      - .address_space:  global
        .offset:         24
        .size:           8
        .value_kind:     global_buffer
      - .address_space:  global
        .offset:         32
        .size:           8
        .value_kind:     global_buffer
      - .address_space:  global
        .offset:         40
        .size:           8
        .value_kind:     global_buffer
      - .address_space:  global
        .offset:         48
        .size:           8
        .value_kind:     global_buffer
      - .address_space:  global
        .offset:         56
        .size:           8
        .value_kind:     global_buffer
      - .offset:         64
        .size:           4
        .value_kind:     by_value
      - .offset:         68
        .size:           4
        .value_kind:     by_value
      - .offset:         72
        .size:           4
        .value_kind:     by_value
      - .offset:         76
        .size:           4
        .value_kind:     by_value
      - .offset:         80
        .size:           4
        .value_kind:     by_value
      - .offset:         84
        .size:           4
        .value_kind:     by_value
      - .offset:         88
        .size:           4
        .value_kind:     by_value
      - .offset:         92
        .size:           12
        .value_kind:     by_value
      - .offset:         104
        .size:           4
        .value_kind:     by_value
      - .offset:         108
        .size:           4
        .value_kind:     by_value
      - .offset:         112
        .size:           4
        .value_kind:     by_value
      - .offset:         116
        .size:           4
        .value_kind:     by_value
      - .offset:         120
        .size:           4
        .value_kind:     by_value
      - .offset:         124
        .size:           4
        .value_kind:     by_value
      - .offset:         128
        .size:           4
        .value_kind:     by_value
      - .offset:         132
        .size:           4
        .value_kind:     by_value
      - .offset:         136
        .size:           4
        .value_kind:     by_value
      - .offset:         140
        .size:           4
        .value_kind:     by_value
      - .offset:         144
        .size:           4
        .value_kind:     by_value
      - .offset:         152
        .size:           8
        .value_kind:     by_value
      - .offset:         160
        .size:           4
        .value_kind:     by_value
      - .offset:         164
        .size:           4
        .value_kind:     by_value
      - .offset:         168
        .size:           8
        .value_kind:     by_value
      - .offset:         176
        .size:           4
        .value_kind:     by_value
      - .offset:         180
        .size:           4
        .value_kind:     by_value
      - .offset:         184
        .size:           4
        .value_kind:     by_value
      - .offset:         188
        .size:           4
        .value_kind:     by_value
      - .offset:         192
        .size:           4
        .value_kind:     by_value
      - .offset:         200
        .size:           8
        .value_kind:     by_value
      - .offset:         208
        .size:           4
        .value_kind:     hidden_block_count_x
      - .offset:         212
        .size:           4
        .value_kind:     hidden_block_count_y
      - .offset:         216
        .size:           4
        .value_kind:     hidden_block_count_z
      - .offset:         220
        .size:           2
        .value_kind:     hidden_group_size_x
      - .offset:         222
        .size:           2
        .value_kind:     hidden_group_size_y
      - .offset:         224
        .size:           2
        .value_kind:     hidden_group_size_z
      - .offset:         226
        .size:           2
        .value_kind:     hidden_remainder_x
      - .offset:         228
        .size:           2
        .value_kind:     hidden_remainder_y
      - .offset:         230
        .size:           2
        .value_kind:     hidden_remainder_z
      - .offset:         248
        .size:           8
        .value_kind:     hidden_global_offset_x
      - .offset:         256
        .size:           8
        .value_kind:     hidden_global_offset_y
      - .offset:         264
        .size:           8
        .value_kind:     hidden_global_offset_z
      - .offset:         272
        .size:           2
        .value_kind:     hidden_grid_dims
      - .offset:         288
        .size:           8
        .value_kind:     hidden_hostcall_buffer
    .group_segment_fixed_size: 0
    .kernarg_segment_align: 8
    .kernarg_segment_size: 464
    .language:       OpenCL C
    .language_version:
      - 2
      - 0
    .max_flat_workgroup_size: 64
    .name:           _ZL15flash_attn_tileILi40ELi40ELi1ELi2ELb1EEvPKcS1_S1_S1_S1_PKiPfP15HIP_vector_typeIfLj2EEffffjfiS5_IjLj3EEiiiiiiiiiiiliiliiiiil
    .private_segment_fixed_size: 16
    .sgpr_count:     36
    .sgpr_spill_count: 0
    .symbol:         _ZL15flash_attn_tileILi40ELi40ELi1ELi2ELb1EEvPKcS1_S1_S1_S1_PKiPfP15HIP_vector_typeIfLj2EEffffjfiS5_IjLj3EEiiiiiiiiiiiliiliiiiil.kd
    .uniform_work_group_size: 1
    .uses_dynamic_stack: false
    .vgpr_count:     37
    .vgpr_spill_count: 0
    .wavefront_size: 32
    .workgroup_processor_mode: 1
  - .args:
      - .address_space:  global
        .offset:         0
        .size:           8
        .value_kind:     global_buffer
      - .address_space:  global
        .offset:         8
        .size:           8
        .value_kind:     global_buffer
      - .address_space:  global
        .offset:         16
        .size:           8
        .value_kind:     global_buffer
      - .address_space:  global
        .offset:         24
        .size:           8
        .value_kind:     global_buffer
      - .address_space:  global
        .offset:         32
        .size:           8
        .value_kind:     global_buffer
      - .address_space:  global
        .offset:         40
        .size:           8
        .value_kind:     global_buffer
      - .address_space:  global
        .offset:         48
        .size:           8
        .value_kind:     global_buffer
      - .address_space:  global
        .offset:         56
        .size:           8
        .value_kind:     global_buffer
      - .offset:         64
        .size:           4
        .value_kind:     by_value
      - .offset:         68
        .size:           4
        .value_kind:     by_value
      - .offset:         72
        .size:           4
        .value_kind:     by_value
      - .offset:         76
        .size:           4
        .value_kind:     by_value
      - .offset:         80
        .size:           4
        .value_kind:     by_value
      - .offset:         84
        .size:           4
        .value_kind:     by_value
      - .offset:         88
        .size:           4
        .value_kind:     by_value
      - .offset:         92
        .size:           12
        .value_kind:     by_value
      - .offset:         104
        .size:           4
        .value_kind:     by_value
      - .offset:         108
        .size:           4
        .value_kind:     by_value
      - .offset:         112
        .size:           4
        .value_kind:     by_value
      - .offset:         116
        .size:           4
        .value_kind:     by_value
      - .offset:         120
        .size:           4
        .value_kind:     by_value
      - .offset:         124
        .size:           4
        .value_kind:     by_value
      - .offset:         128
        .size:           4
        .value_kind:     by_value
      - .offset:         132
        .size:           4
        .value_kind:     by_value
      - .offset:         136
        .size:           4
        .value_kind:     by_value
      - .offset:         140
        .size:           4
        .value_kind:     by_value
      - .offset:         144
        .size:           4
        .value_kind:     by_value
      - .offset:         152
        .size:           8
        .value_kind:     by_value
      - .offset:         160
        .size:           4
        .value_kind:     by_value
      - .offset:         164
        .size:           4
        .value_kind:     by_value
      - .offset:         168
        .size:           8
        .value_kind:     by_value
      - .offset:         176
        .size:           4
        .value_kind:     by_value
      - .offset:         180
        .size:           4
        .value_kind:     by_value
      - .offset:         184
        .size:           4
        .value_kind:     by_value
      - .offset:         188
        .size:           4
        .value_kind:     by_value
      - .offset:         192
        .size:           4
        .value_kind:     by_value
      - .offset:         200
        .size:           8
        .value_kind:     by_value
      - .offset:         208
        .size:           4
        .value_kind:     hidden_block_count_x
      - .offset:         212
        .size:           4
        .value_kind:     hidden_block_count_y
      - .offset:         216
        .size:           4
        .value_kind:     hidden_block_count_z
      - .offset:         220
        .size:           2
        .value_kind:     hidden_group_size_x
      - .offset:         222
        .size:           2
        .value_kind:     hidden_group_size_y
      - .offset:         224
        .size:           2
        .value_kind:     hidden_group_size_z
      - .offset:         226
        .size:           2
        .value_kind:     hidden_remainder_x
      - .offset:         228
        .size:           2
        .value_kind:     hidden_remainder_y
      - .offset:         230
        .size:           2
        .value_kind:     hidden_remainder_z
      - .offset:         248
        .size:           8
        .value_kind:     hidden_global_offset_x
      - .offset:         256
        .size:           8
        .value_kind:     hidden_global_offset_y
      - .offset:         264
        .size:           8
        .value_kind:     hidden_global_offset_z
      - .offset:         272
        .size:           2
        .value_kind:     hidden_grid_dims
      - .offset:         288
        .size:           8
        .value_kind:     hidden_hostcall_buffer
    .group_segment_fixed_size: 0
    .kernarg_segment_align: 8
    .kernarg_segment_size: 464
    .language:       OpenCL C
    .language_version:
      - 2
      - 0
    .max_flat_workgroup_size: 256
    .name:           _ZL15flash_attn_tileILi40ELi40ELi64ELi1ELb1EEvPKcS1_S1_S1_S1_PKiPfP15HIP_vector_typeIfLj2EEffffjfiS5_IjLj3EEiiiiiiiiiiiliiliiiiil
    .private_segment_fixed_size: 16
    .sgpr_count:     36
    .sgpr_spill_count: 0
    .symbol:         _ZL15flash_attn_tileILi40ELi40ELi64ELi1ELb1EEvPKcS1_S1_S1_S1_PKiPfP15HIP_vector_typeIfLj2EEffffjfiS5_IjLj3EEiiiiiiiiiiiliiliiiiil.kd
    .uniform_work_group_size: 1
    .uses_dynamic_stack: false
    .vgpr_count:     37
    .vgpr_spill_count: 0
    .wavefront_size: 32
    .workgroup_processor_mode: 1
  - .args:
      - .address_space:  global
        .offset:         0
        .size:           8
        .value_kind:     global_buffer
      - .address_space:  global
        .offset:         8
        .size:           8
        .value_kind:     global_buffer
      - .address_space:  global
        .offset:         16
        .size:           8
        .value_kind:     global_buffer
      - .address_space:  global
        .offset:         24
        .size:           8
        .value_kind:     global_buffer
      - .address_space:  global
        .offset:         32
        .size:           8
        .value_kind:     global_buffer
      - .address_space:  global
        .offset:         40
        .size:           8
        .value_kind:     global_buffer
      - .address_space:  global
        .offset:         48
        .size:           8
        .value_kind:     global_buffer
      - .address_space:  global
        .offset:         56
        .size:           8
        .value_kind:     global_buffer
      - .offset:         64
        .size:           4
        .value_kind:     by_value
      - .offset:         68
        .size:           4
        .value_kind:     by_value
      - .offset:         72
        .size:           4
        .value_kind:     by_value
      - .offset:         76
        .size:           4
        .value_kind:     by_value
      - .offset:         80
        .size:           4
        .value_kind:     by_value
      - .offset:         84
        .size:           4
        .value_kind:     by_value
      - .offset:         88
        .size:           4
        .value_kind:     by_value
      - .offset:         92
        .size:           12
        .value_kind:     by_value
      - .offset:         104
        .size:           4
        .value_kind:     by_value
      - .offset:         108
        .size:           4
        .value_kind:     by_value
      - .offset:         112
        .size:           4
        .value_kind:     by_value
      - .offset:         116
        .size:           4
        .value_kind:     by_value
      - .offset:         120
        .size:           4
        .value_kind:     by_value
      - .offset:         124
        .size:           4
        .value_kind:     by_value
      - .offset:         128
        .size:           4
        .value_kind:     by_value
      - .offset:         132
        .size:           4
        .value_kind:     by_value
      - .offset:         136
        .size:           4
        .value_kind:     by_value
      - .offset:         140
        .size:           4
        .value_kind:     by_value
      - .offset:         144
        .size:           4
        .value_kind:     by_value
      - .offset:         152
        .size:           8
        .value_kind:     by_value
      - .offset:         160
        .size:           4
        .value_kind:     by_value
      - .offset:         164
        .size:           4
        .value_kind:     by_value
      - .offset:         168
        .size:           8
        .value_kind:     by_value
      - .offset:         176
        .size:           4
        .value_kind:     by_value
      - .offset:         180
        .size:           4
        .value_kind:     by_value
      - .offset:         184
        .size:           4
        .value_kind:     by_value
      - .offset:         188
        .size:           4
        .value_kind:     by_value
      - .offset:         192
        .size:           4
        .value_kind:     by_value
      - .offset:         200
        .size:           8
        .value_kind:     by_value
      - .offset:         208
        .size:           4
        .value_kind:     hidden_block_count_x
      - .offset:         212
        .size:           4
        .value_kind:     hidden_block_count_y
      - .offset:         216
        .size:           4
        .value_kind:     hidden_block_count_z
      - .offset:         220
        .size:           2
        .value_kind:     hidden_group_size_x
      - .offset:         222
        .size:           2
        .value_kind:     hidden_group_size_y
      - .offset:         224
        .size:           2
        .value_kind:     hidden_group_size_z
      - .offset:         226
        .size:           2
        .value_kind:     hidden_remainder_x
      - .offset:         228
        .size:           2
        .value_kind:     hidden_remainder_y
      - .offset:         230
        .size:           2
        .value_kind:     hidden_remainder_z
      - .offset:         248
        .size:           8
        .value_kind:     hidden_global_offset_x
      - .offset:         256
        .size:           8
        .value_kind:     hidden_global_offset_y
      - .offset:         264
        .size:           8
        .value_kind:     hidden_global_offset_z
      - .offset:         272
        .size:           2
        .value_kind:     hidden_grid_dims
      - .offset:         288
        .size:           8
        .value_kind:     hidden_hostcall_buffer
    .group_segment_fixed_size: 0
    .kernarg_segment_align: 8
    .kernarg_segment_size: 464
    .language:       OpenCL C
    .language_version:
      - 2
      - 0
    .max_flat_workgroup_size: 256
    .name:           _ZL15flash_attn_tileILi40ELi40ELi32ELi1ELb1EEvPKcS1_S1_S1_S1_PKiPfP15HIP_vector_typeIfLj2EEffffjfiS5_IjLj3EEiiiiiiiiiiiliiliiiiil
    .private_segment_fixed_size: 16
    .sgpr_count:     36
    .sgpr_spill_count: 0
    .symbol:         _ZL15flash_attn_tileILi40ELi40ELi32ELi1ELb1EEvPKcS1_S1_S1_S1_PKiPfP15HIP_vector_typeIfLj2EEffffjfiS5_IjLj3EEiiiiiiiiiiiliiliiiiil.kd
    .uniform_work_group_size: 1
    .uses_dynamic_stack: false
    .vgpr_count:     37
    .vgpr_spill_count: 0
    .wavefront_size: 32
    .workgroup_processor_mode: 1
  - .args:
      - .address_space:  global
        .offset:         0
        .size:           8
        .value_kind:     global_buffer
      - .address_space:  global
        .offset:         8
        .size:           8
        .value_kind:     global_buffer
      - .address_space:  global
        .offset:         16
        .size:           8
        .value_kind:     global_buffer
      - .address_space:  global
        .offset:         24
        .size:           8
        .value_kind:     global_buffer
      - .address_space:  global
        .offset:         32
        .size:           8
        .value_kind:     global_buffer
      - .address_space:  global
        .offset:         40
        .size:           8
        .value_kind:     global_buffer
      - .address_space:  global
        .offset:         48
        .size:           8
        .value_kind:     global_buffer
      - .address_space:  global
        .offset:         56
        .size:           8
        .value_kind:     global_buffer
      - .offset:         64
        .size:           4
        .value_kind:     by_value
      - .offset:         68
        .size:           4
        .value_kind:     by_value
      - .offset:         72
        .size:           4
        .value_kind:     by_value
      - .offset:         76
        .size:           4
        .value_kind:     by_value
      - .offset:         80
        .size:           4
        .value_kind:     by_value
      - .offset:         84
        .size:           4
        .value_kind:     by_value
      - .offset:         88
        .size:           4
        .value_kind:     by_value
      - .offset:         92
        .size:           12
        .value_kind:     by_value
      - .offset:         104
        .size:           4
        .value_kind:     by_value
      - .offset:         108
        .size:           4
        .value_kind:     by_value
      - .offset:         112
        .size:           4
        .value_kind:     by_value
      - .offset:         116
        .size:           4
        .value_kind:     by_value
      - .offset:         120
        .size:           4
        .value_kind:     by_value
      - .offset:         124
        .size:           4
        .value_kind:     by_value
      - .offset:         128
        .size:           4
        .value_kind:     by_value
      - .offset:         132
        .size:           4
        .value_kind:     by_value
      - .offset:         136
        .size:           4
        .value_kind:     by_value
      - .offset:         140
        .size:           4
        .value_kind:     by_value
      - .offset:         144
        .size:           4
        .value_kind:     by_value
      - .offset:         152
        .size:           8
        .value_kind:     by_value
      - .offset:         160
        .size:           4
        .value_kind:     by_value
      - .offset:         164
        .size:           4
        .value_kind:     by_value
      - .offset:         168
        .size:           8
        .value_kind:     by_value
      - .offset:         176
        .size:           4
        .value_kind:     by_value
      - .offset:         180
        .size:           4
        .value_kind:     by_value
      - .offset:         184
        .size:           4
        .value_kind:     by_value
      - .offset:         188
        .size:           4
        .value_kind:     by_value
      - .offset:         192
        .size:           4
        .value_kind:     by_value
      - .offset:         200
        .size:           8
        .value_kind:     by_value
      - .offset:         208
        .size:           4
        .value_kind:     hidden_block_count_x
      - .offset:         212
        .size:           4
        .value_kind:     hidden_block_count_y
      - .offset:         216
        .size:           4
        .value_kind:     hidden_block_count_z
      - .offset:         220
        .size:           2
        .value_kind:     hidden_group_size_x
      - .offset:         222
        .size:           2
        .value_kind:     hidden_group_size_y
      - .offset:         224
        .size:           2
        .value_kind:     hidden_group_size_z
      - .offset:         226
        .size:           2
        .value_kind:     hidden_remainder_x
      - .offset:         228
        .size:           2
        .value_kind:     hidden_remainder_y
      - .offset:         230
        .size:           2
        .value_kind:     hidden_remainder_z
      - .offset:         248
        .size:           8
        .value_kind:     hidden_global_offset_x
      - .offset:         256
        .size:           8
        .value_kind:     hidden_global_offset_y
      - .offset:         264
        .size:           8
        .value_kind:     hidden_global_offset_z
      - .offset:         272
        .size:           2
        .value_kind:     hidden_grid_dims
      - .offset:         288
        .size:           8
        .value_kind:     hidden_hostcall_buffer
    .group_segment_fixed_size: 0
    .kernarg_segment_align: 8
    .kernarg_segment_size: 464
    .language:       OpenCL C
    .language_version:
      - 2
      - 0
    .max_flat_workgroup_size: 256
    .name:           _ZL15flash_attn_tileILi40ELi40ELi16ELi1ELb1EEvPKcS1_S1_S1_S1_PKiPfP15HIP_vector_typeIfLj2EEffffjfiS5_IjLj3EEiiiiiiiiiiiliiliiiiil
    .private_segment_fixed_size: 16
    .sgpr_count:     36
    .sgpr_spill_count: 0
    .symbol:         _ZL15flash_attn_tileILi40ELi40ELi16ELi1ELb1EEvPKcS1_S1_S1_S1_PKiPfP15HIP_vector_typeIfLj2EEffffjfiS5_IjLj3EEiiiiiiiiiiiliiliiiiil.kd
    .uniform_work_group_size: 1
    .uses_dynamic_stack: false
    .vgpr_count:     37
    .vgpr_spill_count: 0
    .wavefront_size: 32
    .workgroup_processor_mode: 1
  - .args:
      - .address_space:  global
        .offset:         0
        .size:           8
        .value_kind:     global_buffer
      - .address_space:  global
        .offset:         8
        .size:           8
        .value_kind:     global_buffer
      - .address_space:  global
        .offset:         16
        .size:           8
        .value_kind:     global_buffer
      - .address_space:  global
        .offset:         24
        .size:           8
        .value_kind:     global_buffer
      - .address_space:  global
        .offset:         32
        .size:           8
        .value_kind:     global_buffer
      - .address_space:  global
        .offset:         40
        .size:           8
        .value_kind:     global_buffer
      - .address_space:  global
        .offset:         48
        .size:           8
        .value_kind:     global_buffer
      - .address_space:  global
        .offset:         56
        .size:           8
        .value_kind:     global_buffer
      - .offset:         64
        .size:           4
        .value_kind:     by_value
      - .offset:         68
        .size:           4
        .value_kind:     by_value
      - .offset:         72
        .size:           4
        .value_kind:     by_value
      - .offset:         76
        .size:           4
        .value_kind:     by_value
      - .offset:         80
        .size:           4
        .value_kind:     by_value
      - .offset:         84
        .size:           4
        .value_kind:     by_value
      - .offset:         88
        .size:           4
        .value_kind:     by_value
      - .offset:         92
        .size:           12
        .value_kind:     by_value
      - .offset:         104
        .size:           4
        .value_kind:     by_value
      - .offset:         108
        .size:           4
        .value_kind:     by_value
      - .offset:         112
        .size:           4
        .value_kind:     by_value
      - .offset:         116
        .size:           4
        .value_kind:     by_value
      - .offset:         120
        .size:           4
        .value_kind:     by_value
      - .offset:         124
        .size:           4
        .value_kind:     by_value
      - .offset:         128
        .size:           4
        .value_kind:     by_value
      - .offset:         132
        .size:           4
        .value_kind:     by_value
      - .offset:         136
        .size:           4
        .value_kind:     by_value
      - .offset:         140
        .size:           4
        .value_kind:     by_value
      - .offset:         144
        .size:           4
        .value_kind:     by_value
      - .offset:         152
        .size:           8
        .value_kind:     by_value
      - .offset:         160
        .size:           4
        .value_kind:     by_value
      - .offset:         164
        .size:           4
        .value_kind:     by_value
      - .offset:         168
        .size:           8
        .value_kind:     by_value
      - .offset:         176
        .size:           4
        .value_kind:     by_value
      - .offset:         180
        .size:           4
        .value_kind:     by_value
      - .offset:         184
        .size:           4
        .value_kind:     by_value
      - .offset:         188
        .size:           4
        .value_kind:     by_value
      - .offset:         192
        .size:           4
        .value_kind:     by_value
      - .offset:         200
        .size:           8
        .value_kind:     by_value
      - .offset:         208
        .size:           4
        .value_kind:     hidden_block_count_x
      - .offset:         212
        .size:           4
        .value_kind:     hidden_block_count_y
      - .offset:         216
        .size:           4
        .value_kind:     hidden_block_count_z
      - .offset:         220
        .size:           2
        .value_kind:     hidden_group_size_x
      - .offset:         222
        .size:           2
        .value_kind:     hidden_group_size_y
      - .offset:         224
        .size:           2
        .value_kind:     hidden_group_size_z
      - .offset:         226
        .size:           2
        .value_kind:     hidden_remainder_x
      - .offset:         228
        .size:           2
        .value_kind:     hidden_remainder_y
      - .offset:         230
        .size:           2
        .value_kind:     hidden_remainder_z
      - .offset:         248
        .size:           8
        .value_kind:     hidden_global_offset_x
      - .offset:         256
        .size:           8
        .value_kind:     hidden_global_offset_y
      - .offset:         264
        .size:           8
        .value_kind:     hidden_global_offset_z
      - .offset:         272
        .size:           2
        .value_kind:     hidden_grid_dims
      - .offset:         288
        .size:           8
        .value_kind:     hidden_hostcall_buffer
    .group_segment_fixed_size: 0
    .kernarg_segment_align: 8
    .kernarg_segment_size: 464
    .language:       OpenCL C
    .language_version:
      - 2
      - 0
    .max_flat_workgroup_size: 256
    .name:           _ZL15flash_attn_tileILi40ELi40ELi8ELi1ELb1EEvPKcS1_S1_S1_S1_PKiPfP15HIP_vector_typeIfLj2EEffffjfiS5_IjLj3EEiiiiiiiiiiiliiliiiiil
    .private_segment_fixed_size: 16
    .sgpr_count:     36
    .sgpr_spill_count: 0
    .symbol:         _ZL15flash_attn_tileILi40ELi40ELi8ELi1ELb1EEvPKcS1_S1_S1_S1_PKiPfP15HIP_vector_typeIfLj2EEffffjfiS5_IjLj3EEiiiiiiiiiiiliiliiiiil.kd
    .uniform_work_group_size: 1
    .uses_dynamic_stack: false
    .vgpr_count:     37
    .vgpr_spill_count: 0
    .wavefront_size: 32
    .workgroup_processor_mode: 1
  - .args:
      - .address_space:  global
        .offset:         0
        .size:           8
        .value_kind:     global_buffer
      - .address_space:  global
        .offset:         8
        .size:           8
        .value_kind:     global_buffer
      - .address_space:  global
        .offset:         16
        .size:           8
        .value_kind:     global_buffer
      - .address_space:  global
        .offset:         24
        .size:           8
        .value_kind:     global_buffer
      - .address_space:  global
        .offset:         32
        .size:           8
        .value_kind:     global_buffer
      - .address_space:  global
        .offset:         40
        .size:           8
        .value_kind:     global_buffer
      - .address_space:  global
        .offset:         48
        .size:           8
        .value_kind:     global_buffer
      - .address_space:  global
        .offset:         56
        .size:           8
        .value_kind:     global_buffer
      - .offset:         64
        .size:           4
        .value_kind:     by_value
      - .offset:         68
        .size:           4
        .value_kind:     by_value
      - .offset:         72
        .size:           4
        .value_kind:     by_value
      - .offset:         76
        .size:           4
        .value_kind:     by_value
      - .offset:         80
        .size:           4
        .value_kind:     by_value
      - .offset:         84
        .size:           4
        .value_kind:     by_value
      - .offset:         88
        .size:           4
        .value_kind:     by_value
      - .offset:         92
        .size:           12
        .value_kind:     by_value
      - .offset:         104
        .size:           4
        .value_kind:     by_value
      - .offset:         108
        .size:           4
        .value_kind:     by_value
      - .offset:         112
        .size:           4
        .value_kind:     by_value
      - .offset:         116
        .size:           4
        .value_kind:     by_value
      - .offset:         120
        .size:           4
        .value_kind:     by_value
      - .offset:         124
        .size:           4
        .value_kind:     by_value
      - .offset:         128
        .size:           4
        .value_kind:     by_value
      - .offset:         132
        .size:           4
        .value_kind:     by_value
      - .offset:         136
        .size:           4
        .value_kind:     by_value
      - .offset:         140
        .size:           4
        .value_kind:     by_value
      - .offset:         144
        .size:           4
        .value_kind:     by_value
      - .offset:         152
        .size:           8
        .value_kind:     by_value
      - .offset:         160
        .size:           4
        .value_kind:     by_value
      - .offset:         164
        .size:           4
        .value_kind:     by_value
      - .offset:         168
        .size:           8
        .value_kind:     by_value
      - .offset:         176
        .size:           4
        .value_kind:     by_value
      - .offset:         180
        .size:           4
        .value_kind:     by_value
      - .offset:         184
        .size:           4
        .value_kind:     by_value
      - .offset:         188
        .size:           4
        .value_kind:     by_value
      - .offset:         192
        .size:           4
        .value_kind:     by_value
      - .offset:         200
        .size:           8
        .value_kind:     by_value
      - .offset:         208
        .size:           4
        .value_kind:     hidden_block_count_x
      - .offset:         212
        .size:           4
        .value_kind:     hidden_block_count_y
      - .offset:         216
        .size:           4
        .value_kind:     hidden_block_count_z
      - .offset:         220
        .size:           2
        .value_kind:     hidden_group_size_x
      - .offset:         222
        .size:           2
        .value_kind:     hidden_group_size_y
      - .offset:         224
        .size:           2
        .value_kind:     hidden_group_size_z
      - .offset:         226
        .size:           2
        .value_kind:     hidden_remainder_x
      - .offset:         228
        .size:           2
        .value_kind:     hidden_remainder_y
      - .offset:         230
        .size:           2
        .value_kind:     hidden_remainder_z
      - .offset:         248
        .size:           8
        .value_kind:     hidden_global_offset_x
      - .offset:         256
        .size:           8
        .value_kind:     hidden_global_offset_y
      - .offset:         264
        .size:           8
        .value_kind:     hidden_global_offset_z
      - .offset:         272
        .size:           2
        .value_kind:     hidden_grid_dims
      - .offset:         288
        .size:           8
        .value_kind:     hidden_hostcall_buffer
    .group_segment_fixed_size: 0
    .kernarg_segment_align: 8
    .kernarg_segment_size: 464
    .language:       OpenCL C
    .language_version:
      - 2
      - 0
    .max_flat_workgroup_size: 128
    .name:           _ZL15flash_attn_tileILi40ELi40ELi4ELi1ELb1EEvPKcS1_S1_S1_S1_PKiPfP15HIP_vector_typeIfLj2EEffffjfiS5_IjLj3EEiiiiiiiiiiiliiliiiiil
    .private_segment_fixed_size: 16
    .sgpr_count:     36
    .sgpr_spill_count: 0
    .symbol:         _ZL15flash_attn_tileILi40ELi40ELi4ELi1ELb1EEvPKcS1_S1_S1_S1_PKiPfP15HIP_vector_typeIfLj2EEffffjfiS5_IjLj3EEiiiiiiiiiiiliiliiiiil.kd
    .uniform_work_group_size: 1
    .uses_dynamic_stack: false
    .vgpr_count:     37
    .vgpr_spill_count: 0
    .wavefront_size: 32
    .workgroup_processor_mode: 1
  - .args:
      - .address_space:  global
        .offset:         0
        .size:           8
        .value_kind:     global_buffer
      - .address_space:  global
        .offset:         8
        .size:           8
        .value_kind:     global_buffer
      - .address_space:  global
        .offset:         16
        .size:           8
        .value_kind:     global_buffer
      - .address_space:  global
        .offset:         24
        .size:           8
        .value_kind:     global_buffer
      - .address_space:  global
        .offset:         32
        .size:           8
        .value_kind:     global_buffer
      - .address_space:  global
        .offset:         40
        .size:           8
        .value_kind:     global_buffer
      - .address_space:  global
        .offset:         48
        .size:           8
        .value_kind:     global_buffer
      - .address_space:  global
        .offset:         56
        .size:           8
        .value_kind:     global_buffer
      - .offset:         64
        .size:           4
        .value_kind:     by_value
      - .offset:         68
        .size:           4
        .value_kind:     by_value
      - .offset:         72
        .size:           4
        .value_kind:     by_value
      - .offset:         76
        .size:           4
        .value_kind:     by_value
      - .offset:         80
        .size:           4
        .value_kind:     by_value
      - .offset:         84
        .size:           4
        .value_kind:     by_value
      - .offset:         88
        .size:           4
        .value_kind:     by_value
      - .offset:         92
        .size:           12
        .value_kind:     by_value
      - .offset:         104
        .size:           4
        .value_kind:     by_value
      - .offset:         108
        .size:           4
        .value_kind:     by_value
      - .offset:         112
        .size:           4
        .value_kind:     by_value
      - .offset:         116
        .size:           4
        .value_kind:     by_value
      - .offset:         120
        .size:           4
        .value_kind:     by_value
      - .offset:         124
        .size:           4
        .value_kind:     by_value
      - .offset:         128
        .size:           4
        .value_kind:     by_value
      - .offset:         132
        .size:           4
        .value_kind:     by_value
      - .offset:         136
        .size:           4
        .value_kind:     by_value
      - .offset:         140
        .size:           4
        .value_kind:     by_value
      - .offset:         144
        .size:           4
        .value_kind:     by_value
      - .offset:         152
        .size:           8
        .value_kind:     by_value
      - .offset:         160
        .size:           4
        .value_kind:     by_value
      - .offset:         164
        .size:           4
        .value_kind:     by_value
      - .offset:         168
        .size:           8
        .value_kind:     by_value
      - .offset:         176
        .size:           4
        .value_kind:     by_value
      - .offset:         180
        .size:           4
        .value_kind:     by_value
      - .offset:         184
        .size:           4
        .value_kind:     by_value
      - .offset:         188
        .size:           4
        .value_kind:     by_value
      - .offset:         192
        .size:           4
        .value_kind:     by_value
      - .offset:         200
        .size:           8
        .value_kind:     by_value
      - .offset:         208
        .size:           4
        .value_kind:     hidden_block_count_x
      - .offset:         212
        .size:           4
        .value_kind:     hidden_block_count_y
      - .offset:         216
        .size:           4
        .value_kind:     hidden_block_count_z
      - .offset:         220
        .size:           2
        .value_kind:     hidden_group_size_x
      - .offset:         222
        .size:           2
        .value_kind:     hidden_group_size_y
      - .offset:         224
        .size:           2
        .value_kind:     hidden_group_size_z
      - .offset:         226
        .size:           2
        .value_kind:     hidden_remainder_x
      - .offset:         228
        .size:           2
        .value_kind:     hidden_remainder_y
      - .offset:         230
        .size:           2
        .value_kind:     hidden_remainder_z
      - .offset:         248
        .size:           8
        .value_kind:     hidden_global_offset_x
      - .offset:         256
        .size:           8
        .value_kind:     hidden_global_offset_y
      - .offset:         264
        .size:           8
        .value_kind:     hidden_global_offset_z
      - .offset:         272
        .size:           2
        .value_kind:     hidden_grid_dims
      - .offset:         288
        .size:           8
        .value_kind:     hidden_hostcall_buffer
    .group_segment_fixed_size: 0
    .kernarg_segment_align: 8
    .kernarg_segment_size: 464
    .language:       OpenCL C
    .language_version:
      - 2
      - 0
    .max_flat_workgroup_size: 64
    .name:           _ZL15flash_attn_tileILi40ELi40ELi2ELi1ELb1EEvPKcS1_S1_S1_S1_PKiPfP15HIP_vector_typeIfLj2EEffffjfiS5_IjLj3EEiiiiiiiiiiiliiliiiiil
    .private_segment_fixed_size: 16
    .sgpr_count:     36
    .sgpr_spill_count: 0
    .symbol:         _ZL15flash_attn_tileILi40ELi40ELi2ELi1ELb1EEvPKcS1_S1_S1_S1_PKiPfP15HIP_vector_typeIfLj2EEffffjfiS5_IjLj3EEiiiiiiiiiiiliiliiiiil.kd
    .uniform_work_group_size: 1
    .uses_dynamic_stack: false
    .vgpr_count:     37
    .vgpr_spill_count: 0
    .wavefront_size: 32
    .workgroup_processor_mode: 1
amdhsa.target:   amdgcn-amd-amdhsa--gfx1100
amdhsa.version:
  - 1
  - 2
...

	.end_amdgpu_metadata
